;; amdgpu-corpus repo=ggml-org/llama.cpp kind=compiled arch=gfx942 opt=O3
	.text
	.amdgcn_target "amdgcn-amd-amdhsa--gfx942"
	.amdhsa_code_object_version 6
	.p2align	2                               ; -- Begin function __ockl_printf_append_string_n
	.type	__ockl_printf_append_string_n,@function
__ockl_printf_append_string_n:          ; @__ockl_printf_append_string_n
; %bb.0:
	s_waitcnt vmcnt(0) expcnt(0) lgkmcnt(0)
	v_mov_b32_e32 v7, v3
	v_mov_b32_e32 v6, v2
	;; [unrolled: 1-line block ×3, first 2 shown]
	s_mov_b64 s[2:3], 0
	v_cmp_ne_u64_e32 vcc, 0, v[6:7]
	v_mbcnt_lo_u32_b32 v3, -1, 0
	s_and_saveexec_b64 s[0:1], vcc
	s_xor_b64 s[4:5], exec, s[0:1]
	s_cbranch_execz .LBB0_86
; %bb.1:
	s_load_dwordx2 s[6:7], s[8:9], 0x50
	v_and_b32_e32 v28, 2, v2
	s_mov_b32 s18, 0
	v_mov_b32_e32 v31, 0
	v_and_b32_e32 v0, -3, v2
	v_mbcnt_hi_u32_b32 v32, -1, v3
	s_movk_i32 s19, 0xff1f
	v_mov_b32_e32 v10, 2
	v_mov_b32_e32 v11, 1
	s_branch .LBB0_3
.LBB0_2:                                ;   in Loop: Header=BB0_3 Depth=1
	s_or_b64 exec, exec, s[12:13]
	v_sub_co_u32_e32 v4, vcc, v4, v34
	v_lshl_add_u64 v[6:7], v[6:7], 0, v[34:35]
	s_nop 0
	v_subb_co_u32_e32 v5, vcc, v5, v35, vcc
	v_cmp_eq_u64_e32 vcc, 0, v[4:5]
	s_or_b64 s[2:3], vcc, s[2:3]
	s_andn2_b64 exec, exec, s[2:3]
	s_cbranch_execz .LBB0_85
.LBB0_3:                                ; =>This Loop Header: Depth=1
                                        ;     Child Loop BB0_6 Depth 2
                                        ;     Child Loop BB0_14 Depth 2
	;; [unrolled: 1-line block ×11, first 2 shown]
	v_cmp_gt_u64_e32 vcc, 56, v[4:5]
                                        ; implicit-def: $vgpr2_vgpr3
                                        ; implicit-def: $sgpr10
	s_nop 1
	v_cndmask_b32_e32 v35, 0, v5, vcc
	v_cndmask_b32_e32 v34, 56, v4, vcc
	v_cmp_gt_u64_e32 vcc, 8, v[4:5]
	s_and_saveexec_b64 s[0:1], vcc
	s_xor_b64 s[0:1], exec, s[0:1]
	s_cbranch_execz .LBB0_9
; %bb.4:                                ;   in Loop: Header=BB0_3 Depth=1
	s_mov_b64 s[12:13], 0
	v_cmp_ne_u64_e32 vcc, 0, v[4:5]
	s_waitcnt vmcnt(0)
	v_mov_b64_e32 v[2:3], 0
	s_and_saveexec_b64 s[10:11], vcc
	s_cbranch_execz .LBB0_8
; %bb.5:                                ;   in Loop: Header=BB0_3 Depth=1
	v_lshlrev_b64 v[8:9], 3, v[34:35]
	v_mov_b64_e32 v[2:3], 0
	v_mov_b64_e32 v[12:13], v[6:7]
	s_mov_b64 s[14:15], 0
.LBB0_6:                                ;   Parent Loop BB0_3 Depth=1
                                        ; =>  This Inner Loop Header: Depth=2
	flat_load_ubyte v9, v[12:13]
	v_mov_b32_e32 v15, s18
	v_lshl_add_u64 v[12:13], v[12:13], 0, 1
	s_waitcnt vmcnt(0) lgkmcnt(0)
	v_and_b32_e32 v14, 0xffff, v9
	v_lshlrev_b64 v[14:15], s14, v[14:15]
	s_add_u32 s14, s14, 8
	s_addc_u32 s15, s15, 0
	v_cmp_eq_u32_e32 vcc, s14, v8
	v_or_b32_e32 v3, v15, v3
	s_or_b64 s[12:13], vcc, s[12:13]
	v_or_b32_e32 v2, v14, v2
	s_andn2_b64 exec, exec, s[12:13]
	s_cbranch_execnz .LBB0_6
; %bb.7:                                ;   in Loop: Header=BB0_3 Depth=1
	s_or_b64 exec, exec, s[12:13]
.LBB0_8:                                ;   in Loop: Header=BB0_3 Depth=1
	s_or_b64 exec, exec, s[10:11]
	s_mov_b32 s10, 0
.LBB0_9:                                ;   in Loop: Header=BB0_3 Depth=1
	s_or_saveexec_b64 s[0:1], s[0:1]
	v_mov_b32_e32 v14, s10
	v_mov_b64_e32 v[8:9], v[6:7]
	s_xor_b64 exec, exec, s[0:1]
	s_cbranch_execz .LBB0_11
; %bb.10:                               ;   in Loop: Header=BB0_3 Depth=1
	s_waitcnt vmcnt(0)
	flat_load_dwordx2 v[2:3], v[6:7]
	v_add_u32_e32 v14, -8, v34
	s_waitcnt vmcnt(0) lgkmcnt(0)
	v_and_b32_e32 v8, 0xff, v3
	v_and_b32_e32 v9, 0xff00, v3
	;; [unrolled: 1-line block ×4, first 2 shown]
	v_or_b32_e32 v8, v8, v9
	v_or3_b32 v2, v2, 0, 0
	v_or3_b32 v3, v8, v12, v3
	v_lshl_add_u64 v[8:9], v[6:7], 0, 8
.LBB0_11:                               ;   in Loop: Header=BB0_3 Depth=1
	s_or_b64 exec, exec, s[0:1]
	v_cmp_gt_u32_e32 vcc, 8, v14
                                        ; implicit-def: $vgpr12_vgpr13
                                        ; implicit-def: $sgpr10
	s_and_saveexec_b64 s[0:1], vcc
	s_xor_b64 s[0:1], exec, s[0:1]
	s_cbranch_execz .LBB0_17
; %bb.12:                               ;   in Loop: Header=BB0_3 Depth=1
	v_cmp_ne_u32_e32 vcc, 0, v14
	v_mov_b64_e32 v[12:13], 0
	s_and_saveexec_b64 s[10:11], vcc
	s_cbranch_execz .LBB0_16
; %bb.13:                               ;   in Loop: Header=BB0_3 Depth=1
	s_mov_b64 s[12:13], 0
	v_mov_b64_e32 v[12:13], 0
	s_mov_b64 s[14:15], 0
	s_mov_b64 s[16:17], 0
.LBB0_14:                               ;   Parent Loop BB0_3 Depth=1
                                        ; =>  This Inner Loop Header: Depth=2
	v_lshl_add_u64 v[16:17], v[8:9], 0, s[16:17]
	flat_load_ubyte v15, v[16:17]
	s_add_u32 s16, s16, 1
	v_mov_b32_e32 v17, s18
	s_addc_u32 s17, s17, 0
	v_cmp_eq_u32_e32 vcc, s16, v14
	s_waitcnt vmcnt(0) lgkmcnt(0)
	v_and_b32_e32 v16, 0xffff, v15
	v_lshlrev_b64 v[16:17], s14, v[16:17]
	s_add_u32 s14, s14, 8
	s_addc_u32 s15, s15, 0
	v_or_b32_e32 v13, v17, v13
	s_or_b64 s[12:13], vcc, s[12:13]
	v_or_b32_e32 v12, v16, v12
	s_andn2_b64 exec, exec, s[12:13]
	s_cbranch_execnz .LBB0_14
; %bb.15:                               ;   in Loop: Header=BB0_3 Depth=1
	s_or_b64 exec, exec, s[12:13]
.LBB0_16:                               ;   in Loop: Header=BB0_3 Depth=1
	s_or_b64 exec, exec, s[10:11]
	s_mov_b32 s10, 0
                                        ; implicit-def: $vgpr14
.LBB0_17:                               ;   in Loop: Header=BB0_3 Depth=1
	s_or_saveexec_b64 s[0:1], s[0:1]
	v_mov_b32_e32 v16, s10
	s_xor_b64 exec, exec, s[0:1]
	s_cbranch_execz .LBB0_19
; %bb.18:                               ;   in Loop: Header=BB0_3 Depth=1
	flat_load_dwordx2 v[12:13], v[8:9]
	v_add_u32_e32 v16, -8, v14
	v_lshl_add_u64 v[8:9], v[8:9], 0, 8
	s_waitcnt vmcnt(0) lgkmcnt(0)
	v_and_b32_e32 v14, 0xff, v13
	v_and_b32_e32 v15, 0xff00, v13
	v_and_b32_e32 v17, 0xff0000, v13
	v_and_b32_e32 v13, 0xff000000, v13
	v_or_b32_e32 v14, v14, v15
	v_or3_b32 v12, v12, 0, 0
	v_or3_b32 v13, v14, v17, v13
.LBB0_19:                               ;   in Loop: Header=BB0_3 Depth=1
	s_or_b64 exec, exec, s[0:1]
	v_cmp_gt_u32_e32 vcc, 8, v16
                                        ; implicit-def: $sgpr10
	s_and_saveexec_b64 s[0:1], vcc
	s_xor_b64 s[0:1], exec, s[0:1]
	s_cbranch_execz .LBB0_25
; %bb.20:                               ;   in Loop: Header=BB0_3 Depth=1
	v_cmp_ne_u32_e32 vcc, 0, v16
	v_mov_b64_e32 v[14:15], 0
	s_and_saveexec_b64 s[10:11], vcc
	s_cbranch_execz .LBB0_24
; %bb.21:                               ;   in Loop: Header=BB0_3 Depth=1
	s_mov_b64 s[12:13], 0
	v_mov_b64_e32 v[14:15], 0
	s_mov_b64 s[14:15], 0
	s_mov_b64 s[16:17], 0
.LBB0_22:                               ;   Parent Loop BB0_3 Depth=1
                                        ; =>  This Inner Loop Header: Depth=2
	v_lshl_add_u64 v[18:19], v[8:9], 0, s[16:17]
	flat_load_ubyte v17, v[18:19]
	s_add_u32 s16, s16, 1
	v_mov_b32_e32 v19, s18
	s_addc_u32 s17, s17, 0
	v_cmp_eq_u32_e32 vcc, s16, v16
	s_waitcnt vmcnt(0) lgkmcnt(0)
	v_and_b32_e32 v18, 0xffff, v17
	v_lshlrev_b64 v[18:19], s14, v[18:19]
	s_add_u32 s14, s14, 8
	s_addc_u32 s15, s15, 0
	v_or_b32_e32 v15, v19, v15
	s_or_b64 s[12:13], vcc, s[12:13]
	v_or_b32_e32 v14, v18, v14
	s_andn2_b64 exec, exec, s[12:13]
	s_cbranch_execnz .LBB0_22
; %bb.23:                               ;   in Loop: Header=BB0_3 Depth=1
	s_or_b64 exec, exec, s[12:13]
.LBB0_24:                               ;   in Loop: Header=BB0_3 Depth=1
	s_or_b64 exec, exec, s[10:11]
	s_mov_b32 s10, 0
                                        ; implicit-def: $vgpr16
.LBB0_25:                               ;   in Loop: Header=BB0_3 Depth=1
	s_or_saveexec_b64 s[0:1], s[0:1]
	v_mov_b32_e32 v18, s10
	s_xor_b64 exec, exec, s[0:1]
	s_cbranch_execz .LBB0_27
; %bb.26:                               ;   in Loop: Header=BB0_3 Depth=1
	flat_load_dwordx2 v[14:15], v[8:9]
	v_add_u32_e32 v18, -8, v16
	v_lshl_add_u64 v[8:9], v[8:9], 0, 8
	s_waitcnt vmcnt(0) lgkmcnt(0)
	v_and_b32_e32 v16, 0xff, v15
	v_and_b32_e32 v17, 0xff00, v15
	;; [unrolled: 1-line block ×4, first 2 shown]
	v_or_b32_e32 v16, v16, v17
	v_or3_b32 v14, v14, 0, 0
	v_or3_b32 v15, v16, v19, v15
.LBB0_27:                               ;   in Loop: Header=BB0_3 Depth=1
	s_or_b64 exec, exec, s[0:1]
	v_cmp_gt_u32_e32 vcc, 8, v18
                                        ; implicit-def: $vgpr16_vgpr17
                                        ; implicit-def: $sgpr10
	s_and_saveexec_b64 s[0:1], vcc
	s_xor_b64 s[0:1], exec, s[0:1]
	s_cbranch_execz .LBB0_33
; %bb.28:                               ;   in Loop: Header=BB0_3 Depth=1
	v_cmp_ne_u32_e32 vcc, 0, v18
	v_mov_b64_e32 v[16:17], 0
	s_and_saveexec_b64 s[10:11], vcc
	s_cbranch_execz .LBB0_32
; %bb.29:                               ;   in Loop: Header=BB0_3 Depth=1
	s_mov_b64 s[12:13], 0
	v_mov_b64_e32 v[16:17], 0
	s_mov_b64 s[14:15], 0
	s_mov_b64 s[16:17], 0
.LBB0_30:                               ;   Parent Loop BB0_3 Depth=1
                                        ; =>  This Inner Loop Header: Depth=2
	v_lshl_add_u64 v[20:21], v[8:9], 0, s[16:17]
	flat_load_ubyte v19, v[20:21]
	s_add_u32 s16, s16, 1
	v_mov_b32_e32 v21, s18
	s_addc_u32 s17, s17, 0
	v_cmp_eq_u32_e32 vcc, s16, v18
	s_waitcnt vmcnt(0) lgkmcnt(0)
	v_and_b32_e32 v20, 0xffff, v19
	v_lshlrev_b64 v[20:21], s14, v[20:21]
	s_add_u32 s14, s14, 8
	s_addc_u32 s15, s15, 0
	v_or_b32_e32 v17, v21, v17
	s_or_b64 s[12:13], vcc, s[12:13]
	v_or_b32_e32 v16, v20, v16
	s_andn2_b64 exec, exec, s[12:13]
	s_cbranch_execnz .LBB0_30
; %bb.31:                               ;   in Loop: Header=BB0_3 Depth=1
	s_or_b64 exec, exec, s[12:13]
.LBB0_32:                               ;   in Loop: Header=BB0_3 Depth=1
	s_or_b64 exec, exec, s[10:11]
	s_mov_b32 s10, 0
                                        ; implicit-def: $vgpr18
.LBB0_33:                               ;   in Loop: Header=BB0_3 Depth=1
	s_or_saveexec_b64 s[0:1], s[0:1]
	v_mov_b32_e32 v20, s10
	s_xor_b64 exec, exec, s[0:1]
	s_cbranch_execz .LBB0_35
; %bb.34:                               ;   in Loop: Header=BB0_3 Depth=1
	flat_load_dwordx2 v[16:17], v[8:9]
	v_add_u32_e32 v20, -8, v18
	v_lshl_add_u64 v[8:9], v[8:9], 0, 8
	s_waitcnt vmcnt(0) lgkmcnt(0)
	v_and_b32_e32 v18, 0xff, v17
	v_and_b32_e32 v19, 0xff00, v17
	v_and_b32_e32 v21, 0xff0000, v17
	v_and_b32_e32 v17, 0xff000000, v17
	v_or_b32_e32 v18, v18, v19
	v_or3_b32 v16, v16, 0, 0
	v_or3_b32 v17, v18, v21, v17
.LBB0_35:                               ;   in Loop: Header=BB0_3 Depth=1
	s_or_b64 exec, exec, s[0:1]
	v_cmp_gt_u32_e32 vcc, 8, v20
                                        ; implicit-def: $sgpr10
	s_and_saveexec_b64 s[0:1], vcc
	s_xor_b64 s[0:1], exec, s[0:1]
	s_cbranch_execz .LBB0_41
; %bb.36:                               ;   in Loop: Header=BB0_3 Depth=1
	v_cmp_ne_u32_e32 vcc, 0, v20
	v_mov_b64_e32 v[18:19], 0
	s_and_saveexec_b64 s[10:11], vcc
	s_cbranch_execz .LBB0_40
; %bb.37:                               ;   in Loop: Header=BB0_3 Depth=1
	s_mov_b64 s[12:13], 0
	v_mov_b64_e32 v[18:19], 0
	s_mov_b64 s[14:15], 0
	s_mov_b64 s[16:17], 0
.LBB0_38:                               ;   Parent Loop BB0_3 Depth=1
                                        ; =>  This Inner Loop Header: Depth=2
	v_lshl_add_u64 v[22:23], v[8:9], 0, s[16:17]
	flat_load_ubyte v21, v[22:23]
	s_add_u32 s16, s16, 1
	v_mov_b32_e32 v23, s18
	s_addc_u32 s17, s17, 0
	v_cmp_eq_u32_e32 vcc, s16, v20
	s_waitcnt vmcnt(0) lgkmcnt(0)
	v_and_b32_e32 v22, 0xffff, v21
	v_lshlrev_b64 v[22:23], s14, v[22:23]
	s_add_u32 s14, s14, 8
	s_addc_u32 s15, s15, 0
	v_or_b32_e32 v19, v23, v19
	s_or_b64 s[12:13], vcc, s[12:13]
	v_or_b32_e32 v18, v22, v18
	s_andn2_b64 exec, exec, s[12:13]
	s_cbranch_execnz .LBB0_38
; %bb.39:                               ;   in Loop: Header=BB0_3 Depth=1
	s_or_b64 exec, exec, s[12:13]
.LBB0_40:                               ;   in Loop: Header=BB0_3 Depth=1
	s_or_b64 exec, exec, s[10:11]
	s_mov_b32 s10, 0
                                        ; implicit-def: $vgpr20
.LBB0_41:                               ;   in Loop: Header=BB0_3 Depth=1
	s_or_saveexec_b64 s[0:1], s[0:1]
	v_mov_b32_e32 v22, s10
	s_xor_b64 exec, exec, s[0:1]
	s_cbranch_execz .LBB0_43
; %bb.42:                               ;   in Loop: Header=BB0_3 Depth=1
	flat_load_dwordx2 v[18:19], v[8:9]
	v_add_u32_e32 v22, -8, v20
	v_lshl_add_u64 v[8:9], v[8:9], 0, 8
	s_waitcnt vmcnt(0) lgkmcnt(0)
	v_and_b32_e32 v20, 0xff, v19
	v_and_b32_e32 v21, 0xff00, v19
	;; [unrolled: 1-line block ×4, first 2 shown]
	v_or_b32_e32 v20, v20, v21
	v_or3_b32 v18, v18, 0, 0
	v_or3_b32 v19, v20, v23, v19
.LBB0_43:                               ;   in Loop: Header=BB0_3 Depth=1
	s_or_b64 exec, exec, s[0:1]
	v_cmp_gt_u32_e32 vcc, 8, v22
                                        ; implicit-def: $vgpr20_vgpr21
                                        ; implicit-def: $sgpr10
	s_and_saveexec_b64 s[0:1], vcc
	s_xor_b64 s[0:1], exec, s[0:1]
	s_cbranch_execz .LBB0_49
; %bb.44:                               ;   in Loop: Header=BB0_3 Depth=1
	v_cmp_ne_u32_e32 vcc, 0, v22
	v_mov_b64_e32 v[20:21], 0
	s_and_saveexec_b64 s[10:11], vcc
	s_cbranch_execz .LBB0_48
; %bb.45:                               ;   in Loop: Header=BB0_3 Depth=1
	s_mov_b64 s[12:13], 0
	v_mov_b64_e32 v[20:21], 0
	s_mov_b64 s[14:15], 0
	s_mov_b64 s[16:17], 0
.LBB0_46:                               ;   Parent Loop BB0_3 Depth=1
                                        ; =>  This Inner Loop Header: Depth=2
	v_lshl_add_u64 v[24:25], v[8:9], 0, s[16:17]
	flat_load_ubyte v23, v[24:25]
	s_add_u32 s16, s16, 1
	v_mov_b32_e32 v25, s18
	s_addc_u32 s17, s17, 0
	v_cmp_eq_u32_e32 vcc, s16, v22
	s_waitcnt vmcnt(0) lgkmcnt(0)
	v_and_b32_e32 v24, 0xffff, v23
	v_lshlrev_b64 v[24:25], s14, v[24:25]
	s_add_u32 s14, s14, 8
	s_addc_u32 s15, s15, 0
	v_or_b32_e32 v21, v25, v21
	s_or_b64 s[12:13], vcc, s[12:13]
	v_or_b32_e32 v20, v24, v20
	s_andn2_b64 exec, exec, s[12:13]
	s_cbranch_execnz .LBB0_46
; %bb.47:                               ;   in Loop: Header=BB0_3 Depth=1
	s_or_b64 exec, exec, s[12:13]
.LBB0_48:                               ;   in Loop: Header=BB0_3 Depth=1
	s_or_b64 exec, exec, s[10:11]
	s_mov_b32 s10, 0
                                        ; implicit-def: $vgpr22
.LBB0_49:                               ;   in Loop: Header=BB0_3 Depth=1
	s_or_saveexec_b64 s[0:1], s[0:1]
	v_mov_b32_e32 v24, s10
	s_xor_b64 exec, exec, s[0:1]
	s_cbranch_execz .LBB0_51
; %bb.50:                               ;   in Loop: Header=BB0_3 Depth=1
	flat_load_dwordx2 v[20:21], v[8:9]
	v_add_u32_e32 v24, -8, v22
	v_lshl_add_u64 v[8:9], v[8:9], 0, 8
	s_waitcnt vmcnt(0) lgkmcnt(0)
	v_and_b32_e32 v22, 0xff, v21
	v_and_b32_e32 v23, 0xff00, v21
	;; [unrolled: 1-line block ×4, first 2 shown]
	v_or_b32_e32 v22, v22, v23
	v_or3_b32 v20, v20, 0, 0
	v_or3_b32 v21, v22, v25, v21
.LBB0_51:                               ;   in Loop: Header=BB0_3 Depth=1
	s_or_b64 exec, exec, s[0:1]
	v_cmp_gt_u32_e32 vcc, 8, v24
	s_and_saveexec_b64 s[0:1], vcc
	s_xor_b64 s[0:1], exec, s[0:1]
	s_cbranch_execz .LBB0_57
; %bb.52:                               ;   in Loop: Header=BB0_3 Depth=1
	v_cmp_ne_u32_e32 vcc, 0, v24
	v_mov_b64_e32 v[22:23], 0
	s_and_saveexec_b64 s[10:11], vcc
	s_cbranch_execz .LBB0_56
; %bb.53:                               ;   in Loop: Header=BB0_3 Depth=1
	s_mov_b64 s[12:13], 0
	v_mov_b64_e32 v[22:23], 0
	s_mov_b64 s[14:15], 0
.LBB0_54:                               ;   Parent Loop BB0_3 Depth=1
                                        ; =>  This Inner Loop Header: Depth=2
	flat_load_ubyte v25, v[8:9]
	v_mov_b32_e32 v27, s18
	v_add_u32_e32 v24, -1, v24
	v_cmp_eq_u32_e32 vcc, 0, v24
	v_lshl_add_u64 v[8:9], v[8:9], 0, 1
	s_waitcnt vmcnt(0) lgkmcnt(0)
	v_and_b32_e32 v26, 0xffff, v25
	v_lshlrev_b64 v[26:27], s14, v[26:27]
	s_add_u32 s14, s14, 8
	s_addc_u32 s15, s15, 0
	v_or_b32_e32 v23, v27, v23
	s_or_b64 s[12:13], vcc, s[12:13]
	v_or_b32_e32 v22, v26, v22
	s_andn2_b64 exec, exec, s[12:13]
	s_cbranch_execnz .LBB0_54
; %bb.55:                               ;   in Loop: Header=BB0_3 Depth=1
	s_or_b64 exec, exec, s[12:13]
.LBB0_56:                               ;   in Loop: Header=BB0_3 Depth=1
	s_or_b64 exec, exec, s[10:11]
                                        ; implicit-def: $vgpr8_vgpr9
.LBB0_57:                               ;   in Loop: Header=BB0_3 Depth=1
	s_andn2_saveexec_b64 s[0:1], s[0:1]
	s_cbranch_execz .LBB0_59
; %bb.58:                               ;   in Loop: Header=BB0_3 Depth=1
	flat_load_dwordx2 v[8:9], v[8:9]
	s_waitcnt vmcnt(0) lgkmcnt(0)
	v_and_b32_e32 v22, 0xff, v9
	v_and_b32_e32 v23, 0xff00, v9
	v_and_b32_e32 v24, 0xff0000, v9
	v_and_b32_e32 v9, 0xff000000, v9
	v_or_b32_e32 v22, v22, v23
	v_or3_b32 v23, v22, v24, v9
	v_or3_b32 v22, v8, 0, 0
.LBB0_59:                               ;   in Loop: Header=BB0_3 Depth=1
	s_or_b64 exec, exec, s[0:1]
	v_readfirstlane_b32 s0, v32
	v_mov_b64_e32 v[8:9], 0
	s_nop 0
	v_cmp_eq_u32_e64 s[0:1], s0, v32
	s_and_saveexec_b64 s[10:11], s[0:1]
	s_cbranch_execz .LBB0_65
; %bb.60:                               ;   in Loop: Header=BB0_3 Depth=1
	s_waitcnt lgkmcnt(0)
	global_load_dwordx2 v[26:27], v31, s[6:7] offset:24 sc0 sc1
	s_waitcnt vmcnt(0)
	buffer_inv sc0 sc1
	global_load_dwordx2 v[8:9], v31, s[6:7] offset:40
	global_load_dwordx2 v[24:25], v31, s[6:7]
	s_waitcnt vmcnt(1)
	v_and_b32_e32 v8, v8, v26
	v_and_b32_e32 v9, v9, v27
	v_mul_lo_u32 v9, v9, 24
	v_mul_hi_u32 v29, v8, 24
	v_add_u32_e32 v9, v29, v9
	v_mul_lo_u32 v8, v8, 24
	s_waitcnt vmcnt(0)
	v_lshl_add_u64 v[8:9], v[24:25], 0, v[8:9]
	global_load_dwordx2 v[24:25], v[8:9], off sc0 sc1
	s_waitcnt vmcnt(0)
	global_atomic_cmpswap_x2 v[8:9], v31, v[24:27], s[6:7] offset:24 sc0 sc1
	s_waitcnt vmcnt(0)
	buffer_inv sc0 sc1
	v_cmp_ne_u64_e32 vcc, v[8:9], v[26:27]
	s_and_saveexec_b64 s[12:13], vcc
	s_cbranch_execz .LBB0_64
; %bb.61:                               ;   in Loop: Header=BB0_3 Depth=1
	s_mov_b64 s[14:15], 0
.LBB0_62:                               ;   Parent Loop BB0_3 Depth=1
                                        ; =>  This Inner Loop Header: Depth=2
	s_sleep 1
	global_load_dwordx2 v[24:25], v31, s[6:7] offset:40
	global_load_dwordx2 v[36:37], v31, s[6:7]
	v_mov_b64_e32 v[26:27], v[8:9]
	s_waitcnt vmcnt(1)
	v_and_b32_e32 v8, v24, v26
	s_waitcnt vmcnt(0)
	v_mad_u64_u32 v[8:9], s[16:17], v8, 24, v[36:37]
	v_and_b32_e32 v25, v25, v27
	v_mov_b32_e32 v24, v9
	v_mad_u64_u32 v[24:25], s[16:17], v25, 24, v[24:25]
	v_mov_b32_e32 v9, v24
	global_load_dwordx2 v[24:25], v[8:9], off sc0 sc1
	s_waitcnt vmcnt(0)
	global_atomic_cmpswap_x2 v[8:9], v31, v[24:27], s[6:7] offset:24 sc0 sc1
	s_waitcnt vmcnt(0)
	buffer_inv sc0 sc1
	v_cmp_eq_u64_e32 vcc, v[8:9], v[26:27]
	s_or_b64 s[14:15], vcc, s[14:15]
	s_andn2_b64 exec, exec, s[14:15]
	s_cbranch_execnz .LBB0_62
; %bb.63:                               ;   in Loop: Header=BB0_3 Depth=1
	s_or_b64 exec, exec, s[14:15]
.LBB0_64:                               ;   in Loop: Header=BB0_3 Depth=1
	s_or_b64 exec, exec, s[12:13]
.LBB0_65:                               ;   in Loop: Header=BB0_3 Depth=1
	s_or_b64 exec, exec, s[10:11]
	s_waitcnt lgkmcnt(0)
	global_load_dwordx2 v[36:37], v31, s[6:7] offset:40
	global_load_dwordx4 v[24:27], v31, s[6:7]
	v_readfirstlane_b32 s10, v8
	v_readfirstlane_b32 s11, v9
	s_mov_b64 s[12:13], exec
	s_waitcnt vmcnt(1)
	v_readfirstlane_b32 s14, v36
	v_readfirstlane_b32 s15, v37
	s_and_b64 s[14:15], s[10:11], s[14:15]
	s_mul_i32 s16, s15, 24
	s_mul_hi_u32 s17, s14, 24
	s_add_i32 s17, s17, s16
	s_mul_i32 s16, s14, 24
	s_waitcnt vmcnt(0)
	v_lshl_add_u64 v[36:37], v[24:25], 0, s[16:17]
	s_and_saveexec_b64 s[16:17], s[0:1]
	s_cbranch_execz .LBB0_67
; %bb.66:                               ;   in Loop: Header=BB0_3 Depth=1
	v_mov_b64_e32 v[8:9], s[12:13]
	global_store_dwordx4 v[36:37], v[8:11], off offset:8
.LBB0_67:                               ;   in Loop: Header=BB0_3 Depth=1
	s_or_b64 exec, exec, s[16:17]
	s_lshl_b64 s[12:13], s[14:15], 12
	v_lshl_add_u64 v[8:9], v[26:27], 0, s[12:13]
	v_or_b32_e32 v26, 0, v1
	v_cmp_lt_u64_e32 vcc, 56, v[4:5]
	v_or_b32_e32 v27, v0, v28
	v_lshlrev_b32_e32 v30, 6, v32
	v_cndmask_b32_e32 v1, v26, v1, vcc
	v_lshl_add_u32 v26, v34, 2, 28
	v_cndmask_b32_e32 v0, v27, v0, vcc
	v_and_b32_e32 v26, 0x1e0, v26
	v_and_or_b32 v0, v0, s19, v26
	v_readfirstlane_b32 s12, v8
	v_readfirstlane_b32 s13, v9
	s_nop 4
	global_store_dwordx4 v30, v[0:3], s[12:13]
	global_store_dwordx4 v30, v[12:15], s[12:13] offset:16
	global_store_dwordx4 v30, v[16:19], s[12:13] offset:32
	;; [unrolled: 1-line block ×3, first 2 shown]
	s_and_saveexec_b64 s[12:13], s[0:1]
	s_cbranch_execz .LBB0_75
; %bb.68:                               ;   in Loop: Header=BB0_3 Depth=1
	global_load_dwordx2 v[16:17], v31, s[6:7] offset:32 sc0 sc1
	global_load_dwordx2 v[0:1], v31, s[6:7] offset:40
	v_mov_b32_e32 v14, s10
	v_mov_b32_e32 v15, s11
	s_waitcnt vmcnt(0)
	v_readfirstlane_b32 s14, v0
	v_readfirstlane_b32 s15, v1
	s_and_b64 s[14:15], s[14:15], s[10:11]
	s_mul_i32 s15, s15, 24
	s_mul_hi_u32 s16, s14, 24
	s_mul_i32 s14, s14, 24
	s_add_i32 s15, s16, s15
	v_lshl_add_u64 v[12:13], v[24:25], 0, s[14:15]
	global_store_dwordx2 v[12:13], v[16:17], off
	buffer_wbl2 sc0 sc1
	s_waitcnt vmcnt(0)
	global_atomic_cmpswap_x2 v[2:3], v31, v[14:17], s[6:7] offset:32 sc0 sc1
	s_waitcnt vmcnt(0)
	v_cmp_ne_u64_e32 vcc, v[2:3], v[16:17]
	s_and_saveexec_b64 s[14:15], vcc
	s_cbranch_execz .LBB0_71
; %bb.69:                               ;   in Loop: Header=BB0_3 Depth=1
	s_mov_b64 s[16:17], 0
.LBB0_70:                               ;   Parent Loop BB0_3 Depth=1
                                        ; =>  This Inner Loop Header: Depth=2
	s_sleep 1
	global_store_dwordx2 v[12:13], v[2:3], off
	v_mov_b32_e32 v0, s10
	v_mov_b32_e32 v1, s11
	buffer_wbl2 sc0 sc1
	s_waitcnt vmcnt(0)
	global_atomic_cmpswap_x2 v[0:1], v31, v[0:3], s[6:7] offset:32 sc0 sc1
	s_waitcnt vmcnt(0)
	v_cmp_eq_u64_e32 vcc, v[0:1], v[2:3]
	s_or_b64 s[16:17], vcc, s[16:17]
	v_mov_b64_e32 v[2:3], v[0:1]
	s_andn2_b64 exec, exec, s[16:17]
	s_cbranch_execnz .LBB0_70
.LBB0_71:                               ;   in Loop: Header=BB0_3 Depth=1
	s_or_b64 exec, exec, s[14:15]
	global_load_dwordx2 v[0:1], v31, s[6:7] offset:16
	s_mov_b64 s[16:17], exec
	v_mbcnt_lo_u32_b32 v2, s16, 0
	v_mbcnt_hi_u32_b32 v2, s17, v2
	v_cmp_eq_u32_e32 vcc, 0, v2
	s_and_saveexec_b64 s[14:15], vcc
	s_cbranch_execz .LBB0_73
; %bb.72:                               ;   in Loop: Header=BB0_3 Depth=1
	s_bcnt1_i32_b64 s16, s[16:17]
	v_mov_b32_e32 v2, s16
	v_mov_b32_e32 v3, v31
	buffer_wbl2 sc0 sc1
	s_waitcnt vmcnt(0)
	global_atomic_add_x2 v[0:1], v[2:3], off offset:8 sc1
.LBB0_73:                               ;   in Loop: Header=BB0_3 Depth=1
	s_or_b64 exec, exec, s[14:15]
	s_waitcnt vmcnt(0)
	global_load_dwordx2 v[2:3], v[0:1], off offset:16
	s_waitcnt vmcnt(0)
	v_cmp_eq_u64_e32 vcc, 0, v[2:3]
	s_cbranch_vccnz .LBB0_75
; %bb.74:                               ;   in Loop: Header=BB0_3 Depth=1
	global_load_dword v0, v[0:1], off offset:24
	v_mov_b32_e32 v1, v31
	buffer_wbl2 sc0 sc1
	s_waitcnt vmcnt(0)
	global_store_dwordx2 v[2:3], v[0:1], off sc0 sc1
	v_and_b32_e32 v0, 0xffffff, v0
	s_nop 0
	v_readfirstlane_b32 m0, v0
	s_sendmsg sendmsg(MSG_INTERRUPT)
.LBB0_75:                               ;   in Loop: Header=BB0_3 Depth=1
	s_or_b64 exec, exec, s[12:13]
	v_lshl_add_u64 v[0:1], v[8:9], 0, v[30:31]
	s_branch .LBB0_79
.LBB0_76:                               ;   in Loop: Header=BB0_79 Depth=2
	s_or_b64 exec, exec, s[12:13]
	v_readfirstlane_b32 s12, v2
	s_cmp_eq_u32 s12, 0
	s_cbranch_scc1 .LBB0_78
; %bb.77:                               ;   in Loop: Header=BB0_79 Depth=2
	s_sleep 1
	s_cbranch_execnz .LBB0_79
	s_branch .LBB0_81
.LBB0_78:                               ;   in Loop: Header=BB0_3 Depth=1
	s_branch .LBB0_81
.LBB0_79:                               ;   Parent Loop BB0_3 Depth=1
                                        ; =>  This Inner Loop Header: Depth=2
	v_mov_b32_e32 v2, 1
	s_and_saveexec_b64 s[12:13], s[0:1]
	s_cbranch_execz .LBB0_76
; %bb.80:                               ;   in Loop: Header=BB0_79 Depth=2
	global_load_dword v2, v[36:37], off offset:20 sc0 sc1
	s_waitcnt vmcnt(0)
	buffer_inv sc0 sc1
	v_and_b32_e32 v2, 1, v2
	s_branch .LBB0_76
.LBB0_81:                               ;   in Loop: Header=BB0_3 Depth=1
	global_load_dwordx4 v[0:3], v[0:1], off
	s_and_saveexec_b64 s[12:13], s[0:1]
	s_cbranch_execz .LBB0_2
; %bb.82:                               ;   in Loop: Header=BB0_3 Depth=1
	global_load_dwordx2 v[2:3], v31, s[6:7] offset:40
	global_load_dwordx2 v[8:9], v31, s[6:7] offset:24 sc0 sc1
	global_load_dwordx2 v[16:17], v31, s[6:7]
	s_waitcnt vmcnt(2)
	v_lshl_add_u64 v[12:13], v[2:3], 0, 1
	v_lshl_add_u64 v[18:19], v[12:13], 0, s[10:11]
	v_cmp_eq_u64_e32 vcc, 0, v[18:19]
	s_waitcnt vmcnt(1)
	v_mov_b32_e32 v14, v8
	v_cndmask_b32_e32 v13, v19, v13, vcc
	v_cndmask_b32_e32 v12, v18, v12, vcc
	v_and_b32_e32 v3, v13, v3
	v_and_b32_e32 v2, v12, v2
	v_mul_lo_u32 v3, v3, 24
	v_mul_hi_u32 v15, v2, 24
	v_mul_lo_u32 v2, v2, 24
	v_add_u32_e32 v3, v15, v3
	s_waitcnt vmcnt(0)
	v_lshl_add_u64 v[2:3], v[16:17], 0, v[2:3]
	global_store_dwordx2 v[2:3], v[8:9], off
	v_mov_b32_e32 v15, v9
	buffer_wbl2 sc0 sc1
	s_waitcnt vmcnt(0)
	global_atomic_cmpswap_x2 v[14:15], v31, v[12:15], s[6:7] offset:24 sc0 sc1
	s_waitcnt vmcnt(0)
	v_cmp_ne_u64_e32 vcc, v[14:15], v[8:9]
	s_and_b64 exec, exec, vcc
	s_cbranch_execz .LBB0_2
; %bb.83:                               ;   in Loop: Header=BB0_3 Depth=1
	s_mov_b64 s[0:1], 0
.LBB0_84:                               ;   Parent Loop BB0_3 Depth=1
                                        ; =>  This Inner Loop Header: Depth=2
	s_sleep 1
	global_store_dwordx2 v[2:3], v[14:15], off
	buffer_wbl2 sc0 sc1
	s_waitcnt vmcnt(0)
	global_atomic_cmpswap_x2 v[8:9], v31, v[12:15], s[6:7] offset:24 sc0 sc1
	s_waitcnt vmcnt(0)
	v_cmp_eq_u64_e32 vcc, v[8:9], v[14:15]
	s_or_b64 s[0:1], vcc, s[0:1]
	v_mov_b64_e32 v[14:15], v[8:9]
	s_andn2_b64 exec, exec, s[0:1]
	s_cbranch_execnz .LBB0_84
	s_branch .LBB0_2
.LBB0_85:
	s_or_b64 exec, exec, s[2:3]
                                        ; implicit-def: $vgpr2
                                        ; implicit-def: $vgpr3
.LBB0_86:
	s_andn2_saveexec_b64 s[2:3], s[4:5]
	s_cbranch_execz .LBB0_109
; %bb.87:
	s_load_dwordx2 s[4:5], s[8:9], 0x50
	s_waitcnt vmcnt(0)
	v_mbcnt_hi_u32_b32 v3, -1, v3
	v_mov_b64_e32 v[8:9], 0
	v_readfirstlane_b32 s0, v3
	s_nop 1
	v_cmp_eq_u32_e64 s[0:1], s0, v3
	s_and_saveexec_b64 s[6:7], s[0:1]
	s_cbranch_execz .LBB0_93
; %bb.88:
	v_mov_b32_e32 v0, 0
	s_waitcnt lgkmcnt(0)
	global_load_dwordx2 v[6:7], v0, s[4:5] offset:24 sc0 sc1
	s_waitcnt vmcnt(0)
	buffer_inv sc0 sc1
	global_load_dwordx2 v[4:5], v0, s[4:5] offset:40
	global_load_dwordx2 v[8:9], v0, s[4:5]
	s_waitcnt vmcnt(1)
	v_and_b32_e32 v4, v4, v6
	v_and_b32_e32 v5, v5, v7
	v_mul_lo_u32 v5, v5, 24
	v_mul_hi_u32 v10, v4, 24
	v_add_u32_e32 v5, v10, v5
	v_mul_lo_u32 v4, v4, 24
	s_waitcnt vmcnt(0)
	v_lshl_add_u64 v[4:5], v[8:9], 0, v[4:5]
	global_load_dwordx2 v[4:5], v[4:5], off sc0 sc1
	s_waitcnt vmcnt(0)
	global_atomic_cmpswap_x2 v[8:9], v0, v[4:7], s[4:5] offset:24 sc0 sc1
	s_waitcnt vmcnt(0)
	buffer_inv sc0 sc1
	v_cmp_ne_u64_e32 vcc, v[8:9], v[6:7]
	s_and_saveexec_b64 s[8:9], vcc
	s_cbranch_execz .LBB0_92
; %bb.89:
	s_mov_b64 s[10:11], 0
.LBB0_90:                               ; =>This Inner Loop Header: Depth=1
	s_sleep 1
	global_load_dwordx2 v[4:5], v0, s[4:5] offset:40
	global_load_dwordx2 v[10:11], v0, s[4:5]
	v_mov_b64_e32 v[6:7], v[8:9]
	s_waitcnt vmcnt(1)
	v_and_b32_e32 v4, v4, v6
	v_and_b32_e32 v9, v5, v7
	s_waitcnt vmcnt(0)
	v_mad_u64_u32 v[4:5], s[12:13], v4, 24, v[10:11]
	v_mov_b32_e32 v8, v5
	v_mad_u64_u32 v[8:9], s[12:13], v9, 24, v[8:9]
	v_mov_b32_e32 v5, v8
	global_load_dwordx2 v[4:5], v[4:5], off sc0 sc1
	s_waitcnt vmcnt(0)
	global_atomic_cmpswap_x2 v[8:9], v0, v[4:7], s[4:5] offset:24 sc0 sc1
	s_waitcnt vmcnt(0)
	buffer_inv sc0 sc1
	v_cmp_eq_u64_e32 vcc, v[8:9], v[6:7]
	s_or_b64 s[10:11], vcc, s[10:11]
	s_andn2_b64 exec, exec, s[10:11]
	s_cbranch_execnz .LBB0_90
; %bb.91:
	s_or_b64 exec, exec, s[10:11]
.LBB0_92:
	s_or_b64 exec, exec, s[8:9]
.LBB0_93:
	s_or_b64 exec, exec, s[6:7]
	v_mov_b32_e32 v11, 0
	s_waitcnt lgkmcnt(0)
	global_load_dwordx2 v[12:13], v11, s[4:5] offset:40
	global_load_dwordx4 v[4:7], v11, s[4:5]
	v_readfirstlane_b32 s6, v8
	v_readfirstlane_b32 s7, v9
	s_mov_b64 s[8:9], exec
	s_waitcnt vmcnt(1)
	v_readfirstlane_b32 s10, v12
	v_readfirstlane_b32 s11, v13
	s_and_b64 s[10:11], s[6:7], s[10:11]
	s_mul_i32 s12, s11, 24
	s_mul_hi_u32 s13, s10, 24
	s_add_i32 s13, s13, s12
	s_mul_i32 s12, s10, 24
	s_waitcnt vmcnt(0)
	v_lshl_add_u64 v[8:9], v[4:5], 0, s[12:13]
	s_and_saveexec_b64 s[12:13], s[0:1]
	s_cbranch_execz .LBB0_95
; %bb.94:
	v_mov_b64_e32 v[12:13], s[8:9]
	v_mov_b32_e32 v14, 2
	v_mov_b32_e32 v15, 1
	global_store_dwordx4 v[8:9], v[12:15], off offset:8
.LBB0_95:
	s_or_b64 exec, exec, s[12:13]
	s_lshl_b64 s[8:9], s[10:11], 12
	v_lshl_add_u64 v[6:7], v[6:7], 0, s[8:9]
	s_movk_i32 s8, 0xff1f
	v_and_or_b32 v0, v2, s8, 32
	s_mov_b32 s8, 0
	v_lshlrev_b32_e32 v10, 6, v3
	v_mov_b32_e32 v2, v11
	v_mov_b32_e32 v3, v11
	v_readfirstlane_b32 s12, v6
	v_readfirstlane_b32 s13, v7
	s_mov_b32 s9, s8
	s_mov_b32 s10, s8
	;; [unrolled: 1-line block ×3, first 2 shown]
	s_nop 1
	global_store_dwordx4 v10, v[0:3], s[12:13]
	s_nop 1
	v_mov_b64_e32 v[0:1], s[8:9]
	v_mov_b64_e32 v[2:3], s[10:11]
	global_store_dwordx4 v10, v[0:3], s[12:13] offset:16
	global_store_dwordx4 v10, v[0:3], s[12:13] offset:32
	;; [unrolled: 1-line block ×3, first 2 shown]
	s_and_saveexec_b64 s[8:9], s[0:1]
	s_cbranch_execz .LBB0_103
; %bb.96:
	v_mov_b32_e32 v12, 0
	global_load_dwordx2 v[16:17], v12, s[4:5] offset:32 sc0 sc1
	global_load_dwordx2 v[0:1], v12, s[4:5] offset:40
	v_mov_b32_e32 v14, s6
	v_mov_b32_e32 v15, s7
	s_waitcnt vmcnt(0)
	v_and_b32_e32 v0, s6, v0
	v_and_b32_e32 v1, s7, v1
	v_mul_lo_u32 v1, v1, 24
	v_mul_hi_u32 v2, v0, 24
	v_mul_lo_u32 v0, v0, 24
	v_add_u32_e32 v1, v2, v1
	v_lshl_add_u64 v[4:5], v[4:5], 0, v[0:1]
	global_store_dwordx2 v[4:5], v[16:17], off
	buffer_wbl2 sc0 sc1
	s_waitcnt vmcnt(0)
	global_atomic_cmpswap_x2 v[2:3], v12, v[14:17], s[4:5] offset:32 sc0 sc1
	s_waitcnt vmcnt(0)
	v_cmp_ne_u64_e32 vcc, v[2:3], v[16:17]
	s_and_saveexec_b64 s[10:11], vcc
	s_cbranch_execz .LBB0_99
; %bb.97:
	s_mov_b64 s[12:13], 0
.LBB0_98:                               ; =>This Inner Loop Header: Depth=1
	s_sleep 1
	global_store_dwordx2 v[4:5], v[2:3], off
	v_mov_b32_e32 v0, s6
	v_mov_b32_e32 v1, s7
	buffer_wbl2 sc0 sc1
	s_waitcnt vmcnt(0)
	global_atomic_cmpswap_x2 v[0:1], v12, v[0:3], s[4:5] offset:32 sc0 sc1
	s_waitcnt vmcnt(0)
	v_cmp_eq_u64_e32 vcc, v[0:1], v[2:3]
	s_or_b64 s[12:13], vcc, s[12:13]
	v_mov_b64_e32 v[2:3], v[0:1]
	s_andn2_b64 exec, exec, s[12:13]
	s_cbranch_execnz .LBB0_98
.LBB0_99:
	s_or_b64 exec, exec, s[10:11]
	v_mov_b32_e32 v3, 0
	global_load_dwordx2 v[0:1], v3, s[4:5] offset:16
	s_mov_b64 s[10:11], exec
	v_mbcnt_lo_u32_b32 v2, s10, 0
	v_mbcnt_hi_u32_b32 v2, s11, v2
	v_cmp_eq_u32_e32 vcc, 0, v2
	s_and_saveexec_b64 s[12:13], vcc
	s_cbranch_execz .LBB0_101
; %bb.100:
	s_bcnt1_i32_b64 s10, s[10:11]
	v_mov_b32_e32 v2, s10
	buffer_wbl2 sc0 sc1
	s_waitcnt vmcnt(0)
	global_atomic_add_x2 v[0:1], v[2:3], off offset:8 sc1
.LBB0_101:
	s_or_b64 exec, exec, s[12:13]
	s_waitcnt vmcnt(0)
	global_load_dwordx2 v[2:3], v[0:1], off offset:16
	s_waitcnt vmcnt(0)
	v_cmp_eq_u64_e32 vcc, 0, v[2:3]
	s_cbranch_vccnz .LBB0_103
; %bb.102:
	global_load_dword v0, v[0:1], off offset:24
	v_mov_b32_e32 v1, 0
	buffer_wbl2 sc0 sc1
	s_waitcnt vmcnt(0)
	global_store_dwordx2 v[2:3], v[0:1], off sc0 sc1
	v_and_b32_e32 v0, 0xffffff, v0
	s_nop 0
	v_readfirstlane_b32 m0, v0
	s_sendmsg sendmsg(MSG_INTERRUPT)
.LBB0_103:
	s_or_b64 exec, exec, s[8:9]
	v_lshl_add_u64 v[0:1], v[6:7], 0, v[10:11]
	s_branch .LBB0_107
.LBB0_104:                              ;   in Loop: Header=BB0_107 Depth=1
	s_or_b64 exec, exec, s[8:9]
	v_readfirstlane_b32 s8, v2
	s_cmp_eq_u32 s8, 0
	s_cbranch_scc1 .LBB0_106
; %bb.105:                              ;   in Loop: Header=BB0_107 Depth=1
	s_sleep 1
	s_cbranch_execnz .LBB0_107
	s_branch .LBB0_110
.LBB0_106:
	s_branch .LBB0_110
.LBB0_107:                              ; =>This Inner Loop Header: Depth=1
	v_mov_b32_e32 v2, 1
	s_and_saveexec_b64 s[8:9], s[0:1]
	s_cbranch_execz .LBB0_104
; %bb.108:                              ;   in Loop: Header=BB0_107 Depth=1
	global_load_dword v2, v[8:9], off offset:20 sc0 sc1
	s_waitcnt vmcnt(0)
	buffer_inv sc0 sc1
	v_and_b32_e32 v2, 1, v2
	s_branch .LBB0_104
.LBB0_109:
	s_or_b64 exec, exec, s[2:3]
	s_waitcnt vmcnt(0) lgkmcnt(0)
	s_setpc_b64 s[30:31]
.LBB0_110:
	global_load_dwordx2 v[0:1], v[0:1], off
	s_and_saveexec_b64 s[8:9], s[0:1]
	s_cbranch_execz .LBB0_113
; %bb.111:
	v_mov_b32_e32 v8, 0
	global_load_dwordx2 v[6:7], v8, s[4:5] offset:40
	global_load_dwordx2 v[10:11], v8, s[4:5] offset:24 sc0 sc1
	global_load_dwordx2 v[12:13], v8, s[4:5]
	s_mov_b64 s[0:1], 0
	s_waitcnt vmcnt(2)
	v_lshl_add_u64 v[2:3], v[6:7], 0, 1
	v_lshl_add_u64 v[14:15], v[2:3], 0, s[6:7]
	v_cmp_eq_u64_e32 vcc, 0, v[14:15]
	s_waitcnt vmcnt(1)
	v_mov_b32_e32 v4, v10
	v_cndmask_b32_e32 v3, v15, v3, vcc
	v_cndmask_b32_e32 v2, v14, v2, vcc
	v_and_b32_e32 v5, v3, v7
	v_and_b32_e32 v6, v2, v6
	v_mul_lo_u32 v5, v5, 24
	v_mul_hi_u32 v7, v6, 24
	v_mul_lo_u32 v6, v6, 24
	v_add_u32_e32 v7, v7, v5
	s_waitcnt vmcnt(0)
	v_lshl_add_u64 v[6:7], v[12:13], 0, v[6:7]
	global_store_dwordx2 v[6:7], v[10:11], off
	v_mov_b32_e32 v5, v11
	buffer_wbl2 sc0 sc1
	s_waitcnt vmcnt(0)
	global_atomic_cmpswap_x2 v[4:5], v8, v[2:5], s[4:5] offset:24 sc0 sc1
	s_waitcnt vmcnt(0)
	v_cmp_ne_u64_e32 vcc, v[4:5], v[10:11]
	s_and_b64 exec, exec, vcc
	s_cbranch_execz .LBB0_113
.LBB0_112:                              ; =>This Inner Loop Header: Depth=1
	s_sleep 1
	global_store_dwordx2 v[6:7], v[4:5], off
	buffer_wbl2 sc0 sc1
	s_waitcnt vmcnt(0)
	global_atomic_cmpswap_x2 v[10:11], v8, v[2:5], s[4:5] offset:24 sc0 sc1
	s_waitcnt vmcnt(0)
	v_cmp_eq_u64_e32 vcc, v[10:11], v[4:5]
	s_or_b64 s[0:1], vcc, s[0:1]
	v_mov_b64_e32 v[4:5], v[10:11]
	s_andn2_b64 exec, exec, s[0:1]
	s_cbranch_execnz .LBB0_112
.LBB0_113:
	s_or_b64 exec, exec, s[8:9]
	s_or_b64 exec, exec, s[2:3]
	s_waitcnt vmcnt(0) lgkmcnt(0)
	s_setpc_b64 s[30:31]
.Lfunc_end0:
	.size	__ockl_printf_append_string_n, .Lfunc_end0-__ockl_printf_append_string_n
                                        ; -- End function
	.section	.AMDGPU.csdata,"",@progbits
; Function info:
; codeLenInByte = 4200
; NumSgprs: 38
; NumVgprs: 38
; NumAgprs: 0
; TotalNumVgprs: 38
; ScratchSize: 0
; MemoryBound: 0
	.text
	.p2align	2                               ; -- Begin function __ockl_printf_append_args
	.type	__ockl_printf_append_args,@function
__ockl_printf_append_args:              ; @__ockl_printf_append_args
; %bb.0:
	s_waitcnt vmcnt(0) expcnt(0) lgkmcnt(0)
	s_load_dwordx2 s[2:3], s[8:9], 0x50
	v_mbcnt_lo_u32_b32 v5, -1, 0
	v_mbcnt_hi_u32_b32 v5, -1, v5
	v_mov_b64_e32 v[10:11], 0
	v_readfirstlane_b32 s0, v5
	s_nop 1
	v_cmp_eq_u32_e64 s[0:1], s0, v5
	s_and_saveexec_b64 s[4:5], s[0:1]
	s_cbranch_execz .LBB1_6
; %bb.1:
	v_mov_b32_e32 v6, 0
	s_waitcnt lgkmcnt(0)
	global_load_dwordx2 v[12:13], v6, s[2:3] offset:24 sc0 sc1
	s_waitcnt vmcnt(0)
	buffer_inv sc0 sc1
	global_load_dwordx2 v[8:9], v6, s[2:3] offset:40
	global_load_dwordx2 v[10:11], v6, s[2:3]
	s_waitcnt vmcnt(1)
	v_and_b32_e32 v7, v8, v12
	v_and_b32_e32 v8, v9, v13
	v_mul_lo_u32 v8, v8, 24
	v_mul_hi_u32 v9, v7, 24
	v_add_u32_e32 v9, v9, v8
	v_mul_lo_u32 v8, v7, 24
	s_waitcnt vmcnt(0)
	v_lshl_add_u64 v[8:9], v[10:11], 0, v[8:9]
	global_load_dwordx2 v[10:11], v[8:9], off sc0 sc1
	s_waitcnt vmcnt(0)
	global_atomic_cmpswap_x2 v[10:11], v6, v[10:13], s[2:3] offset:24 sc0 sc1
	s_waitcnt vmcnt(0)
	buffer_inv sc0 sc1
	v_cmp_ne_u64_e32 vcc, v[10:11], v[12:13]
	s_and_saveexec_b64 s[6:7], vcc
	s_cbranch_execz .LBB1_5
; %bb.2:
	s_mov_b64 s[8:9], 0
.LBB1_3:                                ; =>This Inner Loop Header: Depth=1
	s_sleep 1
	global_load_dwordx2 v[8:9], v6, s[2:3] offset:40
	global_load_dwordx2 v[14:15], v6, s[2:3]
	v_mov_b64_e32 v[12:13], v[10:11]
	s_waitcnt vmcnt(1)
	v_and_b32_e32 v8, v8, v12
	v_and_b32_e32 v7, v9, v13
	s_waitcnt vmcnt(0)
	v_mad_u64_u32 v[8:9], s[10:11], v8, 24, v[14:15]
	v_mov_b32_e32 v10, v9
	v_mad_u64_u32 v[10:11], s[10:11], v7, 24, v[10:11]
	v_mov_b32_e32 v9, v10
	global_load_dwordx2 v[10:11], v[8:9], off sc0 sc1
	s_waitcnt vmcnt(0)
	global_atomic_cmpswap_x2 v[10:11], v6, v[10:13], s[2:3] offset:24 sc0 sc1
	s_waitcnt vmcnt(0)
	buffer_inv sc0 sc1
	v_cmp_eq_u64_e32 vcc, v[10:11], v[12:13]
	s_or_b64 s[8:9], vcc, s[8:9]
	s_andn2_b64 exec, exec, s[8:9]
	s_cbranch_execnz .LBB1_3
; %bb.4:
	s_or_b64 exec, exec, s[8:9]
.LBB1_5:
	s_or_b64 exec, exec, s[6:7]
.LBB1_6:
	s_or_b64 exec, exec, s[4:5]
	v_mov_b32_e32 v14, 0
	s_waitcnt lgkmcnt(0)
	global_load_dwordx2 v[12:13], v14, s[2:3] offset:40
	global_load_dwordx4 v[6:9], v14, s[2:3]
	v_readfirstlane_b32 s4, v10
	v_readfirstlane_b32 s5, v11
	s_mov_b64 s[6:7], exec
	s_waitcnt vmcnt(1)
	v_readfirstlane_b32 s8, v12
	v_readfirstlane_b32 s9, v13
	s_and_b64 s[8:9], s[4:5], s[8:9]
	s_mul_i32 s10, s9, 24
	s_mul_hi_u32 s11, s8, 24
	s_add_i32 s11, s11, s10
	s_mul_i32 s10, s8, 24
	s_waitcnt vmcnt(0)
	v_lshl_add_u64 v[10:11], v[6:7], 0, s[10:11]
	s_and_saveexec_b64 s[10:11], s[0:1]
	s_cbranch_execz .LBB1_8
; %bb.7:
	v_mov_b64_e32 v[12:13], s[6:7]
	v_mov_b32_e32 v14, 2
	v_mov_b32_e32 v15, 1
	global_store_dwordx4 v[10:11], v[12:15], off offset:8
.LBB1_8:
	s_or_b64 exec, exec, s[10:11]
	s_lshl_b64 s[6:7], s[8:9], 12
	v_or_b32_e32 v12, 2, v0
	v_cmp_eq_u32_e32 vcc, 0, v4
	v_lshl_add_u64 v[8:9], v[8:9], 0, s[6:7]
	s_mov_b32 s8, 0
	v_cndmask_b32_e32 v0, v12, v0, vcc
	s_movk_i32 s6, 0xff1f
	v_and_or_b32 v0, v0, s6, 32
	v_lshlrev_b32_e32 v4, 6, v5
	v_readfirstlane_b32 s6, v8
	v_readfirstlane_b32 s7, v9
	s_mov_b32 s9, s8
	s_mov_b32 s10, s8
	;; [unrolled: 1-line block ×3, first 2 shown]
	s_nop 1
	global_store_dwordx4 v4, v[0:3], s[6:7]
	s_nop 1
	v_mov_b64_e32 v[0:1], s[8:9]
	v_mov_b64_e32 v[2:3], s[10:11]
	global_store_dwordx4 v4, v[0:3], s[6:7] offset:16
	global_store_dwordx4 v4, v[0:3], s[6:7] offset:32
	global_store_dwordx4 v4, v[0:3], s[6:7] offset:48
	s_and_saveexec_b64 s[6:7], s[0:1]
	s_cbranch_execz .LBB1_16
; %bb.9:
	v_mov_b32_e32 v8, 0
	global_load_dwordx2 v[14:15], v8, s[2:3] offset:32 sc0 sc1
	global_load_dwordx2 v[0:1], v8, s[2:3] offset:40
	v_mov_b32_e32 v12, s4
	v_mov_b32_e32 v13, s5
	s_waitcnt vmcnt(0)
	v_and_b32_e32 v0, s4, v0
	v_and_b32_e32 v1, s5, v1
	v_mul_lo_u32 v1, v1, 24
	v_mul_hi_u32 v2, v0, 24
	v_mul_lo_u32 v0, v0, 24
	v_add_u32_e32 v1, v2, v1
	v_lshl_add_u64 v[4:5], v[6:7], 0, v[0:1]
	global_store_dwordx2 v[4:5], v[14:15], off
	buffer_wbl2 sc0 sc1
	s_waitcnt vmcnt(0)
	global_atomic_cmpswap_x2 v[2:3], v8, v[12:15], s[2:3] offset:32 sc0 sc1
	s_waitcnt vmcnt(0)
	v_cmp_ne_u64_e32 vcc, v[2:3], v[14:15]
	s_and_saveexec_b64 s[8:9], vcc
	s_cbranch_execz .LBB1_12
; %bb.10:
	s_mov_b64 s[10:11], 0
.LBB1_11:                               ; =>This Inner Loop Header: Depth=1
	s_sleep 1
	global_store_dwordx2 v[4:5], v[2:3], off
	v_mov_b32_e32 v0, s4
	v_mov_b32_e32 v1, s5
	buffer_wbl2 sc0 sc1
	s_waitcnt vmcnt(0)
	global_atomic_cmpswap_x2 v[0:1], v8, v[0:3], s[2:3] offset:32 sc0 sc1
	s_waitcnt vmcnt(0)
	v_cmp_eq_u64_e32 vcc, v[0:1], v[2:3]
	s_or_b64 s[10:11], vcc, s[10:11]
	v_mov_b64_e32 v[2:3], v[0:1]
	s_andn2_b64 exec, exec, s[10:11]
	s_cbranch_execnz .LBB1_11
.LBB1_12:
	s_or_b64 exec, exec, s[8:9]
	v_mov_b32_e32 v3, 0
	global_load_dwordx2 v[0:1], v3, s[2:3] offset:16
	s_mov_b64 s[8:9], exec
	v_mbcnt_lo_u32_b32 v2, s8, 0
	v_mbcnt_hi_u32_b32 v2, s9, v2
	v_cmp_eq_u32_e32 vcc, 0, v2
	s_and_saveexec_b64 s[10:11], vcc
	s_cbranch_execz .LBB1_14
; %bb.13:
	s_bcnt1_i32_b64 s8, s[8:9]
	v_mov_b32_e32 v2, s8
	buffer_wbl2 sc0 sc1
	s_waitcnt vmcnt(0)
	global_atomic_add_x2 v[0:1], v[2:3], off offset:8 sc1
.LBB1_14:
	s_or_b64 exec, exec, s[10:11]
	s_waitcnt vmcnt(0)
	global_load_dwordx2 v[2:3], v[0:1], off offset:16
	s_waitcnt vmcnt(0)
	v_cmp_eq_u64_e32 vcc, 0, v[2:3]
	s_cbranch_vccnz .LBB1_16
; %bb.15:
	global_load_dword v0, v[0:1], off offset:24
	v_mov_b32_e32 v1, 0
	buffer_wbl2 sc0 sc1
	s_waitcnt vmcnt(0)
	global_store_dwordx2 v[2:3], v[0:1], off sc0 sc1
	v_and_b32_e32 v0, 0xffffff, v0
	s_nop 0
	v_readfirstlane_b32 m0, v0
	s_sendmsg sendmsg(MSG_INTERRUPT)
.LBB1_16:
	s_or_b64 exec, exec, s[6:7]
	s_branch .LBB1_20
.LBB1_17:                               ;   in Loop: Header=BB1_20 Depth=1
	s_or_b64 exec, exec, s[6:7]
	v_readfirstlane_b32 s6, v0
	s_cmp_eq_u32 s6, 0
	s_cbranch_scc1 .LBB1_19
; %bb.18:                               ;   in Loop: Header=BB1_20 Depth=1
	s_sleep 1
	s_cbranch_execnz .LBB1_20
	s_branch .LBB1_22
.LBB1_19:
	s_branch .LBB1_22
.LBB1_20:                               ; =>This Inner Loop Header: Depth=1
	v_mov_b32_e32 v0, 1
	s_and_saveexec_b64 s[6:7], s[0:1]
	s_cbranch_execz .LBB1_17
; %bb.21:                               ;   in Loop: Header=BB1_20 Depth=1
	global_load_dword v0, v[10:11], off offset:20 sc0 sc1
	s_waitcnt vmcnt(0)
	buffer_inv sc0 sc1
	v_and_b32_e32 v0, 1, v0
	s_branch .LBB1_17
.LBB1_22:
	s_and_saveexec_b64 s[6:7], s[0:1]
	s_cbranch_execz .LBB1_25
; %bb.23:
	v_mov_b32_e32 v6, 0
	global_load_dwordx2 v[4:5], v6, s[2:3] offset:40
	global_load_dwordx2 v[8:9], v6, s[2:3] offset:24 sc0 sc1
	global_load_dwordx2 v[10:11], v6, s[2:3]
	s_mov_b64 s[0:1], 0
	s_waitcnt vmcnt(2)
	v_lshl_add_u64 v[0:1], v[4:5], 0, 1
	v_lshl_add_u64 v[12:13], v[0:1], 0, s[4:5]
	v_cmp_eq_u64_e32 vcc, 0, v[12:13]
	s_waitcnt vmcnt(1)
	v_mov_b32_e32 v2, v8
	v_cndmask_b32_e32 v1, v13, v1, vcc
	v_cndmask_b32_e32 v0, v12, v0, vcc
	v_and_b32_e32 v3, v1, v5
	v_and_b32_e32 v4, v0, v4
	v_mul_lo_u32 v3, v3, 24
	v_mul_hi_u32 v5, v4, 24
	v_mul_lo_u32 v4, v4, 24
	v_add_u32_e32 v5, v5, v3
	s_waitcnt vmcnt(0)
	v_lshl_add_u64 v[4:5], v[10:11], 0, v[4:5]
	global_store_dwordx2 v[4:5], v[8:9], off
	v_mov_b32_e32 v3, v9
	buffer_wbl2 sc0 sc1
	s_waitcnt vmcnt(0)
	global_atomic_cmpswap_x2 v[2:3], v6, v[0:3], s[2:3] offset:24 sc0 sc1
	s_waitcnt vmcnt(0)
	v_cmp_ne_u64_e32 vcc, v[2:3], v[8:9]
	s_and_b64 exec, exec, vcc
	s_cbranch_execz .LBB1_25
.LBB1_24:                               ; =>This Inner Loop Header: Depth=1
	s_sleep 1
	global_store_dwordx2 v[4:5], v[2:3], off
	buffer_wbl2 sc0 sc1
	s_waitcnt vmcnt(0)
	global_atomic_cmpswap_x2 v[8:9], v6, v[0:3], s[2:3] offset:24 sc0 sc1
	s_waitcnt vmcnt(0)
	v_cmp_eq_u64_e32 vcc, v[8:9], v[2:3]
	s_or_b64 s[0:1], vcc, s[0:1]
	v_mov_b64_e32 v[2:3], v[8:9]
	s_andn2_b64 exec, exec, s[0:1]
	s_cbranch_execnz .LBB1_24
.LBB1_25:
	s_or_b64 exec, exec, s[6:7]
	s_waitcnt vmcnt(0) lgkmcnt(0)
	s_setpc_b64 s[30:31]
.Lfunc_end1:
	.size	__ockl_printf_append_args, .Lfunc_end1-__ockl_printf_append_args
                                        ; -- End function
	.section	.AMDGPU.csdata,"",@progbits
; Function info:
; codeLenInByte = 1224
; NumSgprs: 38
; NumVgprs: 16
; NumAgprs: 0
; TotalNumVgprs: 16
; ScratchSize: 0
; MemoryBound: 0
	.text
	.p2align	2                               ; -- Begin function _ZL14no_device_codePKciS0_iS0_
	.type	_ZL14no_device_codePKciS0_iS0_,@function
_ZL14no_device_codePKciS0_iS0_:         ; @_ZL14no_device_codePKciS0_iS0_
; %bb.0:
	s_waitcnt vmcnt(0) expcnt(0) lgkmcnt(0)
	s_mov_b32 s22, s33
	s_mov_b32 s33, s32
	s_or_saveexec_b64 s[0:1], -1
	scratch_store_dword off, v40, s33       ; 4-byte Folded Spill
	s_mov_b64 exec, s[0:1]
	v_writelane_b32 v40, s30, 0
	s_add_i32 s32, s32, 16
	s_nop 0
	v_writelane_b32 v40, s31, 1
	s_load_dwordx2 s[2:3], s[8:9], 0x50
	v_mov_b32_e32 v3, v2
	v_mov_b32_e32 v2, v1
	v_mbcnt_lo_u32_b32 v1, -1, 0
	v_mbcnt_hi_u32_b32 v1, -1, v1
	v_mov_b64_e32 v[8:9], 0
	v_readfirstlane_b32 s0, v1
	s_nop 1
	v_cmp_eq_u32_e64 s[0:1], s0, v1
	s_and_saveexec_b64 s[4:5], s[0:1]
	s_cbranch_execz .LBB2_6
; %bb.1:
	v_mov_b32_e32 v4, 0
	s_waitcnt lgkmcnt(0)
	global_load_dwordx2 v[10:11], v4, s[2:3] offset:24 sc0 sc1
	s_waitcnt vmcnt(0)
	buffer_inv sc0 sc1
	global_load_dwordx2 v[6:7], v4, s[2:3] offset:40
	global_load_dwordx2 v[8:9], v4, s[2:3]
	s_waitcnt vmcnt(1)
	v_and_b32_e32 v5, v6, v10
	v_and_b32_e32 v6, v7, v11
	v_mul_lo_u32 v6, v6, 24
	v_mul_hi_u32 v7, v5, 24
	v_add_u32_e32 v7, v7, v6
	v_mul_lo_u32 v6, v5, 24
	s_waitcnt vmcnt(0)
	v_lshl_add_u64 v[6:7], v[8:9], 0, v[6:7]
	global_load_dwordx2 v[8:9], v[6:7], off sc0 sc1
	s_waitcnt vmcnt(0)
	global_atomic_cmpswap_x2 v[8:9], v4, v[8:11], s[2:3] offset:24 sc0 sc1
	s_waitcnt vmcnt(0)
	buffer_inv sc0 sc1
	v_cmp_ne_u64_e32 vcc, v[8:9], v[10:11]
	s_and_saveexec_b64 s[6:7], vcc
	s_cbranch_execz .LBB2_5
; %bb.2:
	s_mov_b64 s[10:11], 0
.LBB2_3:                                ; =>This Inner Loop Header: Depth=1
	s_sleep 1
	global_load_dwordx2 v[6:7], v4, s[2:3] offset:40
	global_load_dwordx2 v[12:13], v4, s[2:3]
	v_mov_b64_e32 v[10:11], v[8:9]
	s_waitcnt vmcnt(1)
	v_and_b32_e32 v6, v6, v10
	v_and_b32_e32 v5, v7, v11
	s_waitcnt vmcnt(0)
	v_mad_u64_u32 v[6:7], s[12:13], v6, 24, v[12:13]
	v_mov_b32_e32 v8, v7
	v_mad_u64_u32 v[8:9], s[12:13], v5, 24, v[8:9]
	v_mov_b32_e32 v7, v8
	global_load_dwordx2 v[8:9], v[6:7], off sc0 sc1
	s_waitcnt vmcnt(0)
	global_atomic_cmpswap_x2 v[8:9], v4, v[8:11], s[2:3] offset:24 sc0 sc1
	s_waitcnt vmcnt(0)
	buffer_inv sc0 sc1
	v_cmp_eq_u64_e32 vcc, v[8:9], v[10:11]
	s_or_b64 s[10:11], vcc, s[10:11]
	s_andn2_b64 exec, exec, s[10:11]
	s_cbranch_execnz .LBB2_3
; %bb.4:
	s_or_b64 exec, exec, s[10:11]
.LBB2_5:
	s_or_b64 exec, exec, s[6:7]
.LBB2_6:
	s_or_b64 exec, exec, s[4:5]
	v_mov_b32_e32 v33, 0
	s_waitcnt lgkmcnt(0)
	global_load_dwordx2 v[10:11], v33, s[2:3] offset:40
	global_load_dwordx4 v[4:7], v33, s[2:3]
	v_readfirstlane_b32 s4, v8
	v_readfirstlane_b32 s5, v9
	s_mov_b64 s[6:7], exec
	s_waitcnt vmcnt(1)
	v_readfirstlane_b32 s10, v10
	v_readfirstlane_b32 s11, v11
	s_and_b64 s[10:11], s[4:5], s[10:11]
	s_mul_i32 s12, s11, 24
	s_mul_hi_u32 s13, s10, 24
	s_add_i32 s13, s13, s12
	s_mul_i32 s12, s10, 24
	s_waitcnt vmcnt(0)
	v_lshl_add_u64 v[8:9], v[4:5], 0, s[12:13]
	s_and_saveexec_b64 s[12:13], s[0:1]
	s_cbranch_execz .LBB2_8
; %bb.7:
	v_mov_b64_e32 v[10:11], s[6:7]
	v_mov_b32_e32 v12, 2
	v_mov_b32_e32 v13, 1
	global_store_dwordx4 v[8:9], v[10:13], off offset:8
.LBB2_8:
	s_or_b64 exec, exec, s[12:13]
	s_lshl_b64 s[6:7], s[10:11], 12
	v_lshl_add_u64 v[10:11], v[6:7], 0, s[6:7]
	s_mov_b32 s12, 0
	v_lshlrev_b32_e32 v32, 6, v1
	v_mov_b32_e32 v12, 33
	v_mov_b32_e32 v13, v33
	;; [unrolled: 1-line block ×4, first 2 shown]
	v_readfirstlane_b32 s6, v10
	v_readfirstlane_b32 s7, v11
	s_mov_b32 s13, s12
	s_mov_b32 s14, s12
	s_mov_b32 s15, s12
	s_nop 1
	global_store_dwordx4 v32, v[12:15], s[6:7]
	s_nop 1
	v_mov_b64_e32 v[12:13], s[12:13]
	v_mov_b64_e32 v[14:15], s[14:15]
	global_store_dwordx4 v32, v[12:15], s[6:7] offset:16
	global_store_dwordx4 v32, v[12:15], s[6:7] offset:32
	;; [unrolled: 1-line block ×3, first 2 shown]
	s_and_saveexec_b64 s[6:7], s[0:1]
	s_cbranch_execz .LBB2_16
; %bb.9:
	v_mov_b32_e32 v14, 0
	global_load_dwordx2 v[18:19], v14, s[2:3] offset:32 sc0 sc1
	global_load_dwordx2 v[6:7], v14, s[2:3] offset:40
	v_mov_b32_e32 v16, s4
	v_mov_b32_e32 v17, s5
	s_waitcnt vmcnt(0)
	v_and_b32_e32 v6, s4, v6
	v_and_b32_e32 v7, s5, v7
	v_mul_lo_u32 v7, v7, 24
	v_mul_hi_u32 v12, v6, 24
	v_mul_lo_u32 v6, v6, 24
	v_add_u32_e32 v7, v12, v7
	v_lshl_add_u64 v[12:13], v[4:5], 0, v[6:7]
	global_store_dwordx2 v[12:13], v[18:19], off
	buffer_wbl2 sc0 sc1
	s_waitcnt vmcnt(0)
	global_atomic_cmpswap_x2 v[6:7], v14, v[16:19], s[2:3] offset:32 sc0 sc1
	s_waitcnt vmcnt(0)
	v_cmp_ne_u64_e32 vcc, v[6:7], v[18:19]
	s_and_saveexec_b64 s[10:11], vcc
	s_cbranch_execz .LBB2_12
; %bb.10:
	s_mov_b64 s[12:13], 0
.LBB2_11:                               ; =>This Inner Loop Header: Depth=1
	s_sleep 1
	global_store_dwordx2 v[12:13], v[6:7], off
	v_mov_b32_e32 v4, s4
	v_mov_b32_e32 v5, s5
	buffer_wbl2 sc0 sc1
	s_waitcnt vmcnt(0)
	global_atomic_cmpswap_x2 v[4:5], v14, v[4:7], s[2:3] offset:32 sc0 sc1
	s_waitcnt vmcnt(0)
	v_cmp_eq_u64_e32 vcc, v[4:5], v[6:7]
	s_or_b64 s[12:13], vcc, s[12:13]
	v_mov_b64_e32 v[6:7], v[4:5]
	s_andn2_b64 exec, exec, s[12:13]
	s_cbranch_execnz .LBB2_11
.LBB2_12:
	s_or_b64 exec, exec, s[10:11]
	v_mov_b32_e32 v7, 0
	global_load_dwordx2 v[4:5], v7, s[2:3] offset:16
	s_mov_b64 s[10:11], exec
	v_mbcnt_lo_u32_b32 v6, s10, 0
	v_mbcnt_hi_u32_b32 v6, s11, v6
	v_cmp_eq_u32_e32 vcc, 0, v6
	s_and_saveexec_b64 s[12:13], vcc
	s_cbranch_execz .LBB2_14
; %bb.13:
	s_bcnt1_i32_b64 s10, s[10:11]
	v_mov_b32_e32 v6, s10
	buffer_wbl2 sc0 sc1
	s_waitcnt vmcnt(0)
	global_atomic_add_x2 v[4:5], v[6:7], off offset:8 sc1
.LBB2_14:
	s_or_b64 exec, exec, s[12:13]
	s_waitcnt vmcnt(0)
	global_load_dwordx2 v[6:7], v[4:5], off offset:16
	s_waitcnt vmcnt(0)
	v_cmp_eq_u64_e32 vcc, 0, v[6:7]
	s_cbranch_vccnz .LBB2_16
; %bb.15:
	global_load_dword v4, v[4:5], off offset:24
	v_mov_b32_e32 v5, 0
	buffer_wbl2 sc0 sc1
	s_waitcnt vmcnt(0)
	global_store_dwordx2 v[6:7], v[4:5], off sc0 sc1
	v_and_b32_e32 v4, 0xffffff, v4
	s_nop 0
	v_readfirstlane_b32 m0, v4
	s_sendmsg sendmsg(MSG_INTERRUPT)
.LBB2_16:
	s_or_b64 exec, exec, s[6:7]
	v_lshl_add_u64 v[4:5], v[10:11], 0, v[32:33]
	s_branch .LBB2_20
.LBB2_17:                               ;   in Loop: Header=BB2_20 Depth=1
	s_or_b64 exec, exec, s[6:7]
	v_readfirstlane_b32 s6, v6
	s_cmp_eq_u32 s6, 0
	s_cbranch_scc1 .LBB2_19
; %bb.18:                               ;   in Loop: Header=BB2_20 Depth=1
	s_sleep 1
	s_cbranch_execnz .LBB2_20
	s_branch .LBB2_22
.LBB2_19:
	s_branch .LBB2_22
.LBB2_20:                               ; =>This Inner Loop Header: Depth=1
	v_mov_b32_e32 v6, 1
	s_and_saveexec_b64 s[6:7], s[0:1]
	s_cbranch_execz .LBB2_17
; %bb.21:                               ;   in Loop: Header=BB2_20 Depth=1
	global_load_dword v6, v[8:9], off offset:20 sc0 sc1
	s_waitcnt vmcnt(0)
	buffer_inv sc0 sc1
	v_and_b32_e32 v6, 1, v6
	s_branch .LBB2_17
.LBB2_22:
	global_load_dwordx2 v[8:9], v[4:5], off
	s_and_saveexec_b64 s[6:7], s[0:1]
	s_cbranch_execz .LBB2_25
; %bb.23:
	v_mov_b32_e32 v12, 0
	global_load_dwordx2 v[10:11], v12, s[2:3] offset:40
	global_load_dwordx2 v[14:15], v12, s[2:3] offset:24 sc0 sc1
	global_load_dwordx2 v[16:17], v12, s[2:3]
	s_mov_b64 s[0:1], 0
	s_waitcnt vmcnt(2)
	v_lshl_add_u64 v[4:5], v[10:11], 0, 1
	v_lshl_add_u64 v[18:19], v[4:5], 0, s[4:5]
	v_cmp_eq_u64_e32 vcc, 0, v[18:19]
	s_waitcnt vmcnt(1)
	v_mov_b32_e32 v6, v14
	v_cndmask_b32_e32 v5, v19, v5, vcc
	v_cndmask_b32_e32 v4, v18, v4, vcc
	v_and_b32_e32 v7, v5, v11
	v_and_b32_e32 v10, v4, v10
	v_mul_lo_u32 v7, v7, 24
	v_mul_hi_u32 v11, v10, 24
	v_mul_lo_u32 v10, v10, 24
	v_add_u32_e32 v11, v11, v7
	s_waitcnt vmcnt(0)
	v_lshl_add_u64 v[10:11], v[16:17], 0, v[10:11]
	global_store_dwordx2 v[10:11], v[14:15], off
	v_mov_b32_e32 v7, v15
	buffer_wbl2 sc0 sc1
	s_waitcnt vmcnt(0)
	global_atomic_cmpswap_x2 v[6:7], v12, v[4:7], s[2:3] offset:24 sc0 sc1
	s_waitcnt vmcnt(0)
	v_cmp_ne_u64_e32 vcc, v[6:7], v[14:15]
	s_and_b64 exec, exec, vcc
	s_cbranch_execz .LBB2_25
.LBB2_24:                               ; =>This Inner Loop Header: Depth=1
	s_sleep 1
	global_store_dwordx2 v[10:11], v[6:7], off
	buffer_wbl2 sc0 sc1
	s_waitcnt vmcnt(0)
	global_atomic_cmpswap_x2 v[14:15], v12, v[4:7], s[2:3] offset:24 sc0 sc1
	s_waitcnt vmcnt(0)
	v_cmp_eq_u64_e32 vcc, v[14:15], v[6:7]
	s_or_b64 s[0:1], vcc, s[0:1]
	v_mov_b64_e32 v[6:7], v[14:15]
	s_andn2_b64 exec, exec, s[0:1]
	s_cbranch_execnz .LBB2_24
.LBB2_25:
	s_or_b64 exec, exec, s[6:7]
	s_getpc_b64 s[4:5]
	s_add_u32 s4, s4, .str.2@rel32@lo+4
	s_addc_u32 s5, s5, .str.2@rel32@hi+12
	s_cmp_lg_u64 s[4:5], 0
	s_cbranch_scc0 .LBB2_109
; %bb.26:
	s_waitcnt vmcnt(0)
	v_and_b32_e32 v30, 2, v8
	v_mov_b32_e32 v35, 0
	v_and_b32_e32 v4, -3, v8
	v_mov_b32_e32 v5, v9
	s_mov_b64 s[6:7], 0x4d
	v_mov_b32_e32 v12, 2
	v_mov_b32_e32 v13, 1
	s_branch .LBB2_28
.LBB2_27:                               ;   in Loop: Header=BB2_28 Depth=1
	s_or_b64 exec, exec, s[14:15]
	s_sub_u32 s6, s6, s10
	s_subb_u32 s7, s7, s11
	s_add_u32 s4, s4, s10
	s_addc_u32 s5, s5, s11
	s_cmp_lg_u64 s[6:7], 0
	s_cbranch_scc0 .LBB2_110
.LBB2_28:                               ; =>This Loop Header: Depth=1
                                        ;     Child Loop BB2_31 Depth 2
                                        ;     Child Loop BB2_38 Depth 2
	;; [unrolled: 1-line block ×11, first 2 shown]
	v_cmp_lt_u64_e64 s[0:1], s[6:7], 56
	s_and_b64 s[0:1], s[0:1], exec
	v_cmp_gt_u64_e64 s[0:1], s[6:7], 7
	s_cselect_b32 s11, s7, 0
	s_cselect_b32 s10, s6, 56
	s_and_b64 vcc, exec, s[0:1]
	s_cbranch_vccnz .LBB2_33
; %bb.29:                               ;   in Loop: Header=BB2_28 Depth=1
	s_mov_b64 s[0:1], 0
	s_cmp_eq_u64 s[6:7], 0
	s_waitcnt vmcnt(0)
	v_mov_b64_e32 v[6:7], 0
	s_cbranch_scc1 .LBB2_32
; %bb.30:                               ;   in Loop: Header=BB2_28 Depth=1
	s_lshl_b64 s[12:13], s[10:11], 3
	s_mov_b64 s[14:15], 0
	v_mov_b64_e32 v[6:7], 0
	s_mov_b64 s[16:17], s[4:5]
.LBB2_31:                               ;   Parent Loop BB2_28 Depth=1
                                        ; =>  This Inner Loop Header: Depth=2
	global_load_ubyte v10, v35, s[16:17]
	s_waitcnt vmcnt(0)
	v_and_b32_e32 v34, 0xffff, v10
	v_lshlrev_b64 v[10:11], s14, v[34:35]
	s_add_u32 s14, s14, 8
	s_addc_u32 s15, s15, 0
	s_add_u32 s16, s16, 1
	s_addc_u32 s17, s17, 0
	v_or_b32_e32 v6, v10, v6
	s_cmp_lg_u32 s12, s14
	v_or_b32_e32 v7, v11, v7
	s_cbranch_scc1 .LBB2_31
.LBB2_32:                               ;   in Loop: Header=BB2_28 Depth=1
	s_mov_b32 s16, 0
	s_andn2_b64 vcc, exec, s[0:1]
	s_mov_b64 s[0:1], s[4:5]
	s_cbranch_vccz .LBB2_34
	s_branch .LBB2_35
.LBB2_33:                               ;   in Loop: Header=BB2_28 Depth=1
                                        ; implicit-def: $vgpr6_vgpr7
                                        ; implicit-def: $sgpr16
	s_mov_b64 s[0:1], s[4:5]
.LBB2_34:                               ;   in Loop: Header=BB2_28 Depth=1
	global_load_dwordx2 v[6:7], v35, s[4:5]
	s_add_i32 s16, s10, -8
	s_add_u32 s0, s4, 8
	s_addc_u32 s1, s5, 0
.LBB2_35:                               ;   in Loop: Header=BB2_28 Depth=1
	s_cmp_gt_u32 s16, 7
	s_cbranch_scc1 .LBB2_39
; %bb.36:                               ;   in Loop: Header=BB2_28 Depth=1
	s_cmp_eq_u32 s16, 0
	s_cbranch_scc1 .LBB2_40
; %bb.37:                               ;   in Loop: Header=BB2_28 Depth=1
	s_mov_b64 s[12:13], 0
	v_mov_b64_e32 v[14:15], 0
	s_mov_b64 s[14:15], 0
.LBB2_38:                               ;   Parent Loop BB2_28 Depth=1
                                        ; =>  This Inner Loop Header: Depth=2
	s_add_u32 s18, s0, s14
	s_addc_u32 s19, s1, s15
	global_load_ubyte v10, v35, s[18:19]
	s_add_u32 s14, s14, 1
	s_addc_u32 s15, s15, 0
	s_waitcnt vmcnt(0)
	v_and_b32_e32 v34, 0xffff, v10
	v_lshlrev_b64 v[10:11], s12, v[34:35]
	s_add_u32 s12, s12, 8
	s_addc_u32 s13, s13, 0
	v_or_b32_e32 v14, v10, v14
	s_cmp_lg_u32 s16, s14
	v_or_b32_e32 v15, v11, v15
	s_cbranch_scc1 .LBB2_38
	s_branch .LBB2_41
.LBB2_39:                               ;   in Loop: Header=BB2_28 Depth=1
                                        ; implicit-def: $vgpr14_vgpr15
                                        ; implicit-def: $sgpr17
	s_branch .LBB2_42
.LBB2_40:                               ;   in Loop: Header=BB2_28 Depth=1
	v_mov_b64_e32 v[14:15], 0
.LBB2_41:                               ;   in Loop: Header=BB2_28 Depth=1
	s_mov_b32 s17, 0
	s_cbranch_execnz .LBB2_43
.LBB2_42:                               ;   in Loop: Header=BB2_28 Depth=1
	global_load_dwordx2 v[14:15], v35, s[0:1]
	s_add_i32 s17, s16, -8
	s_add_u32 s0, s0, 8
	s_addc_u32 s1, s1, 0
.LBB2_43:                               ;   in Loop: Header=BB2_28 Depth=1
	s_cmp_gt_u32 s17, 7
	s_cbranch_scc1 .LBB2_47
; %bb.44:                               ;   in Loop: Header=BB2_28 Depth=1
	s_cmp_eq_u32 s17, 0
	s_cbranch_scc1 .LBB2_48
; %bb.45:                               ;   in Loop: Header=BB2_28 Depth=1
	s_mov_b64 s[12:13], 0
	v_mov_b64_e32 v[16:17], 0
	s_mov_b64 s[14:15], 0
.LBB2_46:                               ;   Parent Loop BB2_28 Depth=1
                                        ; =>  This Inner Loop Header: Depth=2
	s_add_u32 s18, s0, s14
	s_addc_u32 s19, s1, s15
	global_load_ubyte v10, v35, s[18:19]
	s_add_u32 s14, s14, 1
	s_addc_u32 s15, s15, 0
	s_waitcnt vmcnt(0)
	v_and_b32_e32 v34, 0xffff, v10
	v_lshlrev_b64 v[10:11], s12, v[34:35]
	s_add_u32 s12, s12, 8
	s_addc_u32 s13, s13, 0
	v_or_b32_e32 v16, v10, v16
	s_cmp_lg_u32 s17, s14
	v_or_b32_e32 v17, v11, v17
	s_cbranch_scc1 .LBB2_46
	s_branch .LBB2_49
.LBB2_47:                               ;   in Loop: Header=BB2_28 Depth=1
                                        ; implicit-def: $sgpr16
	s_branch .LBB2_50
.LBB2_48:                               ;   in Loop: Header=BB2_28 Depth=1
	v_mov_b64_e32 v[16:17], 0
.LBB2_49:                               ;   in Loop: Header=BB2_28 Depth=1
	s_mov_b32 s16, 0
	s_cbranch_execnz .LBB2_51
.LBB2_50:                               ;   in Loop: Header=BB2_28 Depth=1
	global_load_dwordx2 v[16:17], v35, s[0:1]
	s_add_i32 s16, s17, -8
	s_add_u32 s0, s0, 8
	s_addc_u32 s1, s1, 0
.LBB2_51:                               ;   in Loop: Header=BB2_28 Depth=1
	s_cmp_gt_u32 s16, 7
	s_cbranch_scc1 .LBB2_55
; %bb.52:                               ;   in Loop: Header=BB2_28 Depth=1
	s_cmp_eq_u32 s16, 0
	s_cbranch_scc1 .LBB2_56
; %bb.53:                               ;   in Loop: Header=BB2_28 Depth=1
	s_mov_b64 s[12:13], 0
	v_mov_b64_e32 v[18:19], 0
	s_mov_b64 s[14:15], 0
.LBB2_54:                               ;   Parent Loop BB2_28 Depth=1
                                        ; =>  This Inner Loop Header: Depth=2
	s_add_u32 s18, s0, s14
	s_addc_u32 s19, s1, s15
	global_load_ubyte v10, v35, s[18:19]
	s_add_u32 s14, s14, 1
	s_addc_u32 s15, s15, 0
	s_waitcnt vmcnt(0)
	v_and_b32_e32 v34, 0xffff, v10
	v_lshlrev_b64 v[10:11], s12, v[34:35]
	s_add_u32 s12, s12, 8
	s_addc_u32 s13, s13, 0
	v_or_b32_e32 v18, v10, v18
	s_cmp_lg_u32 s16, s14
	v_or_b32_e32 v19, v11, v19
	s_cbranch_scc1 .LBB2_54
	s_branch .LBB2_57
.LBB2_55:                               ;   in Loop: Header=BB2_28 Depth=1
                                        ; implicit-def: $vgpr18_vgpr19
                                        ; implicit-def: $sgpr17
	s_branch .LBB2_58
.LBB2_56:                               ;   in Loop: Header=BB2_28 Depth=1
	v_mov_b64_e32 v[18:19], 0
.LBB2_57:                               ;   in Loop: Header=BB2_28 Depth=1
	s_mov_b32 s17, 0
	s_cbranch_execnz .LBB2_59
.LBB2_58:                               ;   in Loop: Header=BB2_28 Depth=1
	global_load_dwordx2 v[18:19], v35, s[0:1]
	s_add_i32 s17, s16, -8
	s_add_u32 s0, s0, 8
	s_addc_u32 s1, s1, 0
.LBB2_59:                               ;   in Loop: Header=BB2_28 Depth=1
	s_cmp_gt_u32 s17, 7
	s_cbranch_scc1 .LBB2_63
; %bb.60:                               ;   in Loop: Header=BB2_28 Depth=1
	s_cmp_eq_u32 s17, 0
	s_cbranch_scc1 .LBB2_64
; %bb.61:                               ;   in Loop: Header=BB2_28 Depth=1
	s_mov_b64 s[12:13], 0
	v_mov_b64_e32 v[20:21], 0
	s_mov_b64 s[14:15], 0
.LBB2_62:                               ;   Parent Loop BB2_28 Depth=1
                                        ; =>  This Inner Loop Header: Depth=2
	s_add_u32 s18, s0, s14
	s_addc_u32 s19, s1, s15
	global_load_ubyte v10, v35, s[18:19]
	s_add_u32 s14, s14, 1
	s_addc_u32 s15, s15, 0
	s_waitcnt vmcnt(0)
	v_and_b32_e32 v34, 0xffff, v10
	v_lshlrev_b64 v[10:11], s12, v[34:35]
	s_add_u32 s12, s12, 8
	s_addc_u32 s13, s13, 0
	v_or_b32_e32 v20, v10, v20
	s_cmp_lg_u32 s17, s14
	v_or_b32_e32 v21, v11, v21
	s_cbranch_scc1 .LBB2_62
	s_branch .LBB2_65
.LBB2_63:                               ;   in Loop: Header=BB2_28 Depth=1
                                        ; implicit-def: $sgpr16
	s_branch .LBB2_66
.LBB2_64:                               ;   in Loop: Header=BB2_28 Depth=1
	v_mov_b64_e32 v[20:21], 0
.LBB2_65:                               ;   in Loop: Header=BB2_28 Depth=1
	s_mov_b32 s16, 0
	s_cbranch_execnz .LBB2_67
.LBB2_66:                               ;   in Loop: Header=BB2_28 Depth=1
	global_load_dwordx2 v[20:21], v35, s[0:1]
	s_add_i32 s16, s17, -8
	s_add_u32 s0, s0, 8
	s_addc_u32 s1, s1, 0
.LBB2_67:                               ;   in Loop: Header=BB2_28 Depth=1
	s_cmp_gt_u32 s16, 7
	s_cbranch_scc1 .LBB2_71
; %bb.68:                               ;   in Loop: Header=BB2_28 Depth=1
	s_cmp_eq_u32 s16, 0
	s_cbranch_scc1 .LBB2_72
; %bb.69:                               ;   in Loop: Header=BB2_28 Depth=1
	s_mov_b64 s[12:13], 0
	v_mov_b64_e32 v[22:23], 0
	s_mov_b64 s[14:15], 0
.LBB2_70:                               ;   Parent Loop BB2_28 Depth=1
                                        ; =>  This Inner Loop Header: Depth=2
	s_add_u32 s18, s0, s14
	s_addc_u32 s19, s1, s15
	global_load_ubyte v10, v35, s[18:19]
	s_add_u32 s14, s14, 1
	s_addc_u32 s15, s15, 0
	s_waitcnt vmcnt(0)
	v_and_b32_e32 v34, 0xffff, v10
	v_lshlrev_b64 v[10:11], s12, v[34:35]
	s_add_u32 s12, s12, 8
	s_addc_u32 s13, s13, 0
	v_or_b32_e32 v22, v10, v22
	s_cmp_lg_u32 s16, s14
	v_or_b32_e32 v23, v11, v23
	s_cbranch_scc1 .LBB2_70
	s_branch .LBB2_73
.LBB2_71:                               ;   in Loop: Header=BB2_28 Depth=1
                                        ; implicit-def: $vgpr22_vgpr23
                                        ; implicit-def: $sgpr17
	s_branch .LBB2_74
.LBB2_72:                               ;   in Loop: Header=BB2_28 Depth=1
	v_mov_b64_e32 v[22:23], 0
.LBB2_73:                               ;   in Loop: Header=BB2_28 Depth=1
	s_mov_b32 s17, 0
	s_cbranch_execnz .LBB2_75
.LBB2_74:                               ;   in Loop: Header=BB2_28 Depth=1
	global_load_dwordx2 v[22:23], v35, s[0:1]
	s_add_i32 s17, s16, -8
	s_add_u32 s0, s0, 8
	s_addc_u32 s1, s1, 0
.LBB2_75:                               ;   in Loop: Header=BB2_28 Depth=1
	s_cmp_gt_u32 s17, 7
	s_cbranch_scc1 .LBB2_79
; %bb.76:                               ;   in Loop: Header=BB2_28 Depth=1
	s_cmp_eq_u32 s17, 0
	s_cbranch_scc1 .LBB2_80
; %bb.77:                               ;   in Loop: Header=BB2_28 Depth=1
	s_mov_b64 s[12:13], 0
	v_mov_b64_e32 v[24:25], 0
	s_mov_b64 s[14:15], s[0:1]
.LBB2_78:                               ;   Parent Loop BB2_28 Depth=1
                                        ; =>  This Inner Loop Header: Depth=2
	global_load_ubyte v10, v35, s[14:15]
	s_add_i32 s17, s17, -1
	s_waitcnt vmcnt(0)
	v_and_b32_e32 v34, 0xffff, v10
	v_lshlrev_b64 v[10:11], s12, v[34:35]
	s_add_u32 s12, s12, 8
	s_addc_u32 s13, s13, 0
	s_add_u32 s14, s14, 1
	s_addc_u32 s15, s15, 0
	v_or_b32_e32 v24, v10, v24
	s_cmp_lg_u32 s17, 0
	v_or_b32_e32 v25, v11, v25
	s_cbranch_scc1 .LBB2_78
	s_branch .LBB2_81
.LBB2_79:                               ;   in Loop: Header=BB2_28 Depth=1
	s_branch .LBB2_82
.LBB2_80:                               ;   in Loop: Header=BB2_28 Depth=1
	v_mov_b64_e32 v[24:25], 0
.LBB2_81:                               ;   in Loop: Header=BB2_28 Depth=1
	s_cbranch_execnz .LBB2_83
.LBB2_82:                               ;   in Loop: Header=BB2_28 Depth=1
	global_load_dwordx2 v[24:25], v35, s[0:1]
.LBB2_83:                               ;   in Loop: Header=BB2_28 Depth=1
	v_readfirstlane_b32 s0, v1
	v_mov_b64_e32 v[10:11], 0
	s_nop 0
	v_cmp_eq_u32_e64 s[0:1], s0, v1
	s_and_saveexec_b64 s[12:13], s[0:1]
	s_cbranch_execz .LBB2_89
; %bb.84:                               ;   in Loop: Header=BB2_28 Depth=1
	global_load_dwordx2 v[28:29], v35, s[2:3] offset:24 sc0 sc1
	s_waitcnt vmcnt(0)
	buffer_inv sc0 sc1
	global_load_dwordx2 v[10:11], v35, s[2:3] offset:40
	global_load_dwordx2 v[26:27], v35, s[2:3]
	s_waitcnt vmcnt(1)
	v_and_b32_e32 v10, v10, v28
	v_and_b32_e32 v11, v11, v29
	v_mul_lo_u32 v11, v11, 24
	v_mul_hi_u32 v31, v10, 24
	v_add_u32_e32 v11, v31, v11
	v_mul_lo_u32 v10, v10, 24
	s_waitcnt vmcnt(0)
	v_lshl_add_u64 v[10:11], v[26:27], 0, v[10:11]
	global_load_dwordx2 v[26:27], v[10:11], off sc0 sc1
	s_waitcnt vmcnt(0)
	global_atomic_cmpswap_x2 v[10:11], v35, v[26:29], s[2:3] offset:24 sc0 sc1
	s_waitcnt vmcnt(0)
	buffer_inv sc0 sc1
	v_cmp_ne_u64_e32 vcc, v[10:11], v[28:29]
	s_and_saveexec_b64 s[14:15], vcc
	s_cbranch_execz .LBB2_88
; %bb.85:                               ;   in Loop: Header=BB2_28 Depth=1
	s_mov_b64 s[16:17], 0
.LBB2_86:                               ;   Parent Loop BB2_28 Depth=1
                                        ; =>  This Inner Loop Header: Depth=2
	s_sleep 1
	global_load_dwordx2 v[26:27], v35, s[2:3] offset:40
	global_load_dwordx2 v[36:37], v35, s[2:3]
	v_mov_b64_e32 v[28:29], v[10:11]
	s_waitcnt vmcnt(1)
	v_and_b32_e32 v10, v26, v28
	s_waitcnt vmcnt(0)
	v_mad_u64_u32 v[10:11], s[18:19], v10, 24, v[36:37]
	v_and_b32_e32 v27, v27, v29
	v_mov_b32_e32 v26, v11
	v_mad_u64_u32 v[26:27], s[18:19], v27, 24, v[26:27]
	v_mov_b32_e32 v11, v26
	global_load_dwordx2 v[26:27], v[10:11], off sc0 sc1
	s_waitcnt vmcnt(0)
	global_atomic_cmpswap_x2 v[10:11], v35, v[26:29], s[2:3] offset:24 sc0 sc1
	s_waitcnt vmcnt(0)
	buffer_inv sc0 sc1
	v_cmp_eq_u64_e32 vcc, v[10:11], v[28:29]
	s_or_b64 s[16:17], vcc, s[16:17]
	s_andn2_b64 exec, exec, s[16:17]
	s_cbranch_execnz .LBB2_86
; %bb.87:                               ;   in Loop: Header=BB2_28 Depth=1
	s_or_b64 exec, exec, s[16:17]
.LBB2_88:                               ;   in Loop: Header=BB2_28 Depth=1
	s_or_b64 exec, exec, s[14:15]
.LBB2_89:                               ;   in Loop: Header=BB2_28 Depth=1
	s_or_b64 exec, exec, s[12:13]
	global_load_dwordx2 v[36:37], v35, s[2:3] offset:40
	global_load_dwordx4 v[26:29], v35, s[2:3]
	v_readfirstlane_b32 s12, v10
	v_readfirstlane_b32 s13, v11
	s_mov_b64 s[14:15], exec
	s_waitcnt vmcnt(1)
	v_readfirstlane_b32 s16, v36
	v_readfirstlane_b32 s17, v37
	s_and_b64 s[16:17], s[12:13], s[16:17]
	s_mul_i32 s18, s17, 24
	s_mul_hi_u32 s19, s16, 24
	s_add_i32 s19, s19, s18
	s_mul_i32 s18, s16, 24
	s_waitcnt vmcnt(0)
	v_lshl_add_u64 v[36:37], v[26:27], 0, s[18:19]
	s_and_saveexec_b64 s[18:19], s[0:1]
	s_cbranch_execz .LBB2_91
; %bb.90:                               ;   in Loop: Header=BB2_28 Depth=1
	v_mov_b64_e32 v[10:11], s[14:15]
	global_store_dwordx4 v[36:37], v[10:13], off offset:8
.LBB2_91:                               ;   in Loop: Header=BB2_28 Depth=1
	s_or_b64 exec, exec, s[18:19]
	s_lshl_b64 s[14:15], s[16:17], 12
	v_lshl_add_u64 v[10:11], v[28:29], 0, s[14:15]
	v_or_b32_e32 v29, v4, v30
	v_cmp_gt_u64_e64 vcc, s[6:7], 56
	s_lshl_b32 s14, s10, 2
	s_add_i32 s14, s14, 28
	v_cndmask_b32_e32 v4, v29, v4, vcc
	v_or_b32_e32 v28, 0, v5
	s_and_b32 s14, s14, 0x1e0
	v_and_b32_e32 v4, 0xffffff1f, v4
	v_cndmask_b32_e32 v5, v28, v5, vcc
	v_or_b32_e32 v4, s14, v4
	v_readfirstlane_b32 s14, v10
	v_readfirstlane_b32 s15, v11
	s_nop 4
	global_store_dwordx4 v32, v[4:7], s[14:15]
	global_store_dwordx4 v32, v[14:17], s[14:15] offset:16
	global_store_dwordx4 v32, v[18:21], s[14:15] offset:32
	;; [unrolled: 1-line block ×3, first 2 shown]
	s_and_saveexec_b64 s[14:15], s[0:1]
	s_cbranch_execz .LBB2_99
; %bb.92:                               ;   in Loop: Header=BB2_28 Depth=1
	global_load_dwordx2 v[18:19], v35, s[2:3] offset:32 sc0 sc1
	global_load_dwordx2 v[4:5], v35, s[2:3] offset:40
	v_mov_b32_e32 v16, s12
	v_mov_b32_e32 v17, s13
	s_waitcnt vmcnt(0)
	v_readfirstlane_b32 s16, v4
	v_readfirstlane_b32 s17, v5
	s_and_b64 s[16:17], s[16:17], s[12:13]
	s_mul_i32 s17, s17, 24
	s_mul_hi_u32 s18, s16, 24
	s_mul_i32 s16, s16, 24
	s_add_i32 s17, s18, s17
	v_lshl_add_u64 v[14:15], v[26:27], 0, s[16:17]
	global_store_dwordx2 v[14:15], v[18:19], off
	buffer_wbl2 sc0 sc1
	s_waitcnt vmcnt(0)
	global_atomic_cmpswap_x2 v[6:7], v35, v[16:19], s[2:3] offset:32 sc0 sc1
	s_waitcnt vmcnt(0)
	v_cmp_ne_u64_e32 vcc, v[6:7], v[18:19]
	s_and_saveexec_b64 s[16:17], vcc
	s_cbranch_execz .LBB2_95
; %bb.93:                               ;   in Loop: Header=BB2_28 Depth=1
	s_mov_b64 s[18:19], 0
.LBB2_94:                               ;   Parent Loop BB2_28 Depth=1
                                        ; =>  This Inner Loop Header: Depth=2
	s_sleep 1
	global_store_dwordx2 v[14:15], v[6:7], off
	v_mov_b32_e32 v4, s12
	v_mov_b32_e32 v5, s13
	buffer_wbl2 sc0 sc1
	s_waitcnt vmcnt(0)
	global_atomic_cmpswap_x2 v[4:5], v35, v[4:7], s[2:3] offset:32 sc0 sc1
	s_waitcnt vmcnt(0)
	v_cmp_eq_u64_e32 vcc, v[4:5], v[6:7]
	s_or_b64 s[18:19], vcc, s[18:19]
	v_mov_b64_e32 v[6:7], v[4:5]
	s_andn2_b64 exec, exec, s[18:19]
	s_cbranch_execnz .LBB2_94
.LBB2_95:                               ;   in Loop: Header=BB2_28 Depth=1
	s_or_b64 exec, exec, s[16:17]
	global_load_dwordx2 v[4:5], v35, s[2:3] offset:16
	s_mov_b64 s[18:19], exec
	v_mbcnt_lo_u32_b32 v6, s18, 0
	v_mbcnt_hi_u32_b32 v6, s19, v6
	v_cmp_eq_u32_e32 vcc, 0, v6
	s_and_saveexec_b64 s[16:17], vcc
	s_cbranch_execz .LBB2_97
; %bb.96:                               ;   in Loop: Header=BB2_28 Depth=1
	s_bcnt1_i32_b64 s18, s[18:19]
	v_mov_b32_e32 v34, s18
	buffer_wbl2 sc0 sc1
	s_waitcnt vmcnt(0)
	global_atomic_add_x2 v[4:5], v[34:35], off offset:8 sc1
.LBB2_97:                               ;   in Loop: Header=BB2_28 Depth=1
	s_or_b64 exec, exec, s[16:17]
	s_waitcnt vmcnt(0)
	global_load_dwordx2 v[6:7], v[4:5], off offset:16
	s_waitcnt vmcnt(0)
	v_cmp_eq_u64_e32 vcc, 0, v[6:7]
	s_cbranch_vccnz .LBB2_99
; %bb.98:                               ;   in Loop: Header=BB2_28 Depth=1
	global_load_dword v34, v[4:5], off offset:24
	s_waitcnt vmcnt(0)
	v_and_b32_e32 v4, 0xffffff, v34
	s_nop 0
	v_readfirstlane_b32 m0, v4
	buffer_wbl2 sc0 sc1
	global_store_dwordx2 v[6:7], v[34:35], off sc0 sc1
	s_sendmsg sendmsg(MSG_INTERRUPT)
.LBB2_99:                               ;   in Loop: Header=BB2_28 Depth=1
	s_or_b64 exec, exec, s[14:15]
	v_mov_b32_e32 v33, v35
	v_lshl_add_u64 v[4:5], v[10:11], 0, v[32:33]
	s_branch .LBB2_103
.LBB2_100:                              ;   in Loop: Header=BB2_103 Depth=2
	s_or_b64 exec, exec, s[14:15]
	v_readfirstlane_b32 s14, v6
	s_cmp_eq_u32 s14, 0
	s_cbranch_scc1 .LBB2_102
; %bb.101:                              ;   in Loop: Header=BB2_103 Depth=2
	s_sleep 1
	s_cbranch_execnz .LBB2_103
	s_branch .LBB2_105
.LBB2_102:                              ;   in Loop: Header=BB2_28 Depth=1
	s_branch .LBB2_105
.LBB2_103:                              ;   Parent Loop BB2_28 Depth=1
                                        ; =>  This Inner Loop Header: Depth=2
	v_mov_b32_e32 v6, 1
	s_and_saveexec_b64 s[14:15], s[0:1]
	s_cbranch_execz .LBB2_100
; %bb.104:                              ;   in Loop: Header=BB2_103 Depth=2
	global_load_dword v6, v[36:37], off offset:20 sc0 sc1
	s_waitcnt vmcnt(0)
	buffer_inv sc0 sc1
	v_and_b32_e32 v6, 1, v6
	s_branch .LBB2_100
.LBB2_105:                              ;   in Loop: Header=BB2_28 Depth=1
	global_load_dwordx4 v[4:7], v[4:5], off
	s_and_saveexec_b64 s[14:15], s[0:1]
	s_cbranch_execz .LBB2_27
; %bb.106:                              ;   in Loop: Header=BB2_28 Depth=1
	global_load_dwordx2 v[6:7], v35, s[2:3] offset:40
	global_load_dwordx2 v[10:11], v35, s[2:3] offset:24 sc0 sc1
	global_load_dwordx2 v[18:19], v35, s[2:3]
	s_waitcnt vmcnt(2)
	v_lshl_add_u64 v[14:15], v[6:7], 0, 1
	v_lshl_add_u64 v[20:21], v[14:15], 0, s[12:13]
	v_cmp_eq_u64_e32 vcc, 0, v[20:21]
	s_waitcnt vmcnt(1)
	v_mov_b32_e32 v16, v10
	v_cndmask_b32_e32 v15, v21, v15, vcc
	v_cndmask_b32_e32 v14, v20, v14, vcc
	v_and_b32_e32 v7, v15, v7
	v_and_b32_e32 v6, v14, v6
	v_mul_lo_u32 v7, v7, 24
	v_mul_hi_u32 v17, v6, 24
	v_mul_lo_u32 v6, v6, 24
	v_add_u32_e32 v7, v17, v7
	s_waitcnt vmcnt(0)
	v_lshl_add_u64 v[6:7], v[18:19], 0, v[6:7]
	global_store_dwordx2 v[6:7], v[10:11], off
	v_mov_b32_e32 v17, v11
	buffer_wbl2 sc0 sc1
	s_waitcnt vmcnt(0)
	global_atomic_cmpswap_x2 v[16:17], v35, v[14:17], s[2:3] offset:24 sc0 sc1
	s_waitcnt vmcnt(0)
	v_cmp_ne_u64_e32 vcc, v[16:17], v[10:11]
	s_and_b64 exec, exec, vcc
	s_cbranch_execz .LBB2_27
; %bb.107:                              ;   in Loop: Header=BB2_28 Depth=1
	s_mov_b64 s[0:1], 0
.LBB2_108:                              ;   Parent Loop BB2_28 Depth=1
                                        ; =>  This Inner Loop Header: Depth=2
	s_sleep 1
	global_store_dwordx2 v[6:7], v[16:17], off
	buffer_wbl2 sc0 sc1
	s_waitcnt vmcnt(0)
	global_atomic_cmpswap_x2 v[10:11], v35, v[14:17], s[2:3] offset:24 sc0 sc1
	s_waitcnt vmcnt(0)
	v_cmp_eq_u64_e32 vcc, v[10:11], v[16:17]
	s_or_b64 s[0:1], vcc, s[0:1]
	v_mov_b64_e32 v[16:17], v[10:11]
	s_andn2_b64 exec, exec, s[0:1]
	s_cbranch_execnz .LBB2_108
	s_branch .LBB2_27
.LBB2_109:
                                        ; implicit-def: $vgpr4_vgpr5
	s_cbranch_execnz .LBB2_111
	s_branch .LBB2_137
.LBB2_110:
	s_branch .LBB2_137
.LBB2_111:
	v_readfirstlane_b32 s0, v1
	v_mov_b64_e32 v[10:11], 0
	s_nop 0
	v_cmp_eq_u32_e64 s[0:1], s0, v1
	s_and_saveexec_b64 s[4:5], s[0:1]
	s_cbranch_execz .LBB2_117
; %bb.112:
	s_waitcnt vmcnt(0)
	v_mov_b32_e32 v4, 0
	global_load_dwordx2 v[12:13], v4, s[2:3] offset:24 sc0 sc1
	s_waitcnt vmcnt(0)
	buffer_inv sc0 sc1
	global_load_dwordx2 v[6:7], v4, s[2:3] offset:40
	global_load_dwordx2 v[10:11], v4, s[2:3]
	s_waitcnt vmcnt(1)
	v_and_b32_e32 v5, v6, v12
	v_and_b32_e32 v6, v7, v13
	v_mul_lo_u32 v6, v6, 24
	v_mul_hi_u32 v7, v5, 24
	v_add_u32_e32 v7, v7, v6
	v_mul_lo_u32 v6, v5, 24
	s_waitcnt vmcnt(0)
	v_lshl_add_u64 v[6:7], v[10:11], 0, v[6:7]
	global_load_dwordx2 v[10:11], v[6:7], off sc0 sc1
	s_waitcnt vmcnt(0)
	global_atomic_cmpswap_x2 v[10:11], v4, v[10:13], s[2:3] offset:24 sc0 sc1
	s_waitcnt vmcnt(0)
	buffer_inv sc0 sc1
	v_cmp_ne_u64_e32 vcc, v[10:11], v[12:13]
	s_and_saveexec_b64 s[6:7], vcc
	s_cbranch_execz .LBB2_116
; %bb.113:
	s_mov_b64 s[10:11], 0
.LBB2_114:                              ; =>This Inner Loop Header: Depth=1
	s_sleep 1
	global_load_dwordx2 v[6:7], v4, s[2:3] offset:40
	global_load_dwordx2 v[14:15], v4, s[2:3]
	v_mov_b64_e32 v[12:13], v[10:11]
	s_waitcnt vmcnt(1)
	v_and_b32_e32 v6, v6, v12
	v_and_b32_e32 v5, v7, v13
	s_waitcnt vmcnt(0)
	v_mad_u64_u32 v[6:7], s[12:13], v6, 24, v[14:15]
	v_mov_b32_e32 v10, v7
	v_mad_u64_u32 v[10:11], s[12:13], v5, 24, v[10:11]
	v_mov_b32_e32 v7, v10
	global_load_dwordx2 v[10:11], v[6:7], off sc0 sc1
	s_waitcnt vmcnt(0)
	global_atomic_cmpswap_x2 v[10:11], v4, v[10:13], s[2:3] offset:24 sc0 sc1
	s_waitcnt vmcnt(0)
	buffer_inv sc0 sc1
	v_cmp_eq_u64_e32 vcc, v[10:11], v[12:13]
	s_or_b64 s[10:11], vcc, s[10:11]
	s_andn2_b64 exec, exec, s[10:11]
	s_cbranch_execnz .LBB2_114
; %bb.115:
	s_or_b64 exec, exec, s[10:11]
.LBB2_116:
	s_or_b64 exec, exec, s[6:7]
.LBB2_117:
	s_or_b64 exec, exec, s[4:5]
	v_mov_b32_e32 v33, 0
	global_load_dwordx2 v[12:13], v33, s[2:3] offset:40
	global_load_dwordx4 v[4:7], v33, s[2:3]
	v_readfirstlane_b32 s4, v10
	v_readfirstlane_b32 s5, v11
	s_mov_b64 s[6:7], exec
	s_waitcnt vmcnt(1)
	v_readfirstlane_b32 s10, v12
	v_readfirstlane_b32 s11, v13
	s_and_b64 s[10:11], s[4:5], s[10:11]
	s_mul_i32 s12, s11, 24
	s_mul_hi_u32 s13, s10, 24
	s_add_i32 s13, s13, s12
	s_mul_i32 s12, s10, 24
	s_waitcnt vmcnt(0)
	v_lshl_add_u64 v[12:13], v[4:5], 0, s[12:13]
	s_and_saveexec_b64 s[12:13], s[0:1]
	s_cbranch_execz .LBB2_119
; %bb.118:
	v_mov_b64_e32 v[14:15], s[6:7]
	v_mov_b32_e32 v16, 2
	v_mov_b32_e32 v17, 1
	global_store_dwordx4 v[12:13], v[14:17], off offset:8
.LBB2_119:
	s_or_b64 exec, exec, s[12:13]
	s_lshl_b64 s[6:7], s[10:11], 12
	v_lshl_add_u64 v[14:15], v[6:7], 0, s[6:7]
	s_movk_i32 s6, 0xff1f
	s_mov_b32 s12, 0
	v_and_or_b32 v8, v8, s6, 32
	v_mov_b32_e32 v10, v33
	v_mov_b32_e32 v11, v33
	v_readfirstlane_b32 s6, v14
	v_readfirstlane_b32 s7, v15
	s_mov_b32 s13, s12
	s_mov_b32 s14, s12
	s_mov_b32 s15, s12
	s_nop 1
	global_store_dwordx4 v32, v[8:11], s[6:7]
	v_mov_b64_e32 v[6:7], s[12:13]
	s_nop 0
	v_mov_b64_e32 v[8:9], s[14:15]
	global_store_dwordx4 v32, v[6:9], s[6:7] offset:16
	global_store_dwordx4 v32, v[6:9], s[6:7] offset:32
	;; [unrolled: 1-line block ×3, first 2 shown]
	s_and_saveexec_b64 s[6:7], s[0:1]
	s_cbranch_execz .LBB2_127
; %bb.120:
	v_mov_b32_e32 v10, 0
	global_load_dwordx2 v[18:19], v10, s[2:3] offset:32 sc0 sc1
	global_load_dwordx2 v[6:7], v10, s[2:3] offset:40
	v_mov_b32_e32 v16, s4
	v_mov_b32_e32 v17, s5
	s_waitcnt vmcnt(0)
	v_readfirstlane_b32 s10, v6
	v_readfirstlane_b32 s11, v7
	s_and_b64 s[10:11], s[10:11], s[4:5]
	s_mul_i32 s11, s11, 24
	s_mul_hi_u32 s12, s10, 24
	s_mul_i32 s10, s10, 24
	s_add_i32 s11, s12, s11
	v_lshl_add_u64 v[8:9], v[4:5], 0, s[10:11]
	global_store_dwordx2 v[8:9], v[18:19], off
	buffer_wbl2 sc0 sc1
	s_waitcnt vmcnt(0)
	global_atomic_cmpswap_x2 v[6:7], v10, v[16:19], s[2:3] offset:32 sc0 sc1
	s_waitcnt vmcnt(0)
	v_cmp_ne_u64_e32 vcc, v[6:7], v[18:19]
	s_and_saveexec_b64 s[10:11], vcc
	s_cbranch_execz .LBB2_123
; %bb.121:
	s_mov_b64 s[12:13], 0
.LBB2_122:                              ; =>This Inner Loop Header: Depth=1
	s_sleep 1
	global_store_dwordx2 v[8:9], v[6:7], off
	v_mov_b32_e32 v4, s4
	v_mov_b32_e32 v5, s5
	buffer_wbl2 sc0 sc1
	s_waitcnt vmcnt(0)
	global_atomic_cmpswap_x2 v[4:5], v10, v[4:7], s[2:3] offset:32 sc0 sc1
	s_waitcnt vmcnt(0)
	v_cmp_eq_u64_e32 vcc, v[4:5], v[6:7]
	s_or_b64 s[12:13], vcc, s[12:13]
	v_mov_b64_e32 v[6:7], v[4:5]
	s_andn2_b64 exec, exec, s[12:13]
	s_cbranch_execnz .LBB2_122
.LBB2_123:
	s_or_b64 exec, exec, s[10:11]
	v_mov_b32_e32 v7, 0
	global_load_dwordx2 v[4:5], v7, s[2:3] offset:16
	s_mov_b64 s[10:11], exec
	v_mbcnt_lo_u32_b32 v6, s10, 0
	v_mbcnt_hi_u32_b32 v6, s11, v6
	v_cmp_eq_u32_e32 vcc, 0, v6
	s_and_saveexec_b64 s[12:13], vcc
	s_cbranch_execz .LBB2_125
; %bb.124:
	s_bcnt1_i32_b64 s10, s[10:11]
	v_mov_b32_e32 v6, s10
	buffer_wbl2 sc0 sc1
	s_waitcnt vmcnt(0)
	global_atomic_add_x2 v[4:5], v[6:7], off offset:8 sc1
.LBB2_125:
	s_or_b64 exec, exec, s[12:13]
	s_waitcnt vmcnt(0)
	global_load_dwordx2 v[6:7], v[4:5], off offset:16
	s_waitcnt vmcnt(0)
	v_cmp_eq_u64_e32 vcc, 0, v[6:7]
	s_cbranch_vccnz .LBB2_127
; %bb.126:
	global_load_dword v4, v[4:5], off offset:24
	v_mov_b32_e32 v5, 0
	buffer_wbl2 sc0 sc1
	s_waitcnt vmcnt(0)
	global_store_dwordx2 v[6:7], v[4:5], off sc0 sc1
	v_and_b32_e32 v4, 0xffffff, v4
	s_nop 0
	v_readfirstlane_b32 m0, v4
	s_sendmsg sendmsg(MSG_INTERRUPT)
.LBB2_127:
	s_or_b64 exec, exec, s[6:7]
	v_lshl_add_u64 v[4:5], v[14:15], 0, v[32:33]
	s_branch .LBB2_131
.LBB2_128:                              ;   in Loop: Header=BB2_131 Depth=1
	s_or_b64 exec, exec, s[6:7]
	v_readfirstlane_b32 s6, v6
	s_cmp_eq_u32 s6, 0
	s_cbranch_scc1 .LBB2_130
; %bb.129:                              ;   in Loop: Header=BB2_131 Depth=1
	s_sleep 1
	s_cbranch_execnz .LBB2_131
	s_branch .LBB2_133
.LBB2_130:
	s_branch .LBB2_133
.LBB2_131:                              ; =>This Inner Loop Header: Depth=1
	v_mov_b32_e32 v6, 1
	s_and_saveexec_b64 s[6:7], s[0:1]
	s_cbranch_execz .LBB2_128
; %bb.132:                              ;   in Loop: Header=BB2_131 Depth=1
	global_load_dword v6, v[12:13], off offset:20 sc0 sc1
	s_waitcnt vmcnt(0)
	buffer_inv sc0 sc1
	v_and_b32_e32 v6, 1, v6
	s_branch .LBB2_128
.LBB2_133:
	global_load_dwordx2 v[4:5], v[4:5], off
	s_and_saveexec_b64 s[6:7], s[0:1]
	s_cbranch_execz .LBB2_136
; %bb.134:
	v_mov_b32_e32 v12, 0
	global_load_dwordx2 v[10:11], v12, s[2:3] offset:40
	global_load_dwordx2 v[14:15], v12, s[2:3] offset:24 sc0 sc1
	global_load_dwordx2 v[16:17], v12, s[2:3]
	s_mov_b64 s[0:1], 0
	s_waitcnt vmcnt(2)
	v_lshl_add_u64 v[6:7], v[10:11], 0, 1
	v_lshl_add_u64 v[18:19], v[6:7], 0, s[4:5]
	v_cmp_eq_u64_e32 vcc, 0, v[18:19]
	s_waitcnt vmcnt(1)
	v_mov_b32_e32 v8, v14
	v_cndmask_b32_e32 v7, v19, v7, vcc
	v_cndmask_b32_e32 v6, v18, v6, vcc
	v_and_b32_e32 v9, v7, v11
	v_and_b32_e32 v10, v6, v10
	v_mul_lo_u32 v9, v9, 24
	v_mul_hi_u32 v11, v10, 24
	v_mul_lo_u32 v10, v10, 24
	v_add_u32_e32 v11, v11, v9
	s_waitcnt vmcnt(0)
	v_lshl_add_u64 v[10:11], v[16:17], 0, v[10:11]
	global_store_dwordx2 v[10:11], v[14:15], off
	v_mov_b32_e32 v9, v15
	buffer_wbl2 sc0 sc1
	s_waitcnt vmcnt(0)
	global_atomic_cmpswap_x2 v[8:9], v12, v[6:9], s[2:3] offset:24 sc0 sc1
	s_waitcnt vmcnt(0)
	v_cmp_ne_u64_e32 vcc, v[8:9], v[14:15]
	s_and_b64 exec, exec, vcc
	s_cbranch_execz .LBB2_136
.LBB2_135:                              ; =>This Inner Loop Header: Depth=1
	s_sleep 1
	global_store_dwordx2 v[10:11], v[8:9], off
	buffer_wbl2 sc0 sc1
	s_waitcnt vmcnt(0)
	global_atomic_cmpswap_x2 v[14:15], v12, v[6:9], s[2:3] offset:24 sc0 sc1
	s_waitcnt vmcnt(0)
	v_cmp_eq_u64_e32 vcc, v[14:15], v[8:9]
	s_or_b64 s[0:1], vcc, s[0:1]
	v_mov_b64_e32 v[8:9], v[14:15]
	s_andn2_b64 exec, exec, s[0:1]
	s_cbranch_execnz .LBB2_135
.LBB2_136:
	s_or_b64 exec, exec, s[6:7]
.LBB2_137:
	s_getpc_b64 s[4:5]
	s_add_u32 s4, s4, .str@rel32@lo+4
	s_addc_u32 s5, s5, .str@rel32@hi+12
	s_cmp_lg_u64 s[4:5], 0
	s_cselect_b64 s[0:1], -1, 0
	s_cmp_eq_u64 s[4:5], 0
	s_mov_b64 s[4:5], 0
	s_cbranch_scc1 .LBB2_141
; %bb.138:
	s_waitcnt vmcnt(0)
	v_mov_b32_e32 v6, 0
	s_getpc_b64 s[4:5]
	s_add_u32 s4, s4, .str@rel32@lo+3
	s_addc_u32 s5, s5, .str@rel32@hi+11
.LBB2_139:                              ; =>This Inner Loop Header: Depth=1
	global_load_ubyte v7, v6, s[4:5] offset:1
	s_add_u32 s6, s4, 1
	s_addc_u32 s7, s5, 0
	s_mov_b64 s[4:5], s[6:7]
	s_waitcnt vmcnt(0)
	v_cmp_ne_u16_e32 vcc, 0, v7
	s_cbranch_vccnz .LBB2_139
; %bb.140:
	s_getpc_b64 s[4:5]
	s_add_u32 s4, s4, .str@rel32@lo+4
	s_addc_u32 s5, s5, .str@rel32@hi+12
	s_sub_u32 s4, s6, s4
	s_subb_u32 s5, s7, s5
	s_add_u32 s4, s4, 1
	s_addc_u32 s5, s5, 0
.LBB2_141:
	s_and_b64 vcc, exec, s[0:1]
	s_cbranch_vccz .LBB2_225
; %bb.142:
	s_waitcnt vmcnt(0)
	v_and_b32_e32 v34, 2, v4
	v_mov_b32_e32 v37, 0
	v_and_b32_e32 v6, -3, v4
	v_mov_b32_e32 v7, v5
	v_mov_b32_e32 v10, 2
	;; [unrolled: 1-line block ×3, first 2 shown]
	s_getpc_b64 s[6:7]
	s_add_u32 s6, s6, .str@rel32@lo+4
	s_addc_u32 s7, s7, .str@rel32@hi+12
	s_branch .LBB2_144
.LBB2_143:                              ;   in Loop: Header=BB2_144 Depth=1
	s_or_b64 exec, exec, s[14:15]
	s_sub_u32 s4, s4, s10
	s_subb_u32 s5, s5, s11
	s_add_u32 s6, s6, s10
	s_addc_u32 s7, s7, s11
	s_cmp_lg_u64 s[4:5], 0
	s_cbranch_scc0 .LBB2_226
.LBB2_144:                              ; =>This Loop Header: Depth=1
                                        ;     Child Loop BB2_147 Depth 2
                                        ;     Child Loop BB2_154 Depth 2
	;; [unrolled: 1-line block ×11, first 2 shown]
	v_cmp_lt_u64_e64 s[0:1], s[4:5], 56
	s_and_b64 s[0:1], s[0:1], exec
	v_cmp_gt_u64_e64 s[0:1], s[4:5], 7
	s_cselect_b32 s11, s5, 0
	s_cselect_b32 s10, s4, 56
	s_and_b64 vcc, exec, s[0:1]
	s_cbranch_vccnz .LBB2_149
; %bb.145:                              ;   in Loop: Header=BB2_144 Depth=1
	s_mov_b64 s[0:1], 0
	s_cmp_eq_u64 s[4:5], 0
	v_mov_b64_e32 v[14:15], 0
	s_cbranch_scc1 .LBB2_148
; %bb.146:                              ;   in Loop: Header=BB2_144 Depth=1
	s_lshl_b64 s[12:13], s[10:11], 3
	s_mov_b64 s[14:15], 0
	v_mov_b64_e32 v[14:15], 0
	s_mov_b64 s[16:17], s[6:7]
.LBB2_147:                              ;   Parent Loop BB2_144 Depth=1
                                        ; =>  This Inner Loop Header: Depth=2
	global_load_ubyte v8, v37, s[16:17]
	s_waitcnt vmcnt(0)
	v_and_b32_e32 v36, 0xffff, v8
	v_lshlrev_b64 v[8:9], s14, v[36:37]
	s_add_u32 s14, s14, 8
	s_addc_u32 s15, s15, 0
	s_add_u32 s16, s16, 1
	s_addc_u32 s17, s17, 0
	v_or_b32_e32 v14, v8, v14
	s_cmp_lg_u32 s12, s14
	v_or_b32_e32 v15, v9, v15
	s_cbranch_scc1 .LBB2_147
.LBB2_148:                              ;   in Loop: Header=BB2_144 Depth=1
	s_mov_b32 s16, 0
	s_andn2_b64 vcc, exec, s[0:1]
	s_mov_b64 s[0:1], s[6:7]
	s_cbranch_vccz .LBB2_150
	s_branch .LBB2_151
.LBB2_149:                              ;   in Loop: Header=BB2_144 Depth=1
                                        ; implicit-def: $vgpr14_vgpr15
                                        ; implicit-def: $sgpr16
	s_mov_b64 s[0:1], s[6:7]
.LBB2_150:                              ;   in Loop: Header=BB2_144 Depth=1
	global_load_dwordx2 v[14:15], v37, s[6:7]
	s_add_i32 s16, s10, -8
	s_add_u32 s0, s6, 8
	s_addc_u32 s1, s7, 0
.LBB2_151:                              ;   in Loop: Header=BB2_144 Depth=1
	s_cmp_gt_u32 s16, 7
	s_cbranch_scc1 .LBB2_155
; %bb.152:                              ;   in Loop: Header=BB2_144 Depth=1
	s_cmp_eq_u32 s16, 0
	s_cbranch_scc1 .LBB2_156
; %bb.153:                              ;   in Loop: Header=BB2_144 Depth=1
	s_mov_b64 s[12:13], 0
	v_mov_b64_e32 v[16:17], 0
	s_mov_b64 s[14:15], 0
.LBB2_154:                              ;   Parent Loop BB2_144 Depth=1
                                        ; =>  This Inner Loop Header: Depth=2
	s_add_u32 s18, s0, s14
	s_addc_u32 s19, s1, s15
	global_load_ubyte v8, v37, s[18:19]
	s_add_u32 s14, s14, 1
	s_addc_u32 s15, s15, 0
	s_waitcnt vmcnt(0)
	v_and_b32_e32 v36, 0xffff, v8
	v_lshlrev_b64 v[8:9], s12, v[36:37]
	s_add_u32 s12, s12, 8
	s_addc_u32 s13, s13, 0
	v_or_b32_e32 v16, v8, v16
	s_cmp_lg_u32 s16, s14
	v_or_b32_e32 v17, v9, v17
	s_cbranch_scc1 .LBB2_154
	s_branch .LBB2_157
.LBB2_155:                              ;   in Loop: Header=BB2_144 Depth=1
                                        ; implicit-def: $vgpr16_vgpr17
                                        ; implicit-def: $sgpr17
	s_branch .LBB2_158
.LBB2_156:                              ;   in Loop: Header=BB2_144 Depth=1
	v_mov_b64_e32 v[16:17], 0
.LBB2_157:                              ;   in Loop: Header=BB2_144 Depth=1
	s_mov_b32 s17, 0
	s_cbranch_execnz .LBB2_159
.LBB2_158:                              ;   in Loop: Header=BB2_144 Depth=1
	global_load_dwordx2 v[16:17], v37, s[0:1]
	s_add_i32 s17, s16, -8
	s_add_u32 s0, s0, 8
	s_addc_u32 s1, s1, 0
.LBB2_159:                              ;   in Loop: Header=BB2_144 Depth=1
	s_cmp_gt_u32 s17, 7
	s_cbranch_scc1 .LBB2_163
; %bb.160:                              ;   in Loop: Header=BB2_144 Depth=1
	s_cmp_eq_u32 s17, 0
	s_cbranch_scc1 .LBB2_164
; %bb.161:                              ;   in Loop: Header=BB2_144 Depth=1
	s_mov_b64 s[12:13], 0
	v_mov_b64_e32 v[18:19], 0
	s_mov_b64 s[14:15], 0
.LBB2_162:                              ;   Parent Loop BB2_144 Depth=1
                                        ; =>  This Inner Loop Header: Depth=2
	s_add_u32 s18, s0, s14
	s_addc_u32 s19, s1, s15
	global_load_ubyte v8, v37, s[18:19]
	s_add_u32 s14, s14, 1
	s_addc_u32 s15, s15, 0
	s_waitcnt vmcnt(0)
	v_and_b32_e32 v36, 0xffff, v8
	v_lshlrev_b64 v[8:9], s12, v[36:37]
	s_add_u32 s12, s12, 8
	s_addc_u32 s13, s13, 0
	v_or_b32_e32 v18, v8, v18
	s_cmp_lg_u32 s17, s14
	v_or_b32_e32 v19, v9, v19
	s_cbranch_scc1 .LBB2_162
	s_branch .LBB2_165
.LBB2_163:                              ;   in Loop: Header=BB2_144 Depth=1
                                        ; implicit-def: $sgpr16
	s_branch .LBB2_166
.LBB2_164:                              ;   in Loop: Header=BB2_144 Depth=1
	v_mov_b64_e32 v[18:19], 0
.LBB2_165:                              ;   in Loop: Header=BB2_144 Depth=1
	s_mov_b32 s16, 0
	s_cbranch_execnz .LBB2_167
.LBB2_166:                              ;   in Loop: Header=BB2_144 Depth=1
	global_load_dwordx2 v[18:19], v37, s[0:1]
	s_add_i32 s16, s17, -8
	s_add_u32 s0, s0, 8
	s_addc_u32 s1, s1, 0
.LBB2_167:                              ;   in Loop: Header=BB2_144 Depth=1
	s_cmp_gt_u32 s16, 7
	s_cbranch_scc1 .LBB2_171
; %bb.168:                              ;   in Loop: Header=BB2_144 Depth=1
	s_cmp_eq_u32 s16, 0
	s_cbranch_scc1 .LBB2_172
; %bb.169:                              ;   in Loop: Header=BB2_144 Depth=1
	s_mov_b64 s[12:13], 0
	v_mov_b64_e32 v[20:21], 0
	s_mov_b64 s[14:15], 0
.LBB2_170:                              ;   Parent Loop BB2_144 Depth=1
                                        ; =>  This Inner Loop Header: Depth=2
	s_add_u32 s18, s0, s14
	s_addc_u32 s19, s1, s15
	global_load_ubyte v8, v37, s[18:19]
	s_add_u32 s14, s14, 1
	s_addc_u32 s15, s15, 0
	s_waitcnt vmcnt(0)
	v_and_b32_e32 v36, 0xffff, v8
	v_lshlrev_b64 v[8:9], s12, v[36:37]
	s_add_u32 s12, s12, 8
	s_addc_u32 s13, s13, 0
	v_or_b32_e32 v20, v8, v20
	s_cmp_lg_u32 s16, s14
	v_or_b32_e32 v21, v9, v21
	s_cbranch_scc1 .LBB2_170
	s_branch .LBB2_173
.LBB2_171:                              ;   in Loop: Header=BB2_144 Depth=1
                                        ; implicit-def: $vgpr20_vgpr21
                                        ; implicit-def: $sgpr17
	s_branch .LBB2_174
.LBB2_172:                              ;   in Loop: Header=BB2_144 Depth=1
	v_mov_b64_e32 v[20:21], 0
.LBB2_173:                              ;   in Loop: Header=BB2_144 Depth=1
	s_mov_b32 s17, 0
	s_cbranch_execnz .LBB2_175
.LBB2_174:                              ;   in Loop: Header=BB2_144 Depth=1
	global_load_dwordx2 v[20:21], v37, s[0:1]
	s_add_i32 s17, s16, -8
	s_add_u32 s0, s0, 8
	s_addc_u32 s1, s1, 0
.LBB2_175:                              ;   in Loop: Header=BB2_144 Depth=1
	s_cmp_gt_u32 s17, 7
	s_cbranch_scc1 .LBB2_179
; %bb.176:                              ;   in Loop: Header=BB2_144 Depth=1
	s_cmp_eq_u32 s17, 0
	s_cbranch_scc1 .LBB2_180
; %bb.177:                              ;   in Loop: Header=BB2_144 Depth=1
	s_mov_b64 s[12:13], 0
	v_mov_b64_e32 v[22:23], 0
	s_mov_b64 s[14:15], 0
.LBB2_178:                              ;   Parent Loop BB2_144 Depth=1
                                        ; =>  This Inner Loop Header: Depth=2
	s_add_u32 s18, s0, s14
	s_addc_u32 s19, s1, s15
	global_load_ubyte v8, v37, s[18:19]
	s_add_u32 s14, s14, 1
	s_addc_u32 s15, s15, 0
	s_waitcnt vmcnt(0)
	v_and_b32_e32 v36, 0xffff, v8
	v_lshlrev_b64 v[8:9], s12, v[36:37]
	s_add_u32 s12, s12, 8
	s_addc_u32 s13, s13, 0
	v_or_b32_e32 v22, v8, v22
	s_cmp_lg_u32 s17, s14
	v_or_b32_e32 v23, v9, v23
	s_cbranch_scc1 .LBB2_178
	s_branch .LBB2_181
.LBB2_179:                              ;   in Loop: Header=BB2_144 Depth=1
                                        ; implicit-def: $sgpr16
	s_branch .LBB2_182
.LBB2_180:                              ;   in Loop: Header=BB2_144 Depth=1
	v_mov_b64_e32 v[22:23], 0
.LBB2_181:                              ;   in Loop: Header=BB2_144 Depth=1
	s_mov_b32 s16, 0
	s_cbranch_execnz .LBB2_183
.LBB2_182:                              ;   in Loop: Header=BB2_144 Depth=1
	global_load_dwordx2 v[22:23], v37, s[0:1]
	s_add_i32 s16, s17, -8
	s_add_u32 s0, s0, 8
	s_addc_u32 s1, s1, 0
.LBB2_183:                              ;   in Loop: Header=BB2_144 Depth=1
	s_cmp_gt_u32 s16, 7
	s_cbranch_scc1 .LBB2_187
; %bb.184:                              ;   in Loop: Header=BB2_144 Depth=1
	s_cmp_eq_u32 s16, 0
	s_cbranch_scc1 .LBB2_188
; %bb.185:                              ;   in Loop: Header=BB2_144 Depth=1
	s_mov_b64 s[12:13], 0
	v_mov_b64_e32 v[24:25], 0
	s_mov_b64 s[14:15], 0
.LBB2_186:                              ;   Parent Loop BB2_144 Depth=1
                                        ; =>  This Inner Loop Header: Depth=2
	s_add_u32 s18, s0, s14
	s_addc_u32 s19, s1, s15
	global_load_ubyte v8, v37, s[18:19]
	s_add_u32 s14, s14, 1
	s_addc_u32 s15, s15, 0
	s_waitcnt vmcnt(0)
	v_and_b32_e32 v36, 0xffff, v8
	v_lshlrev_b64 v[8:9], s12, v[36:37]
	s_add_u32 s12, s12, 8
	s_addc_u32 s13, s13, 0
	v_or_b32_e32 v24, v8, v24
	s_cmp_lg_u32 s16, s14
	v_or_b32_e32 v25, v9, v25
	s_cbranch_scc1 .LBB2_186
	s_branch .LBB2_189
.LBB2_187:                              ;   in Loop: Header=BB2_144 Depth=1
                                        ; implicit-def: $vgpr24_vgpr25
                                        ; implicit-def: $sgpr17
	s_branch .LBB2_190
.LBB2_188:                              ;   in Loop: Header=BB2_144 Depth=1
	v_mov_b64_e32 v[24:25], 0
.LBB2_189:                              ;   in Loop: Header=BB2_144 Depth=1
	s_mov_b32 s17, 0
	s_cbranch_execnz .LBB2_191
.LBB2_190:                              ;   in Loop: Header=BB2_144 Depth=1
	global_load_dwordx2 v[24:25], v37, s[0:1]
	s_add_i32 s17, s16, -8
	s_add_u32 s0, s0, 8
	s_addc_u32 s1, s1, 0
.LBB2_191:                              ;   in Loop: Header=BB2_144 Depth=1
	s_cmp_gt_u32 s17, 7
	s_cbranch_scc1 .LBB2_195
; %bb.192:                              ;   in Loop: Header=BB2_144 Depth=1
	s_cmp_eq_u32 s17, 0
	s_cbranch_scc1 .LBB2_196
; %bb.193:                              ;   in Loop: Header=BB2_144 Depth=1
	s_mov_b64 s[12:13], 0
	v_mov_b64_e32 v[26:27], 0
	s_mov_b64 s[14:15], s[0:1]
.LBB2_194:                              ;   Parent Loop BB2_144 Depth=1
                                        ; =>  This Inner Loop Header: Depth=2
	global_load_ubyte v8, v37, s[14:15]
	s_add_i32 s17, s17, -1
	s_waitcnt vmcnt(0)
	v_and_b32_e32 v36, 0xffff, v8
	v_lshlrev_b64 v[8:9], s12, v[36:37]
	s_add_u32 s12, s12, 8
	s_addc_u32 s13, s13, 0
	s_add_u32 s14, s14, 1
	s_addc_u32 s15, s15, 0
	v_or_b32_e32 v26, v8, v26
	s_cmp_lg_u32 s17, 0
	v_or_b32_e32 v27, v9, v27
	s_cbranch_scc1 .LBB2_194
	s_branch .LBB2_197
.LBB2_195:                              ;   in Loop: Header=BB2_144 Depth=1
	s_branch .LBB2_198
.LBB2_196:                              ;   in Loop: Header=BB2_144 Depth=1
	v_mov_b64_e32 v[26:27], 0
.LBB2_197:                              ;   in Loop: Header=BB2_144 Depth=1
	s_cbranch_execnz .LBB2_199
.LBB2_198:                              ;   in Loop: Header=BB2_144 Depth=1
	global_load_dwordx2 v[26:27], v37, s[0:1]
.LBB2_199:                              ;   in Loop: Header=BB2_144 Depth=1
	v_readfirstlane_b32 s0, v1
	s_waitcnt vmcnt(0)
	v_mov_b64_e32 v[8:9], 0
	v_cmp_eq_u32_e64 s[0:1], s0, v1
	s_and_saveexec_b64 s[12:13], s[0:1]
	s_cbranch_execz .LBB2_205
; %bb.200:                              ;   in Loop: Header=BB2_144 Depth=1
	global_load_dwordx2 v[30:31], v37, s[2:3] offset:24 sc0 sc1
	s_waitcnt vmcnt(0)
	buffer_inv sc0 sc1
	global_load_dwordx2 v[8:9], v37, s[2:3] offset:40
	global_load_dwordx2 v[12:13], v37, s[2:3]
	s_waitcnt vmcnt(1)
	v_and_b32_e32 v8, v8, v30
	v_and_b32_e32 v9, v9, v31
	v_mul_lo_u32 v9, v9, 24
	v_mul_hi_u32 v28, v8, 24
	v_add_u32_e32 v9, v28, v9
	v_mul_lo_u32 v8, v8, 24
	s_waitcnt vmcnt(0)
	v_lshl_add_u64 v[8:9], v[12:13], 0, v[8:9]
	global_load_dwordx2 v[28:29], v[8:9], off sc0 sc1
	s_waitcnt vmcnt(0)
	global_atomic_cmpswap_x2 v[8:9], v37, v[28:31], s[2:3] offset:24 sc0 sc1
	s_waitcnt vmcnt(0)
	buffer_inv sc0 sc1
	v_cmp_ne_u64_e32 vcc, v[8:9], v[30:31]
	s_and_saveexec_b64 s[14:15], vcc
	s_cbranch_execz .LBB2_204
; %bb.201:                              ;   in Loop: Header=BB2_144 Depth=1
	s_mov_b64 s[16:17], 0
.LBB2_202:                              ;   Parent Loop BB2_144 Depth=1
                                        ; =>  This Inner Loop Header: Depth=2
	s_sleep 1
	global_load_dwordx2 v[12:13], v37, s[2:3] offset:40
	global_load_dwordx2 v[28:29], v37, s[2:3]
	v_mov_b64_e32 v[30:31], v[8:9]
	s_waitcnt vmcnt(1)
	v_and_b32_e32 v8, v12, v30
	s_waitcnt vmcnt(0)
	v_mad_u64_u32 v[8:9], s[18:19], v8, 24, v[28:29]
	v_and_b32_e32 v13, v13, v31
	v_mov_b32_e32 v12, v9
	v_mad_u64_u32 v[12:13], s[18:19], v13, 24, v[12:13]
	v_mov_b32_e32 v9, v12
	global_load_dwordx2 v[28:29], v[8:9], off sc0 sc1
	s_waitcnt vmcnt(0)
	global_atomic_cmpswap_x2 v[8:9], v37, v[28:31], s[2:3] offset:24 sc0 sc1
	s_waitcnt vmcnt(0)
	buffer_inv sc0 sc1
	v_cmp_eq_u64_e32 vcc, v[8:9], v[30:31]
	s_or_b64 s[16:17], vcc, s[16:17]
	s_andn2_b64 exec, exec, s[16:17]
	s_cbranch_execnz .LBB2_202
; %bb.203:                              ;   in Loop: Header=BB2_144 Depth=1
	s_or_b64 exec, exec, s[16:17]
.LBB2_204:                              ;   in Loop: Header=BB2_144 Depth=1
	s_or_b64 exec, exec, s[14:15]
.LBB2_205:                              ;   in Loop: Header=BB2_144 Depth=1
	s_or_b64 exec, exec, s[12:13]
	global_load_dwordx2 v[12:13], v37, s[2:3] offset:40
	global_load_dwordx4 v[28:31], v37, s[2:3]
	v_readfirstlane_b32 s12, v8
	v_readfirstlane_b32 s13, v9
	s_mov_b64 s[14:15], exec
	s_waitcnt vmcnt(1)
	v_readfirstlane_b32 s16, v12
	v_readfirstlane_b32 s17, v13
	s_and_b64 s[16:17], s[12:13], s[16:17]
	s_mul_i32 s18, s17, 24
	s_mul_hi_u32 s19, s16, 24
	s_add_i32 s19, s19, s18
	s_mul_i32 s18, s16, 24
	s_waitcnt vmcnt(0)
	v_lshl_add_u64 v[38:39], v[28:29], 0, s[18:19]
	s_and_saveexec_b64 s[18:19], s[0:1]
	s_cbranch_execz .LBB2_207
; %bb.206:                              ;   in Loop: Header=BB2_144 Depth=1
	v_mov_b64_e32 v[8:9], s[14:15]
	global_store_dwordx4 v[38:39], v[8:11], off offset:8
.LBB2_207:                              ;   in Loop: Header=BB2_144 Depth=1
	s_or_b64 exec, exec, s[18:19]
	s_lshl_b64 s[14:15], s[16:17], 12
	v_lshl_add_u64 v[30:31], v[30:31], 0, s[14:15]
	v_or_b32_e32 v9, v6, v34
	v_cmp_gt_u64_e64 vcc, s[4:5], 56
	s_lshl_b32 s14, s10, 2
	s_add_i32 s14, s14, 28
	v_cndmask_b32_e32 v6, v9, v6, vcc
	v_or_b32_e32 v8, 0, v7
	s_and_b32 s14, s14, 0x1e0
	v_and_b32_e32 v6, 0xffffff1f, v6
	v_cndmask_b32_e32 v13, v8, v7, vcc
	v_or_b32_e32 v12, s14, v6
	v_readfirstlane_b32 s14, v30
	v_readfirstlane_b32 s15, v31
	s_nop 4
	global_store_dwordx4 v32, v[12:15], s[14:15]
	global_store_dwordx4 v32, v[16:19], s[14:15] offset:16
	global_store_dwordx4 v32, v[20:23], s[14:15] offset:32
	;; [unrolled: 1-line block ×3, first 2 shown]
	s_and_saveexec_b64 s[14:15], s[0:1]
	s_cbranch_execz .LBB2_215
; %bb.208:                              ;   in Loop: Header=BB2_144 Depth=1
	global_load_dwordx2 v[16:17], v37, s[2:3] offset:32 sc0 sc1
	global_load_dwordx2 v[6:7], v37, s[2:3] offset:40
	v_mov_b32_e32 v14, s12
	v_mov_b32_e32 v15, s13
	s_waitcnt vmcnt(0)
	v_readfirstlane_b32 s16, v6
	v_readfirstlane_b32 s17, v7
	s_and_b64 s[16:17], s[16:17], s[12:13]
	s_mul_i32 s17, s17, 24
	s_mul_hi_u32 s18, s16, 24
	s_mul_i32 s16, s16, 24
	s_add_i32 s17, s18, s17
	v_lshl_add_u64 v[12:13], v[28:29], 0, s[16:17]
	global_store_dwordx2 v[12:13], v[16:17], off
	buffer_wbl2 sc0 sc1
	s_waitcnt vmcnt(0)
	global_atomic_cmpswap_x2 v[8:9], v37, v[14:17], s[2:3] offset:32 sc0 sc1
	s_waitcnt vmcnt(0)
	v_cmp_ne_u64_e32 vcc, v[8:9], v[16:17]
	s_and_saveexec_b64 s[16:17], vcc
	s_cbranch_execz .LBB2_211
; %bb.209:                              ;   in Loop: Header=BB2_144 Depth=1
	s_mov_b64 s[18:19], 0
.LBB2_210:                              ;   Parent Loop BB2_144 Depth=1
                                        ; =>  This Inner Loop Header: Depth=2
	s_sleep 1
	global_store_dwordx2 v[12:13], v[8:9], off
	v_mov_b32_e32 v6, s12
	v_mov_b32_e32 v7, s13
	buffer_wbl2 sc0 sc1
	s_waitcnt vmcnt(0)
	global_atomic_cmpswap_x2 v[6:7], v37, v[6:9], s[2:3] offset:32 sc0 sc1
	s_waitcnt vmcnt(0)
	v_cmp_eq_u64_e32 vcc, v[6:7], v[8:9]
	s_or_b64 s[18:19], vcc, s[18:19]
	v_mov_b64_e32 v[8:9], v[6:7]
	s_andn2_b64 exec, exec, s[18:19]
	s_cbranch_execnz .LBB2_210
.LBB2_211:                              ;   in Loop: Header=BB2_144 Depth=1
	s_or_b64 exec, exec, s[16:17]
	global_load_dwordx2 v[6:7], v37, s[2:3] offset:16
	s_mov_b64 s[18:19], exec
	v_mbcnt_lo_u32_b32 v8, s18, 0
	v_mbcnt_hi_u32_b32 v8, s19, v8
	v_cmp_eq_u32_e32 vcc, 0, v8
	s_and_saveexec_b64 s[16:17], vcc
	s_cbranch_execz .LBB2_213
; %bb.212:                              ;   in Loop: Header=BB2_144 Depth=1
	s_bcnt1_i32_b64 s18, s[18:19]
	v_mov_b32_e32 v36, s18
	buffer_wbl2 sc0 sc1
	s_waitcnt vmcnt(0)
	global_atomic_add_x2 v[6:7], v[36:37], off offset:8 sc1
.LBB2_213:                              ;   in Loop: Header=BB2_144 Depth=1
	s_or_b64 exec, exec, s[16:17]
	s_waitcnt vmcnt(0)
	global_load_dwordx2 v[8:9], v[6:7], off offset:16
	s_waitcnt vmcnt(0)
	v_cmp_eq_u64_e32 vcc, 0, v[8:9]
	s_cbranch_vccnz .LBB2_215
; %bb.214:                              ;   in Loop: Header=BB2_144 Depth=1
	global_load_dword v36, v[6:7], off offset:24
	s_waitcnt vmcnt(0)
	v_and_b32_e32 v6, 0xffffff, v36
	s_nop 0
	v_readfirstlane_b32 m0, v6
	buffer_wbl2 sc0 sc1
	global_store_dwordx2 v[8:9], v[36:37], off sc0 sc1
	s_sendmsg sendmsg(MSG_INTERRUPT)
.LBB2_215:                              ;   in Loop: Header=BB2_144 Depth=1
	s_or_b64 exec, exec, s[14:15]
	v_mov_b32_e32 v33, v37
	v_lshl_add_u64 v[6:7], v[30:31], 0, v[32:33]
	s_branch .LBB2_219
.LBB2_216:                              ;   in Loop: Header=BB2_219 Depth=2
	s_or_b64 exec, exec, s[14:15]
	v_readfirstlane_b32 s14, v8
	s_cmp_eq_u32 s14, 0
	s_cbranch_scc1 .LBB2_218
; %bb.217:                              ;   in Loop: Header=BB2_219 Depth=2
	s_sleep 1
	s_cbranch_execnz .LBB2_219
	s_branch .LBB2_221
.LBB2_218:                              ;   in Loop: Header=BB2_144 Depth=1
	s_branch .LBB2_221
.LBB2_219:                              ;   Parent Loop BB2_144 Depth=1
                                        ; =>  This Inner Loop Header: Depth=2
	v_mov_b32_e32 v8, 1
	s_and_saveexec_b64 s[14:15], s[0:1]
	s_cbranch_execz .LBB2_216
; %bb.220:                              ;   in Loop: Header=BB2_219 Depth=2
	global_load_dword v8, v[38:39], off offset:20 sc0 sc1
	s_waitcnt vmcnt(0)
	buffer_inv sc0 sc1
	v_and_b32_e32 v8, 1, v8
	s_branch .LBB2_216
.LBB2_221:                              ;   in Loop: Header=BB2_144 Depth=1
	global_load_dwordx4 v[6:9], v[6:7], off
	s_and_saveexec_b64 s[14:15], s[0:1]
	s_cbranch_execz .LBB2_143
; %bb.222:                              ;   in Loop: Header=BB2_144 Depth=1
	global_load_dwordx2 v[8:9], v37, s[2:3] offset:40
	global_load_dwordx2 v[16:17], v37, s[2:3] offset:24 sc0 sc1
	global_load_dwordx2 v[18:19], v37, s[2:3]
	s_waitcnt vmcnt(2)
	v_lshl_add_u64 v[12:13], v[8:9], 0, 1
	v_lshl_add_u64 v[20:21], v[12:13], 0, s[12:13]
	v_cmp_eq_u64_e32 vcc, 0, v[20:21]
	s_waitcnt vmcnt(1)
	v_mov_b32_e32 v14, v16
	v_cndmask_b32_e32 v13, v21, v13, vcc
	v_cndmask_b32_e32 v12, v20, v12, vcc
	v_and_b32_e32 v9, v13, v9
	v_and_b32_e32 v8, v12, v8
	v_mul_lo_u32 v9, v9, 24
	v_mul_hi_u32 v15, v8, 24
	v_mul_lo_u32 v8, v8, 24
	v_add_u32_e32 v9, v15, v9
	s_waitcnt vmcnt(0)
	v_lshl_add_u64 v[8:9], v[18:19], 0, v[8:9]
	global_store_dwordx2 v[8:9], v[16:17], off
	v_mov_b32_e32 v15, v17
	buffer_wbl2 sc0 sc1
	s_waitcnt vmcnt(0)
	global_atomic_cmpswap_x2 v[14:15], v37, v[12:15], s[2:3] offset:24 sc0 sc1
	s_waitcnt vmcnt(0)
	v_cmp_ne_u64_e32 vcc, v[14:15], v[16:17]
	s_and_b64 exec, exec, vcc
	s_cbranch_execz .LBB2_143
; %bb.223:                              ;   in Loop: Header=BB2_144 Depth=1
	s_mov_b64 s[0:1], 0
.LBB2_224:                              ;   Parent Loop BB2_144 Depth=1
                                        ; =>  This Inner Loop Header: Depth=2
	s_sleep 1
	global_store_dwordx2 v[8:9], v[14:15], off
	buffer_wbl2 sc0 sc1
	s_waitcnt vmcnt(0)
	global_atomic_cmpswap_x2 v[16:17], v37, v[12:15], s[2:3] offset:24 sc0 sc1
	s_waitcnt vmcnt(0)
	v_cmp_eq_u64_e32 vcc, v[16:17], v[14:15]
	s_or_b64 s[0:1], vcc, s[0:1]
	v_mov_b64_e32 v[14:15], v[16:17]
	s_andn2_b64 exec, exec, s[0:1]
	s_cbranch_execnz .LBB2_224
	s_branch .LBB2_143
.LBB2_225:
                                        ; implicit-def: $vgpr6_vgpr7
	s_cbranch_execnz .LBB2_227
	s_branch .LBB2_253
.LBB2_226:
	s_branch .LBB2_253
.LBB2_227:
	v_readfirstlane_b32 s0, v1
	s_waitcnt vmcnt(0)
	v_mov_b64_e32 v[6:7], 0
	v_cmp_eq_u32_e64 s[0:1], s0, v1
	s_and_saveexec_b64 s[4:5], s[0:1]
	s_cbranch_execz .LBB2_233
; %bb.228:
	v_mov_b32_e32 v8, 0
	global_load_dwordx2 v[12:13], v8, s[2:3] offset:24 sc0 sc1
	s_waitcnt vmcnt(0)
	buffer_inv sc0 sc1
	global_load_dwordx2 v[6:7], v8, s[2:3] offset:40
	global_load_dwordx2 v[10:11], v8, s[2:3]
	s_waitcnt vmcnt(1)
	v_and_b32_e32 v6, v6, v12
	v_and_b32_e32 v7, v7, v13
	v_mul_lo_u32 v7, v7, 24
	v_mul_hi_u32 v9, v6, 24
	v_add_u32_e32 v7, v9, v7
	v_mul_lo_u32 v6, v6, 24
	s_waitcnt vmcnt(0)
	v_lshl_add_u64 v[6:7], v[10:11], 0, v[6:7]
	global_load_dwordx2 v[10:11], v[6:7], off sc0 sc1
	s_waitcnt vmcnt(0)
	global_atomic_cmpswap_x2 v[6:7], v8, v[10:13], s[2:3] offset:24 sc0 sc1
	s_waitcnt vmcnt(0)
	buffer_inv sc0 sc1
	v_cmp_ne_u64_e32 vcc, v[6:7], v[12:13]
	s_and_saveexec_b64 s[6:7], vcc
	s_cbranch_execz .LBB2_232
; %bb.229:
	s_mov_b64 s[10:11], 0
.LBB2_230:                              ; =>This Inner Loop Header: Depth=1
	s_sleep 1
	global_load_dwordx2 v[10:11], v8, s[2:3] offset:40
	global_load_dwordx2 v[14:15], v8, s[2:3]
	v_mov_b64_e32 v[12:13], v[6:7]
	s_waitcnt vmcnt(1)
	v_and_b32_e32 v6, v10, v12
	s_waitcnt vmcnt(0)
	v_mad_u64_u32 v[6:7], s[12:13], v6, 24, v[14:15]
	v_and_b32_e32 v9, v11, v13
	v_mov_b32_e32 v10, v7
	v_mad_u64_u32 v[10:11], s[12:13], v9, 24, v[10:11]
	v_mov_b32_e32 v7, v10
	global_load_dwordx2 v[10:11], v[6:7], off sc0 sc1
	s_waitcnt vmcnt(0)
	global_atomic_cmpswap_x2 v[6:7], v8, v[10:13], s[2:3] offset:24 sc0 sc1
	s_waitcnt vmcnt(0)
	buffer_inv sc0 sc1
	v_cmp_eq_u64_e32 vcc, v[6:7], v[12:13]
	s_or_b64 s[10:11], vcc, s[10:11]
	s_andn2_b64 exec, exec, s[10:11]
	s_cbranch_execnz .LBB2_230
; %bb.231:
	s_or_b64 exec, exec, s[10:11]
.LBB2_232:
	s_or_b64 exec, exec, s[6:7]
.LBB2_233:
	s_or_b64 exec, exec, s[4:5]
	v_mov_b32_e32 v33, 0
	global_load_dwordx2 v[12:13], v33, s[2:3] offset:40
	global_load_dwordx4 v[8:11], v33, s[2:3]
	v_readfirstlane_b32 s4, v6
	v_readfirstlane_b32 s5, v7
	s_mov_b64 s[6:7], exec
	s_waitcnt vmcnt(1)
	v_readfirstlane_b32 s10, v12
	v_readfirstlane_b32 s11, v13
	s_and_b64 s[10:11], s[4:5], s[10:11]
	s_mul_i32 s12, s11, 24
	s_mul_hi_u32 s13, s10, 24
	s_add_i32 s13, s13, s12
	s_mul_i32 s12, s10, 24
	s_waitcnt vmcnt(0)
	v_lshl_add_u64 v[12:13], v[8:9], 0, s[12:13]
	s_and_saveexec_b64 s[12:13], s[0:1]
	s_cbranch_execz .LBB2_235
; %bb.234:
	v_mov_b64_e32 v[14:15], s[6:7]
	v_mov_b32_e32 v16, 2
	v_mov_b32_e32 v17, 1
	global_store_dwordx4 v[12:13], v[14:17], off offset:8
.LBB2_235:
	s_or_b64 exec, exec, s[12:13]
	s_lshl_b64 s[6:7], s[10:11], 12
	v_lshl_add_u64 v[10:11], v[10:11], 0, s[6:7]
	s_movk_i32 s6, 0xff1f
	s_mov_b32 s12, 0
	v_and_or_b32 v4, v4, s6, 32
	v_mov_b32_e32 v6, v33
	v_mov_b32_e32 v7, v33
	v_readfirstlane_b32 s6, v10
	v_readfirstlane_b32 s7, v11
	s_mov_b32 s13, s12
	s_mov_b32 s14, s12
	;; [unrolled: 1-line block ×3, first 2 shown]
	s_nop 1
	global_store_dwordx4 v32, v[4:7], s[6:7]
	s_nop 1
	v_mov_b64_e32 v[4:5], s[12:13]
	v_mov_b64_e32 v[6:7], s[14:15]
	global_store_dwordx4 v32, v[4:7], s[6:7] offset:16
	global_store_dwordx4 v32, v[4:7], s[6:7] offset:32
	;; [unrolled: 1-line block ×3, first 2 shown]
	s_and_saveexec_b64 s[6:7], s[0:1]
	s_cbranch_execz .LBB2_243
; %bb.236:
	v_mov_b32_e32 v14, 0
	global_load_dwordx2 v[18:19], v14, s[2:3] offset:32 sc0 sc1
	global_load_dwordx2 v[4:5], v14, s[2:3] offset:40
	v_mov_b32_e32 v16, s4
	v_mov_b32_e32 v17, s5
	s_waitcnt vmcnt(0)
	v_readfirstlane_b32 s10, v4
	v_readfirstlane_b32 s11, v5
	s_and_b64 s[10:11], s[10:11], s[4:5]
	s_mul_i32 s11, s11, 24
	s_mul_hi_u32 s12, s10, 24
	s_mul_i32 s10, s10, 24
	s_add_i32 s11, s12, s11
	v_lshl_add_u64 v[8:9], v[8:9], 0, s[10:11]
	global_store_dwordx2 v[8:9], v[18:19], off
	buffer_wbl2 sc0 sc1
	s_waitcnt vmcnt(0)
	global_atomic_cmpswap_x2 v[6:7], v14, v[16:19], s[2:3] offset:32 sc0 sc1
	s_waitcnt vmcnt(0)
	v_cmp_ne_u64_e32 vcc, v[6:7], v[18:19]
	s_and_saveexec_b64 s[10:11], vcc
	s_cbranch_execz .LBB2_239
; %bb.237:
	s_mov_b64 s[12:13], 0
.LBB2_238:                              ; =>This Inner Loop Header: Depth=1
	s_sleep 1
	global_store_dwordx2 v[8:9], v[6:7], off
	v_mov_b32_e32 v4, s4
	v_mov_b32_e32 v5, s5
	buffer_wbl2 sc0 sc1
	s_waitcnt vmcnt(0)
	global_atomic_cmpswap_x2 v[4:5], v14, v[4:7], s[2:3] offset:32 sc0 sc1
	s_waitcnt vmcnt(0)
	v_cmp_eq_u64_e32 vcc, v[4:5], v[6:7]
	s_or_b64 s[12:13], vcc, s[12:13]
	v_mov_b64_e32 v[6:7], v[4:5]
	s_andn2_b64 exec, exec, s[12:13]
	s_cbranch_execnz .LBB2_238
.LBB2_239:
	s_or_b64 exec, exec, s[10:11]
	v_mov_b32_e32 v7, 0
	global_load_dwordx2 v[4:5], v7, s[2:3] offset:16
	s_mov_b64 s[10:11], exec
	v_mbcnt_lo_u32_b32 v6, s10, 0
	v_mbcnt_hi_u32_b32 v6, s11, v6
	v_cmp_eq_u32_e32 vcc, 0, v6
	s_and_saveexec_b64 s[12:13], vcc
	s_cbranch_execz .LBB2_241
; %bb.240:
	s_bcnt1_i32_b64 s10, s[10:11]
	v_mov_b32_e32 v6, s10
	buffer_wbl2 sc0 sc1
	s_waitcnt vmcnt(0)
	global_atomic_add_x2 v[4:5], v[6:7], off offset:8 sc1
.LBB2_241:
	s_or_b64 exec, exec, s[12:13]
	s_waitcnt vmcnt(0)
	global_load_dwordx2 v[6:7], v[4:5], off offset:16
	s_waitcnt vmcnt(0)
	v_cmp_eq_u64_e32 vcc, 0, v[6:7]
	s_cbranch_vccnz .LBB2_243
; %bb.242:
	global_load_dword v4, v[4:5], off offset:24
	v_mov_b32_e32 v5, 0
	buffer_wbl2 sc0 sc1
	s_waitcnt vmcnt(0)
	global_store_dwordx2 v[6:7], v[4:5], off sc0 sc1
	v_and_b32_e32 v4, 0xffffff, v4
	s_nop 0
	v_readfirstlane_b32 m0, v4
	s_sendmsg sendmsg(MSG_INTERRUPT)
.LBB2_243:
	s_or_b64 exec, exec, s[6:7]
	v_lshl_add_u64 v[4:5], v[10:11], 0, v[32:33]
	s_branch .LBB2_247
.LBB2_244:                              ;   in Loop: Header=BB2_247 Depth=1
	s_or_b64 exec, exec, s[6:7]
	v_readfirstlane_b32 s6, v6
	s_cmp_eq_u32 s6, 0
	s_cbranch_scc1 .LBB2_246
; %bb.245:                              ;   in Loop: Header=BB2_247 Depth=1
	s_sleep 1
	s_cbranch_execnz .LBB2_247
	s_branch .LBB2_249
.LBB2_246:
	s_branch .LBB2_249
.LBB2_247:                              ; =>This Inner Loop Header: Depth=1
	v_mov_b32_e32 v6, 1
	s_and_saveexec_b64 s[6:7], s[0:1]
	s_cbranch_execz .LBB2_244
; %bb.248:                              ;   in Loop: Header=BB2_247 Depth=1
	global_load_dword v6, v[12:13], off offset:20 sc0 sc1
	s_waitcnt vmcnt(0)
	buffer_inv sc0 sc1
	v_and_b32_e32 v6, 1, v6
	s_branch .LBB2_244
.LBB2_249:
	global_load_dwordx2 v[6:7], v[4:5], off
	s_and_saveexec_b64 s[6:7], s[0:1]
	s_cbranch_execz .LBB2_252
; %bb.250:
	v_mov_b32_e32 v12, 0
	global_load_dwordx2 v[4:5], v12, s[2:3] offset:40
	global_load_dwordx2 v[14:15], v12, s[2:3] offset:24 sc0 sc1
	global_load_dwordx2 v[16:17], v12, s[2:3]
	s_mov_b64 s[0:1], 0
	s_waitcnt vmcnt(2)
	v_lshl_add_u64 v[8:9], v[4:5], 0, 1
	v_lshl_add_u64 v[18:19], v[8:9], 0, s[4:5]
	v_cmp_eq_u64_e32 vcc, 0, v[18:19]
	s_waitcnt vmcnt(1)
	v_mov_b32_e32 v10, v14
	v_cndmask_b32_e32 v9, v19, v9, vcc
	v_cndmask_b32_e32 v8, v18, v8, vcc
	v_and_b32_e32 v5, v9, v5
	v_and_b32_e32 v4, v8, v4
	v_mul_lo_u32 v5, v5, 24
	v_mul_hi_u32 v11, v4, 24
	v_mul_lo_u32 v4, v4, 24
	v_add_u32_e32 v5, v11, v5
	s_waitcnt vmcnt(0)
	v_lshl_add_u64 v[4:5], v[16:17], 0, v[4:5]
	global_store_dwordx2 v[4:5], v[14:15], off
	v_mov_b32_e32 v11, v15
	buffer_wbl2 sc0 sc1
	s_waitcnt vmcnt(0)
	global_atomic_cmpswap_x2 v[10:11], v12, v[8:11], s[2:3] offset:24 sc0 sc1
	s_waitcnt vmcnt(0)
	v_cmp_ne_u64_e32 vcc, v[10:11], v[14:15]
	s_and_b64 exec, exec, vcc
	s_cbranch_execz .LBB2_252
.LBB2_251:                              ; =>This Inner Loop Header: Depth=1
	s_sleep 1
	global_store_dwordx2 v[4:5], v[10:11], off
	buffer_wbl2 sc0 sc1
	s_waitcnt vmcnt(0)
	global_atomic_cmpswap_x2 v[14:15], v12, v[8:11], s[2:3] offset:24 sc0 sc1
	s_waitcnt vmcnt(0)
	v_cmp_eq_u64_e32 vcc, v[14:15], v[10:11]
	s_or_b64 s[0:1], vcc, s[0:1]
	v_mov_b64_e32 v[10:11], v[14:15]
	s_andn2_b64 exec, exec, s[0:1]
	s_cbranch_execnz .LBB2_251
.LBB2_252:
	s_or_b64 exec, exec, s[6:7]
.LBB2_253:
	v_readfirstlane_b32 s0, v1
	s_waitcnt vmcnt(0)
	v_mov_b64_e32 v[4:5], 0
	v_cmp_eq_u32_e64 s[0:1], s0, v1
	s_and_saveexec_b64 s[4:5], s[0:1]
	s_cbranch_execz .LBB2_259
; %bb.254:
	v_mov_b32_e32 v1, 0
	global_load_dwordx2 v[10:11], v1, s[2:3] offset:24 sc0 sc1
	s_waitcnt vmcnt(0)
	buffer_inv sc0 sc1
	global_load_dwordx2 v[4:5], v1, s[2:3] offset:40
	global_load_dwordx2 v[8:9], v1, s[2:3]
	s_waitcnt vmcnt(1)
	v_and_b32_e32 v4, v4, v10
	v_and_b32_e32 v5, v5, v11
	v_mul_lo_u32 v5, v5, 24
	v_mul_hi_u32 v12, v4, 24
	v_add_u32_e32 v5, v12, v5
	v_mul_lo_u32 v4, v4, 24
	s_waitcnt vmcnt(0)
	v_lshl_add_u64 v[4:5], v[8:9], 0, v[4:5]
	global_load_dwordx2 v[8:9], v[4:5], off sc0 sc1
	s_waitcnt vmcnt(0)
	global_atomic_cmpswap_x2 v[4:5], v1, v[8:11], s[2:3] offset:24 sc0 sc1
	s_waitcnt vmcnt(0)
	buffer_inv sc0 sc1
	v_cmp_ne_u64_e32 vcc, v[4:5], v[10:11]
	s_and_saveexec_b64 s[6:7], vcc
	s_cbranch_execz .LBB2_258
; %bb.255:
	s_mov_b64 s[10:11], 0
.LBB2_256:                              ; =>This Inner Loop Header: Depth=1
	s_sleep 1
	global_load_dwordx2 v[8:9], v1, s[2:3] offset:40
	global_load_dwordx2 v[12:13], v1, s[2:3]
	v_mov_b64_e32 v[10:11], v[4:5]
	s_waitcnt vmcnt(1)
	v_and_b32_e32 v4, v8, v10
	s_waitcnt vmcnt(0)
	v_mad_u64_u32 v[4:5], s[12:13], v4, 24, v[12:13]
	v_and_b32_e32 v9, v9, v11
	v_mov_b32_e32 v8, v5
	v_mad_u64_u32 v[8:9], s[12:13], v9, 24, v[8:9]
	v_mov_b32_e32 v5, v8
	global_load_dwordx2 v[8:9], v[4:5], off sc0 sc1
	s_waitcnt vmcnt(0)
	global_atomic_cmpswap_x2 v[4:5], v1, v[8:11], s[2:3] offset:24 sc0 sc1
	s_waitcnt vmcnt(0)
	buffer_inv sc0 sc1
	v_cmp_eq_u64_e32 vcc, v[4:5], v[10:11]
	s_or_b64 s[10:11], vcc, s[10:11]
	s_andn2_b64 exec, exec, s[10:11]
	s_cbranch_execnz .LBB2_256
; %bb.257:
	s_or_b64 exec, exec, s[10:11]
.LBB2_258:
	s_or_b64 exec, exec, s[6:7]
.LBB2_259:
	s_or_b64 exec, exec, s[4:5]
	v_mov_b32_e32 v33, 0
	global_load_dwordx2 v[8:9], v33, s[2:3] offset:40
	global_load_dwordx4 v[10:13], v33, s[2:3]
	v_readfirstlane_b32 s4, v4
	v_readfirstlane_b32 s5, v5
	s_mov_b64 s[6:7], exec
	s_waitcnt vmcnt(1)
	v_readfirstlane_b32 s10, v8
	v_readfirstlane_b32 s11, v9
	s_and_b64 s[10:11], s[4:5], s[10:11]
	s_mul_i32 s12, s11, 24
	s_mul_hi_u32 s13, s10, 24
	s_add_i32 s13, s13, s12
	s_mul_i32 s12, s10, 24
	s_waitcnt vmcnt(0)
	v_lshl_add_u64 v[14:15], v[10:11], 0, s[12:13]
	s_and_saveexec_b64 s[12:13], s[0:1]
	s_cbranch_execz .LBB2_261
; %bb.260:
	v_mov_b64_e32 v[16:17], s[6:7]
	v_mov_b32_e32 v18, 2
	v_mov_b32_e32 v19, 1
	global_store_dwordx4 v[14:15], v[16:19], off offset:8
.LBB2_261:
	s_or_b64 exec, exec, s[12:13]
	s_lshl_b64 s[6:7], s[10:11], 12
	v_lshl_add_u64 v[12:13], v[12:13], 0, s[6:7]
	s_mov_b32 s12, 0
	s_movk_i32 s6, 0xff1f
	v_and_or_b32 v6, v6, s6, 32
	v_mov_b32_e32 v8, v0
	v_mov_b32_e32 v9, v33
	v_readfirstlane_b32 s6, v12
	v_readfirstlane_b32 s7, v13
	s_mov_b32 s13, s12
	s_mov_b32 s14, s12
	;; [unrolled: 1-line block ×3, first 2 shown]
	s_nop 1
	global_store_dwordx4 v32, v[6:9], s[6:7]
	v_mov_b64_e32 v[4:5], s[12:13]
	s_nop 0
	v_mov_b64_e32 v[6:7], s[14:15]
	global_store_dwordx4 v32, v[4:7], s[6:7] offset:16
	global_store_dwordx4 v32, v[4:7], s[6:7] offset:32
	;; [unrolled: 1-line block ×3, first 2 shown]
	s_and_saveexec_b64 s[6:7], s[0:1]
	s_cbranch_execz .LBB2_269
; %bb.262:
	v_mov_b32_e32 v8, 0
	global_load_dwordx2 v[18:19], v8, s[2:3] offset:32 sc0 sc1
	global_load_dwordx2 v[0:1], v8, s[2:3] offset:40
	v_mov_b32_e32 v16, s4
	v_mov_b32_e32 v17, s5
	s_waitcnt vmcnt(0)
	v_readfirstlane_b32 s10, v0
	v_readfirstlane_b32 s11, v1
	s_and_b64 s[10:11], s[10:11], s[4:5]
	s_mul_i32 s11, s11, 24
	s_mul_hi_u32 s12, s10, 24
	s_mul_i32 s10, s10, 24
	s_add_i32 s11, s12, s11
	v_lshl_add_u64 v[0:1], v[10:11], 0, s[10:11]
	global_store_dwordx2 v[0:1], v[18:19], off
	buffer_wbl2 sc0 sc1
	s_waitcnt vmcnt(0)
	global_atomic_cmpswap_x2 v[6:7], v8, v[16:19], s[2:3] offset:32 sc0 sc1
	s_waitcnt vmcnt(0)
	v_cmp_ne_u64_e32 vcc, v[6:7], v[18:19]
	s_and_saveexec_b64 s[10:11], vcc
	s_cbranch_execz .LBB2_265
; %bb.263:
	s_mov_b64 s[12:13], 0
.LBB2_264:                              ; =>This Inner Loop Header: Depth=1
	s_sleep 1
	global_store_dwordx2 v[0:1], v[6:7], off
	v_mov_b32_e32 v4, s4
	v_mov_b32_e32 v5, s5
	buffer_wbl2 sc0 sc1
	s_waitcnt vmcnt(0)
	global_atomic_cmpswap_x2 v[4:5], v8, v[4:7], s[2:3] offset:32 sc0 sc1
	s_waitcnt vmcnt(0)
	v_cmp_eq_u64_e32 vcc, v[4:5], v[6:7]
	s_or_b64 s[12:13], vcc, s[12:13]
	v_mov_b64_e32 v[6:7], v[4:5]
	s_andn2_b64 exec, exec, s[12:13]
	s_cbranch_execnz .LBB2_264
.LBB2_265:
	s_or_b64 exec, exec, s[10:11]
	v_mov_b32_e32 v5, 0
	global_load_dwordx2 v[0:1], v5, s[2:3] offset:16
	s_mov_b64 s[10:11], exec
	v_mbcnt_lo_u32_b32 v4, s10, 0
	v_mbcnt_hi_u32_b32 v4, s11, v4
	v_cmp_eq_u32_e32 vcc, 0, v4
	s_and_saveexec_b64 s[12:13], vcc
	s_cbranch_execz .LBB2_267
; %bb.266:
	s_bcnt1_i32_b64 s10, s[10:11]
	v_mov_b32_e32 v4, s10
	buffer_wbl2 sc0 sc1
	s_waitcnt vmcnt(0)
	global_atomic_add_x2 v[0:1], v[4:5], off offset:8 sc1
.LBB2_267:
	s_or_b64 exec, exec, s[12:13]
	s_waitcnt vmcnt(0)
	global_load_dwordx2 v[4:5], v[0:1], off offset:16
	s_waitcnt vmcnt(0)
	v_cmp_eq_u64_e32 vcc, 0, v[4:5]
	s_cbranch_vccnz .LBB2_269
; %bb.268:
	global_load_dword v0, v[0:1], off offset:24
	v_mov_b32_e32 v1, 0
	buffer_wbl2 sc0 sc1
	s_waitcnt vmcnt(0)
	global_store_dwordx2 v[4:5], v[0:1], off sc0 sc1
	v_and_b32_e32 v0, 0xffffff, v0
	s_nop 0
	v_readfirstlane_b32 m0, v0
	s_sendmsg sendmsg(MSG_INTERRUPT)
.LBB2_269:
	s_or_b64 exec, exec, s[6:7]
	v_lshl_add_u64 v[0:1], v[12:13], 0, v[32:33]
	s_branch .LBB2_273
.LBB2_270:                              ;   in Loop: Header=BB2_273 Depth=1
	s_or_b64 exec, exec, s[6:7]
	v_readfirstlane_b32 s6, v4
	s_cmp_eq_u32 s6, 0
	s_cbranch_scc1 .LBB2_272
; %bb.271:                              ;   in Loop: Header=BB2_273 Depth=1
	s_sleep 1
	s_cbranch_execnz .LBB2_273
	s_branch .LBB2_275
.LBB2_272:
	s_branch .LBB2_275
.LBB2_273:                              ; =>This Inner Loop Header: Depth=1
	v_mov_b32_e32 v4, 1
	s_and_saveexec_b64 s[6:7], s[0:1]
	s_cbranch_execz .LBB2_270
; %bb.274:                              ;   in Loop: Header=BB2_273 Depth=1
	global_load_dword v4, v[14:15], off offset:20 sc0 sc1
	s_waitcnt vmcnt(0)
	buffer_inv sc0 sc1
	v_and_b32_e32 v4, 1, v4
	s_branch .LBB2_270
.LBB2_275:
	global_load_dwordx2 v[0:1], v[0:1], off
	s_and_saveexec_b64 s[6:7], s[0:1]
	s_cbranch_execz .LBB2_278
; %bb.276:
	v_mov_b32_e32 v10, 0
	global_load_dwordx2 v[8:9], v10, s[2:3] offset:40
	global_load_dwordx2 v[12:13], v10, s[2:3] offset:24 sc0 sc1
	global_load_dwordx2 v[14:15], v10, s[2:3]
	s_mov_b64 s[0:1], 0
	s_waitcnt vmcnt(2)
	v_lshl_add_u64 v[4:5], v[8:9], 0, 1
	v_lshl_add_u64 v[16:17], v[4:5], 0, s[4:5]
	v_cmp_eq_u64_e32 vcc, 0, v[16:17]
	s_waitcnt vmcnt(1)
	v_mov_b32_e32 v6, v12
	v_cndmask_b32_e32 v5, v17, v5, vcc
	v_cndmask_b32_e32 v4, v16, v4, vcc
	v_and_b32_e32 v7, v5, v9
	v_and_b32_e32 v8, v4, v8
	v_mul_lo_u32 v7, v7, 24
	v_mul_hi_u32 v9, v8, 24
	v_mul_lo_u32 v8, v8, 24
	v_add_u32_e32 v9, v9, v7
	s_waitcnt vmcnt(0)
	v_lshl_add_u64 v[8:9], v[14:15], 0, v[8:9]
	global_store_dwordx2 v[8:9], v[12:13], off
	v_mov_b32_e32 v7, v13
	buffer_wbl2 sc0 sc1
	s_waitcnt vmcnt(0)
	global_atomic_cmpswap_x2 v[6:7], v10, v[4:7], s[2:3] offset:24 sc0 sc1
	s_waitcnt vmcnt(0)
	v_cmp_ne_u64_e32 vcc, v[6:7], v[12:13]
	s_and_b64 exec, exec, vcc
	s_cbranch_execz .LBB2_278
.LBB2_277:                              ; =>This Inner Loop Header: Depth=1
	s_sleep 1
	global_store_dwordx2 v[8:9], v[6:7], off
	buffer_wbl2 sc0 sc1
	s_waitcnt vmcnt(0)
	global_atomic_cmpswap_x2 v[12:13], v10, v[4:7], s[2:3] offset:24 sc0 sc1
	s_waitcnt vmcnt(0)
	v_cmp_eq_u64_e32 vcc, v[12:13], v[6:7]
	s_or_b64 s[0:1], vcc, s[0:1]
	v_mov_b64_e32 v[6:7], v[12:13]
	s_andn2_b64 exec, exec, s[0:1]
	s_cbranch_execnz .LBB2_277
.LBB2_278:
	s_or_b64 exec, exec, s[6:7]
	s_mov_b64 s[2:3], 0
	v_cmp_ne_u64_e32 vcc, 0, v[2:3]
	v_mov_b64_e32 v[4:5], 0
	s_and_saveexec_b64 s[0:1], vcc
	s_cbranch_execz .LBB2_282
; %bb.279:
	v_lshl_add_u64 v[4:5], v[2:3], 0, -1
.LBB2_280:                              ; =>This Inner Loop Header: Depth=1
	flat_load_ubyte v6, v[4:5] offset:1
	v_lshl_add_u64 v[4:5], v[4:5], 0, 1
	s_waitcnt vmcnt(0) lgkmcnt(0)
	v_cmp_eq_u16_e32 vcc, 0, v6
	s_or_b64 s[2:3], vcc, s[2:3]
	s_andn2_b64 exec, exec, s[2:3]
	s_cbranch_execnz .LBB2_280
; %bb.281:
	s_or_b64 exec, exec, s[2:3]
	v_sub_co_u32_e32 v4, vcc, v4, v2
	s_nop 1
	v_subb_co_u32_e32 v5, vcc, v5, v3, vcc
	v_lshl_add_u64 v[4:5], v[4:5], 0, 1
.LBB2_282:
	s_or_b64 exec, exec, s[0:1]
	s_getpc_b64 s[0:1]
	s_add_u32 s0, s0, __ockl_printf_append_string_n@rel32@lo+4
	s_addc_u32 s1, s1, __ockl_printf_append_string_n@rel32@hi+12
	s_mov_b64 s[20:21], s[8:9]
	s_swappc_b64 s[30:31], s[0:1]
	s_mov_b64 s[8:9], s[20:21]
	v_mov_b32_e32 v2, 0x514
	v_mov_b32_e32 v3, 0
	;; [unrolled: 1-line block ×3, first 2 shown]
	s_getpc_b64 s[0:1]
	s_add_u32 s0, s0, __ockl_printf_append_args@rel32@lo+4
	s_addc_u32 s1, s1, __ockl_printf_append_args@rel32@hi+12
	s_swappc_b64 s[30:31], s[0:1]
	s_trap 2
.Lfunc_end2:
	.size	_ZL14no_device_codePKciS0_iS0_, .Lfunc_end2-_ZL14no_device_codePKciS0_iS0_
                                        ; -- End function
	.section	.AMDGPU.csdata,"",@progbits
; Function info:
; codeLenInByte = 9588
; NumSgprs: 40
; NumVgprs: 41
; NumAgprs: 0
; TotalNumVgprs: 41
; ScratchSize: 16
; MemoryBound: 0
	.section	.text._ZL13mul_mat_f_idsIfLi32ELi14ELi1EEvPKT_PKfPKiS6_S6_Pfiiiiiiiiiiiiii15HIP_vector_typeIjLj3EES9_,"axG",@progbits,_ZL13mul_mat_f_idsIfLi32ELi14ELi1EEvPKT_PKfPKiS6_S6_Pfiiiiiiiiiiiiii15HIP_vector_typeIjLj3EES9_,comdat
	.globl	_ZL13mul_mat_f_idsIfLi32ELi14ELi1EEvPKT_PKfPKiS6_S6_Pfiiiiiiiiiiiiii15HIP_vector_typeIjLj3EES9_ ; -- Begin function _ZL13mul_mat_f_idsIfLi32ELi14ELi1EEvPKT_PKfPKiS6_S6_Pfiiiiiiiiiiiiii15HIP_vector_typeIjLj3EES9_
	.p2align	8
	.type	_ZL13mul_mat_f_idsIfLi32ELi14ELi1EEvPKT_PKfPKiS6_S6_Pfiiiiiiiiiiiiii15HIP_vector_typeIjLj3EES9_,@function
_ZL13mul_mat_f_idsIfLi32ELi14ELi1EEvPKT_PKfPKiS6_S6_Pfiiiiiiiiiiiiii15HIP_vector_typeIjLj3EES9_: ; @_ZL13mul_mat_f_idsIfLi32ELi14ELi1EEvPKT_PKfPKiS6_S6_Pfiiiiiiiiiiiiii15HIP_vector_typeIjLj3EES9_
; %bb.0:
	s_add_u32 s8, s0, 0x80
	s_addc_u32 s9, s1, 0
	s_getpc_b64 s[0:1]
	s_add_u32 s0, s0, __FUNCTION__._ZL13mul_mat_f_idsIfLi32ELi14ELi1EEvPKT_PKfPKiS6_S6_Pfiiiiiiiiiiiiii15HIP_vector_typeIjLj3EES9_@rel32@lo+4
	s_addc_u32 s1, s1, __FUNCTION__._ZL13mul_mat_f_idsIfLi32ELi14ELi1EEvPKT_PKfPKiS6_S6_Pfiiiiiiiiiiiiii15HIP_vector_typeIjLj3EES9_@rel32@hi+12
	v_mov_b32_e32 v0, 0x13b
	v_mov_b32_e32 v1, s0
	;; [unrolled: 1-line block ×3, first 2 shown]
	s_mov_b32 s32, 0
	s_getpc_b64 s[2:3]
	s_add_u32 s2, s2, _ZL14no_device_codePKciS0_iS0_@rel32@lo+4
	s_addc_u32 s3, s3, _ZL14no_device_codePKciS0_iS0_@rel32@hi+12
	s_swappc_b64 s[30:31], s[2:3]
	.section	.rodata,"a",@progbits
	.p2align	6, 0x0
	.amdhsa_kernel _ZL13mul_mat_f_idsIfLi32ELi14ELi1EEvPKT_PKfPKiS6_S6_Pfiiiiiiiiiiiiii15HIP_vector_typeIjLj3EES9_
		.amdhsa_group_segment_fixed_size 0
		.amdhsa_private_segment_fixed_size 16
		.amdhsa_kernarg_size 384
		.amdhsa_user_sgpr_count 2
		.amdhsa_user_sgpr_dispatch_ptr 0
		.amdhsa_user_sgpr_queue_ptr 0
		.amdhsa_user_sgpr_kernarg_segment_ptr 1
		.amdhsa_user_sgpr_dispatch_id 0
		.amdhsa_user_sgpr_kernarg_preload_length 0
		.amdhsa_user_sgpr_kernarg_preload_offset 0
		.amdhsa_user_sgpr_private_segment_size 0
		.amdhsa_uses_dynamic_stack 0
		.amdhsa_enable_private_segment 1
		.amdhsa_system_sgpr_workgroup_id_x 1
		.amdhsa_system_sgpr_workgroup_id_y 0
		.amdhsa_system_sgpr_workgroup_id_z 0
		.amdhsa_system_sgpr_workgroup_info 0
		.amdhsa_system_vgpr_workitem_id 0
		.amdhsa_next_free_vgpr 41
		.amdhsa_next_free_sgpr 34
		.amdhsa_accum_offset 44
		.amdhsa_reserve_vcc 1
		.amdhsa_float_round_mode_32 0
		.amdhsa_float_round_mode_16_64 0
		.amdhsa_float_denorm_mode_32 3
		.amdhsa_float_denorm_mode_16_64 3
		.amdhsa_dx10_clamp 1
		.amdhsa_ieee_mode 1
		.amdhsa_fp16_overflow 0
		.amdhsa_tg_split 0
		.amdhsa_exception_fp_ieee_invalid_op 0
		.amdhsa_exception_fp_denorm_src 0
		.amdhsa_exception_fp_ieee_div_zero 0
		.amdhsa_exception_fp_ieee_overflow 0
		.amdhsa_exception_fp_ieee_underflow 0
		.amdhsa_exception_fp_ieee_inexact 0
		.amdhsa_exception_int_div_zero 0
	.end_amdhsa_kernel
	.section	.text._ZL13mul_mat_f_idsIfLi32ELi14ELi1EEvPKT_PKfPKiS6_S6_Pfiiiiiiiiiiiiii15HIP_vector_typeIjLj3EES9_,"axG",@progbits,_ZL13mul_mat_f_idsIfLi32ELi14ELi1EEvPKT_PKfPKiS6_S6_Pfiiiiiiiiiiiiii15HIP_vector_typeIjLj3EES9_,comdat
.Lfunc_end3:
	.size	_ZL13mul_mat_f_idsIfLi32ELi14ELi1EEvPKT_PKfPKiS6_S6_Pfiiiiiiiiiiiiii15HIP_vector_typeIjLj3EES9_, .Lfunc_end3-_ZL13mul_mat_f_idsIfLi32ELi14ELi1EEvPKT_PKfPKiS6_S6_Pfiiiiiiiiiiiiii15HIP_vector_typeIjLj3EES9_
                                        ; -- End function
	.section	.AMDGPU.csdata,"",@progbits
; Kernel info:
; codeLenInByte = 76
; NumSgprs: 40
; NumVgprs: 41
; NumAgprs: 0
; TotalNumVgprs: 41
; ScratchSize: 16
; MemoryBound: 0
; FloatMode: 240
; IeeeMode: 1
; LDSByteSize: 0 bytes/workgroup (compile time only)
; SGPRBlocks: 4
; VGPRBlocks: 5
; NumSGPRsForWavesPerEU: 40
; NumVGPRsForWavesPerEU: 41
; AccumOffset: 44
; Occupancy: 8
; WaveLimiterHint : 1
; COMPUTE_PGM_RSRC2:SCRATCH_EN: 1
; COMPUTE_PGM_RSRC2:USER_SGPR: 2
; COMPUTE_PGM_RSRC2:TRAP_HANDLER: 0
; COMPUTE_PGM_RSRC2:TGID_X_EN: 1
; COMPUTE_PGM_RSRC2:TGID_Y_EN: 0
; COMPUTE_PGM_RSRC2:TGID_Z_EN: 0
; COMPUTE_PGM_RSRC2:TIDIG_COMP_CNT: 0
; COMPUTE_PGM_RSRC3_GFX90A:ACCUM_OFFSET: 10
; COMPUTE_PGM_RSRC3_GFX90A:TG_SPLIT: 0
	.section	.text._ZL9mul_mat_fIfLi32ELi14ELi1ELb1EEvPKT_PKfPKiPfiiiiiiiiiiiiiiii,"axG",@progbits,_ZL9mul_mat_fIfLi32ELi14ELi1ELb1EEvPKT_PKfPKiPfiiiiiiiiiiiiiiii,comdat
	.globl	_ZL9mul_mat_fIfLi32ELi14ELi1ELb1EEvPKT_PKfPKiPfiiiiiiiiiiiiiiii ; -- Begin function _ZL9mul_mat_fIfLi32ELi14ELi1ELb1EEvPKT_PKfPKiPfiiiiiiiiiiiiiiii
	.p2align	8
	.type	_ZL9mul_mat_fIfLi32ELi14ELi1ELb1EEvPKT_PKfPKiPfiiiiiiiiiiiiiiii,@function
_ZL9mul_mat_fIfLi32ELi14ELi1ELb1EEvPKT_PKfPKiPfiiiiiiiiiiiiiiii: ; @_ZL9mul_mat_fIfLi32ELi14ELi1ELb1EEvPKT_PKfPKiPfiiiiiiiiiiiiiiii
; %bb.0:
	s_add_u32 s8, s0, 0x60
	s_addc_u32 s9, s1, 0
	s_getpc_b64 s[0:1]
	s_add_u32 s0, s0, __FUNCTION__._ZL9mul_mat_fIfLi32ELi14ELi1ELb1EEvPKT_PKfPKiPfiiiiiiiiiiiiiiii@rel32@lo+4
	s_addc_u32 s1, s1, __FUNCTION__._ZL9mul_mat_fIfLi32ELi14ELi1ELb1EEvPKT_PKfPKiPfiiiiiiiiiiiiiiii@rel32@hi+12
	v_mov_b32_e32 v0, 64
	v_mov_b32_e32 v1, s0
	v_mov_b32_e32 v2, s1
	s_mov_b32 s32, 0
	s_getpc_b64 s[2:3]
	s_add_u32 s2, s2, _ZL14no_device_codePKciS0_iS0_@rel32@lo+4
	s_addc_u32 s3, s3, _ZL14no_device_codePKciS0_iS0_@rel32@hi+12
	s_swappc_b64 s[30:31], s[2:3]
	.section	.rodata,"a",@progbits
	.p2align	6, 0x0
	.amdhsa_kernel _ZL9mul_mat_fIfLi32ELi14ELi1ELb1EEvPKT_PKfPKiPfiiiiiiiiiiiiiiii
		.amdhsa_group_segment_fixed_size 0
		.amdhsa_private_segment_fixed_size 16
		.amdhsa_kernarg_size 352
		.amdhsa_user_sgpr_count 2
		.amdhsa_user_sgpr_dispatch_ptr 0
		.amdhsa_user_sgpr_queue_ptr 0
		.amdhsa_user_sgpr_kernarg_segment_ptr 1
		.amdhsa_user_sgpr_dispatch_id 0
		.amdhsa_user_sgpr_kernarg_preload_length 0
		.amdhsa_user_sgpr_kernarg_preload_offset 0
		.amdhsa_user_sgpr_private_segment_size 0
		.amdhsa_uses_dynamic_stack 0
		.amdhsa_enable_private_segment 1
		.amdhsa_system_sgpr_workgroup_id_x 1
		.amdhsa_system_sgpr_workgroup_id_y 0
		.amdhsa_system_sgpr_workgroup_id_z 0
		.amdhsa_system_sgpr_workgroup_info 0
		.amdhsa_system_vgpr_workitem_id 0
		.amdhsa_next_free_vgpr 41
		.amdhsa_next_free_sgpr 34
		.amdhsa_accum_offset 44
		.amdhsa_reserve_vcc 1
		.amdhsa_float_round_mode_32 0
		.amdhsa_float_round_mode_16_64 0
		.amdhsa_float_denorm_mode_32 3
		.amdhsa_float_denorm_mode_16_64 3
		.amdhsa_dx10_clamp 1
		.amdhsa_ieee_mode 1
		.amdhsa_fp16_overflow 0
		.amdhsa_tg_split 0
		.amdhsa_exception_fp_ieee_invalid_op 0
		.amdhsa_exception_fp_denorm_src 0
		.amdhsa_exception_fp_ieee_div_zero 0
		.amdhsa_exception_fp_ieee_overflow 0
		.amdhsa_exception_fp_ieee_underflow 0
		.amdhsa_exception_fp_ieee_inexact 0
		.amdhsa_exception_int_div_zero 0
	.end_amdhsa_kernel
	.section	.text._ZL9mul_mat_fIfLi32ELi14ELi1ELb1EEvPKT_PKfPKiPfiiiiiiiiiiiiiiii,"axG",@progbits,_ZL9mul_mat_fIfLi32ELi14ELi1ELb1EEvPKT_PKfPKiPfiiiiiiiiiiiiiiii,comdat
.Lfunc_end4:
	.size	_ZL9mul_mat_fIfLi32ELi14ELi1ELb1EEvPKT_PKfPKiPfiiiiiiiiiiiiiiii, .Lfunc_end4-_ZL9mul_mat_fIfLi32ELi14ELi1ELb1EEvPKT_PKfPKiPfiiiiiiiiiiiiiiii
                                        ; -- End function
	.section	.AMDGPU.csdata,"",@progbits
; Kernel info:
; codeLenInByte = 72
; NumSgprs: 40
; NumVgprs: 41
; NumAgprs: 0
; TotalNumVgprs: 41
; ScratchSize: 16
; MemoryBound: 0
; FloatMode: 240
; IeeeMode: 1
; LDSByteSize: 0 bytes/workgroup (compile time only)
; SGPRBlocks: 4
; VGPRBlocks: 5
; NumSGPRsForWavesPerEU: 40
; NumVGPRsForWavesPerEU: 41
; AccumOffset: 44
; Occupancy: 8
; WaveLimiterHint : 1
; COMPUTE_PGM_RSRC2:SCRATCH_EN: 1
; COMPUTE_PGM_RSRC2:USER_SGPR: 2
; COMPUTE_PGM_RSRC2:TRAP_HANDLER: 0
; COMPUTE_PGM_RSRC2:TGID_X_EN: 1
; COMPUTE_PGM_RSRC2:TGID_Y_EN: 0
; COMPUTE_PGM_RSRC2:TGID_Z_EN: 0
; COMPUTE_PGM_RSRC2:TIDIG_COMP_CNT: 0
; COMPUTE_PGM_RSRC3_GFX90A:ACCUM_OFFSET: 10
; COMPUTE_PGM_RSRC3_GFX90A:TG_SPLIT: 0
	.section	.text._ZL9mul_mat_fIfLi32ELi14ELi1ELb0EEvPKT_PKfPKiPfiiiiiiiiiiiiiiii,"axG",@progbits,_ZL9mul_mat_fIfLi32ELi14ELi1ELb0EEvPKT_PKfPKiPfiiiiiiiiiiiiiiii,comdat
	.globl	_ZL9mul_mat_fIfLi32ELi14ELi1ELb0EEvPKT_PKfPKiPfiiiiiiiiiiiiiiii ; -- Begin function _ZL9mul_mat_fIfLi32ELi14ELi1ELb0EEvPKT_PKfPKiPfiiiiiiiiiiiiiiii
	.p2align	8
	.type	_ZL9mul_mat_fIfLi32ELi14ELi1ELb0EEvPKT_PKfPKiPfiiiiiiiiiiiiiiii,@function
_ZL9mul_mat_fIfLi32ELi14ELi1ELb0EEvPKT_PKfPKiPfiiiiiiiiiiiiiiii: ; @_ZL9mul_mat_fIfLi32ELi14ELi1ELb0EEvPKT_PKfPKiPfiiiiiiiiiiiiiiii
; %bb.0:
	s_add_u32 s8, s0, 0x60
	s_addc_u32 s9, s1, 0
	s_getpc_b64 s[0:1]
	s_add_u32 s0, s0, __FUNCTION__._ZL9mul_mat_fIfLi32ELi14ELi1ELb1EEvPKT_PKfPKiPfiiiiiiiiiiiiiiii@rel32@lo+4
	s_addc_u32 s1, s1, __FUNCTION__._ZL9mul_mat_fIfLi32ELi14ELi1ELb1EEvPKT_PKfPKiPfiiiiiiiiiiiiiiii@rel32@hi+12
	v_mov_b32_e32 v0, 64
	v_mov_b32_e32 v1, s0
	;; [unrolled: 1-line block ×3, first 2 shown]
	s_mov_b32 s32, 0
	s_getpc_b64 s[2:3]
	s_add_u32 s2, s2, _ZL14no_device_codePKciS0_iS0_@rel32@lo+4
	s_addc_u32 s3, s3, _ZL14no_device_codePKciS0_iS0_@rel32@hi+12
	s_swappc_b64 s[30:31], s[2:3]
	.section	.rodata,"a",@progbits
	.p2align	6, 0x0
	.amdhsa_kernel _ZL9mul_mat_fIfLi32ELi14ELi1ELb0EEvPKT_PKfPKiPfiiiiiiiiiiiiiiii
		.amdhsa_group_segment_fixed_size 0
		.amdhsa_private_segment_fixed_size 16
		.amdhsa_kernarg_size 352
		.amdhsa_user_sgpr_count 2
		.amdhsa_user_sgpr_dispatch_ptr 0
		.amdhsa_user_sgpr_queue_ptr 0
		.amdhsa_user_sgpr_kernarg_segment_ptr 1
		.amdhsa_user_sgpr_dispatch_id 0
		.amdhsa_user_sgpr_kernarg_preload_length 0
		.amdhsa_user_sgpr_kernarg_preload_offset 0
		.amdhsa_user_sgpr_private_segment_size 0
		.amdhsa_uses_dynamic_stack 0
		.amdhsa_enable_private_segment 1
		.amdhsa_system_sgpr_workgroup_id_x 1
		.amdhsa_system_sgpr_workgroup_id_y 0
		.amdhsa_system_sgpr_workgroup_id_z 0
		.amdhsa_system_sgpr_workgroup_info 0
		.amdhsa_system_vgpr_workitem_id 0
		.amdhsa_next_free_vgpr 41
		.amdhsa_next_free_sgpr 34
		.amdhsa_accum_offset 44
		.amdhsa_reserve_vcc 1
		.amdhsa_float_round_mode_32 0
		.amdhsa_float_round_mode_16_64 0
		.amdhsa_float_denorm_mode_32 3
		.amdhsa_float_denorm_mode_16_64 3
		.amdhsa_dx10_clamp 1
		.amdhsa_ieee_mode 1
		.amdhsa_fp16_overflow 0
		.amdhsa_tg_split 0
		.amdhsa_exception_fp_ieee_invalid_op 0
		.amdhsa_exception_fp_denorm_src 0
		.amdhsa_exception_fp_ieee_div_zero 0
		.amdhsa_exception_fp_ieee_overflow 0
		.amdhsa_exception_fp_ieee_underflow 0
		.amdhsa_exception_fp_ieee_inexact 0
		.amdhsa_exception_int_div_zero 0
	.end_amdhsa_kernel
	.section	.text._ZL9mul_mat_fIfLi32ELi14ELi1ELb0EEvPKT_PKfPKiPfiiiiiiiiiiiiiiii,"axG",@progbits,_ZL9mul_mat_fIfLi32ELi14ELi1ELb0EEvPKT_PKfPKiPfiiiiiiiiiiiiiiii,comdat
.Lfunc_end5:
	.size	_ZL9mul_mat_fIfLi32ELi14ELi1ELb0EEvPKT_PKfPKiPfiiiiiiiiiiiiiiii, .Lfunc_end5-_ZL9mul_mat_fIfLi32ELi14ELi1ELb0EEvPKT_PKfPKiPfiiiiiiiiiiiiiiii
                                        ; -- End function
	.section	.AMDGPU.csdata,"",@progbits
; Kernel info:
; codeLenInByte = 72
; NumSgprs: 40
; NumVgprs: 41
; NumAgprs: 0
; TotalNumVgprs: 41
; ScratchSize: 16
; MemoryBound: 0
; FloatMode: 240
; IeeeMode: 1
; LDSByteSize: 0 bytes/workgroup (compile time only)
; SGPRBlocks: 4
; VGPRBlocks: 5
; NumSGPRsForWavesPerEU: 40
; NumVGPRsForWavesPerEU: 41
; AccumOffset: 44
; Occupancy: 8
; WaveLimiterHint : 1
; COMPUTE_PGM_RSRC2:SCRATCH_EN: 1
; COMPUTE_PGM_RSRC2:USER_SGPR: 2
; COMPUTE_PGM_RSRC2:TRAP_HANDLER: 0
; COMPUTE_PGM_RSRC2:TGID_X_EN: 1
; COMPUTE_PGM_RSRC2:TGID_Y_EN: 0
; COMPUTE_PGM_RSRC2:TGID_Z_EN: 0
; COMPUTE_PGM_RSRC2:TIDIG_COMP_CNT: 0
; COMPUTE_PGM_RSRC3_GFX90A:ACCUM_OFFSET: 10
; COMPUTE_PGM_RSRC3_GFX90A:TG_SPLIT: 0
	.section	.text._ZL13mul_mat_f_idsIfLi32ELi14ELi2EEvPKT_PKfPKiS6_S6_Pfiiiiiiiiiiiiii15HIP_vector_typeIjLj3EES9_,"axG",@progbits,_ZL13mul_mat_f_idsIfLi32ELi14ELi2EEvPKT_PKfPKiS6_S6_Pfiiiiiiiiiiiiii15HIP_vector_typeIjLj3EES9_,comdat
	.globl	_ZL13mul_mat_f_idsIfLi32ELi14ELi2EEvPKT_PKfPKiS6_S6_Pfiiiiiiiiiiiiii15HIP_vector_typeIjLj3EES9_ ; -- Begin function _ZL13mul_mat_f_idsIfLi32ELi14ELi2EEvPKT_PKfPKiS6_S6_Pfiiiiiiiiiiiiii15HIP_vector_typeIjLj3EES9_
	.p2align	8
	.type	_ZL13mul_mat_f_idsIfLi32ELi14ELi2EEvPKT_PKfPKiS6_S6_Pfiiiiiiiiiiiiii15HIP_vector_typeIjLj3EES9_,@function
_ZL13mul_mat_f_idsIfLi32ELi14ELi2EEvPKT_PKfPKiS6_S6_Pfiiiiiiiiiiiiii15HIP_vector_typeIjLj3EES9_: ; @_ZL13mul_mat_f_idsIfLi32ELi14ELi2EEvPKT_PKfPKiS6_S6_Pfiiiiiiiiiiiiii15HIP_vector_typeIjLj3EES9_
; %bb.0:
	s_add_u32 s8, s0, 0x80
	s_addc_u32 s9, s1, 0
	s_getpc_b64 s[0:1]
	s_add_u32 s0, s0, __FUNCTION__._ZL13mul_mat_f_idsIfLi32ELi14ELi1EEvPKT_PKfPKiS6_S6_Pfiiiiiiiiiiiiii15HIP_vector_typeIjLj3EES9_@rel32@lo+4
	s_addc_u32 s1, s1, __FUNCTION__._ZL13mul_mat_f_idsIfLi32ELi14ELi1EEvPKT_PKfPKiS6_S6_Pfiiiiiiiiiiiiii15HIP_vector_typeIjLj3EES9_@rel32@hi+12
	v_mov_b32_e32 v0, 0x13b
	v_mov_b32_e32 v1, s0
	;; [unrolled: 1-line block ×3, first 2 shown]
	s_mov_b32 s32, 0
	s_getpc_b64 s[2:3]
	s_add_u32 s2, s2, _ZL14no_device_codePKciS0_iS0_@rel32@lo+4
	s_addc_u32 s3, s3, _ZL14no_device_codePKciS0_iS0_@rel32@hi+12
	s_swappc_b64 s[30:31], s[2:3]
	.section	.rodata,"a",@progbits
	.p2align	6, 0x0
	.amdhsa_kernel _ZL13mul_mat_f_idsIfLi32ELi14ELi2EEvPKT_PKfPKiS6_S6_Pfiiiiiiiiiiiiii15HIP_vector_typeIjLj3EES9_
		.amdhsa_group_segment_fixed_size 0
		.amdhsa_private_segment_fixed_size 16
		.amdhsa_kernarg_size 384
		.amdhsa_user_sgpr_count 2
		.amdhsa_user_sgpr_dispatch_ptr 0
		.amdhsa_user_sgpr_queue_ptr 0
		.amdhsa_user_sgpr_kernarg_segment_ptr 1
		.amdhsa_user_sgpr_dispatch_id 0
		.amdhsa_user_sgpr_kernarg_preload_length 0
		.amdhsa_user_sgpr_kernarg_preload_offset 0
		.amdhsa_user_sgpr_private_segment_size 0
		.amdhsa_uses_dynamic_stack 0
		.amdhsa_enable_private_segment 1
		.amdhsa_system_sgpr_workgroup_id_x 1
		.amdhsa_system_sgpr_workgroup_id_y 0
		.amdhsa_system_sgpr_workgroup_id_z 0
		.amdhsa_system_sgpr_workgroup_info 0
		.amdhsa_system_vgpr_workitem_id 0
		.amdhsa_next_free_vgpr 41
		.amdhsa_next_free_sgpr 34
		.amdhsa_accum_offset 44
		.amdhsa_reserve_vcc 1
		.amdhsa_float_round_mode_32 0
		.amdhsa_float_round_mode_16_64 0
		.amdhsa_float_denorm_mode_32 3
		.amdhsa_float_denorm_mode_16_64 3
		.amdhsa_dx10_clamp 1
		.amdhsa_ieee_mode 1
		.amdhsa_fp16_overflow 0
		.amdhsa_tg_split 0
		.amdhsa_exception_fp_ieee_invalid_op 0
		.amdhsa_exception_fp_denorm_src 0
		.amdhsa_exception_fp_ieee_div_zero 0
		.amdhsa_exception_fp_ieee_overflow 0
		.amdhsa_exception_fp_ieee_underflow 0
		.amdhsa_exception_fp_ieee_inexact 0
		.amdhsa_exception_int_div_zero 0
	.end_amdhsa_kernel
	.section	.text._ZL13mul_mat_f_idsIfLi32ELi14ELi2EEvPKT_PKfPKiS6_S6_Pfiiiiiiiiiiiiii15HIP_vector_typeIjLj3EES9_,"axG",@progbits,_ZL13mul_mat_f_idsIfLi32ELi14ELi2EEvPKT_PKfPKiS6_S6_Pfiiiiiiiiiiiiii15HIP_vector_typeIjLj3EES9_,comdat
.Lfunc_end6:
	.size	_ZL13mul_mat_f_idsIfLi32ELi14ELi2EEvPKT_PKfPKiS6_S6_Pfiiiiiiiiiiiiii15HIP_vector_typeIjLj3EES9_, .Lfunc_end6-_ZL13mul_mat_f_idsIfLi32ELi14ELi2EEvPKT_PKfPKiS6_S6_Pfiiiiiiiiiiiiii15HIP_vector_typeIjLj3EES9_
                                        ; -- End function
	.section	.AMDGPU.csdata,"",@progbits
; Kernel info:
; codeLenInByte = 76
; NumSgprs: 40
; NumVgprs: 41
; NumAgprs: 0
; TotalNumVgprs: 41
; ScratchSize: 16
; MemoryBound: 0
; FloatMode: 240
; IeeeMode: 1
; LDSByteSize: 0 bytes/workgroup (compile time only)
; SGPRBlocks: 4
; VGPRBlocks: 5
; NumSGPRsForWavesPerEU: 40
; NumVGPRsForWavesPerEU: 41
; AccumOffset: 44
; Occupancy: 8
; WaveLimiterHint : 1
; COMPUTE_PGM_RSRC2:SCRATCH_EN: 1
; COMPUTE_PGM_RSRC2:USER_SGPR: 2
; COMPUTE_PGM_RSRC2:TRAP_HANDLER: 0
; COMPUTE_PGM_RSRC2:TGID_X_EN: 1
; COMPUTE_PGM_RSRC2:TGID_Y_EN: 0
; COMPUTE_PGM_RSRC2:TGID_Z_EN: 0
; COMPUTE_PGM_RSRC2:TIDIG_COMP_CNT: 0
; COMPUTE_PGM_RSRC3_GFX90A:ACCUM_OFFSET: 10
; COMPUTE_PGM_RSRC3_GFX90A:TG_SPLIT: 0
	.section	.text._ZL9mul_mat_fIfLi32ELi14ELi2ELb1EEvPKT_PKfPKiPfiiiiiiiiiiiiiiii,"axG",@progbits,_ZL9mul_mat_fIfLi32ELi14ELi2ELb1EEvPKT_PKfPKiPfiiiiiiiiiiiiiiii,comdat
	.globl	_ZL9mul_mat_fIfLi32ELi14ELi2ELb1EEvPKT_PKfPKiPfiiiiiiiiiiiiiiii ; -- Begin function _ZL9mul_mat_fIfLi32ELi14ELi2ELb1EEvPKT_PKfPKiPfiiiiiiiiiiiiiiii
	.p2align	8
	.type	_ZL9mul_mat_fIfLi32ELi14ELi2ELb1EEvPKT_PKfPKiPfiiiiiiiiiiiiiiii,@function
_ZL9mul_mat_fIfLi32ELi14ELi2ELb1EEvPKT_PKfPKiPfiiiiiiiiiiiiiiii: ; @_ZL9mul_mat_fIfLi32ELi14ELi2ELb1EEvPKT_PKfPKiPfiiiiiiiiiiiiiiii
; %bb.0:
	s_add_u32 s8, s0, 0x60
	s_addc_u32 s9, s1, 0
	s_getpc_b64 s[0:1]
	s_add_u32 s0, s0, __FUNCTION__._ZL9mul_mat_fIfLi32ELi14ELi1ELb1EEvPKT_PKfPKiPfiiiiiiiiiiiiiiii@rel32@lo+4
	s_addc_u32 s1, s1, __FUNCTION__._ZL9mul_mat_fIfLi32ELi14ELi1ELb1EEvPKT_PKfPKiPfiiiiiiiiiiiiiiii@rel32@hi+12
	v_mov_b32_e32 v0, 64
	v_mov_b32_e32 v1, s0
	;; [unrolled: 1-line block ×3, first 2 shown]
	s_mov_b32 s32, 0
	s_getpc_b64 s[2:3]
	s_add_u32 s2, s2, _ZL14no_device_codePKciS0_iS0_@rel32@lo+4
	s_addc_u32 s3, s3, _ZL14no_device_codePKciS0_iS0_@rel32@hi+12
	s_swappc_b64 s[30:31], s[2:3]
	.section	.rodata,"a",@progbits
	.p2align	6, 0x0
	.amdhsa_kernel _ZL9mul_mat_fIfLi32ELi14ELi2ELb1EEvPKT_PKfPKiPfiiiiiiiiiiiiiiii
		.amdhsa_group_segment_fixed_size 0
		.amdhsa_private_segment_fixed_size 16
		.amdhsa_kernarg_size 352
		.amdhsa_user_sgpr_count 2
		.amdhsa_user_sgpr_dispatch_ptr 0
		.amdhsa_user_sgpr_queue_ptr 0
		.amdhsa_user_sgpr_kernarg_segment_ptr 1
		.amdhsa_user_sgpr_dispatch_id 0
		.amdhsa_user_sgpr_kernarg_preload_length 0
		.amdhsa_user_sgpr_kernarg_preload_offset 0
		.amdhsa_user_sgpr_private_segment_size 0
		.amdhsa_uses_dynamic_stack 0
		.amdhsa_enable_private_segment 1
		.amdhsa_system_sgpr_workgroup_id_x 1
		.amdhsa_system_sgpr_workgroup_id_y 0
		.amdhsa_system_sgpr_workgroup_id_z 0
		.amdhsa_system_sgpr_workgroup_info 0
		.amdhsa_system_vgpr_workitem_id 0
		.amdhsa_next_free_vgpr 41
		.amdhsa_next_free_sgpr 34
		.amdhsa_accum_offset 44
		.amdhsa_reserve_vcc 1
		.amdhsa_float_round_mode_32 0
		.amdhsa_float_round_mode_16_64 0
		.amdhsa_float_denorm_mode_32 3
		.amdhsa_float_denorm_mode_16_64 3
		.amdhsa_dx10_clamp 1
		.amdhsa_ieee_mode 1
		.amdhsa_fp16_overflow 0
		.amdhsa_tg_split 0
		.amdhsa_exception_fp_ieee_invalid_op 0
		.amdhsa_exception_fp_denorm_src 0
		.amdhsa_exception_fp_ieee_div_zero 0
		.amdhsa_exception_fp_ieee_overflow 0
		.amdhsa_exception_fp_ieee_underflow 0
		.amdhsa_exception_fp_ieee_inexact 0
		.amdhsa_exception_int_div_zero 0
	.end_amdhsa_kernel
	.section	.text._ZL9mul_mat_fIfLi32ELi14ELi2ELb1EEvPKT_PKfPKiPfiiiiiiiiiiiiiiii,"axG",@progbits,_ZL9mul_mat_fIfLi32ELi14ELi2ELb1EEvPKT_PKfPKiPfiiiiiiiiiiiiiiii,comdat
.Lfunc_end7:
	.size	_ZL9mul_mat_fIfLi32ELi14ELi2ELb1EEvPKT_PKfPKiPfiiiiiiiiiiiiiiii, .Lfunc_end7-_ZL9mul_mat_fIfLi32ELi14ELi2ELb1EEvPKT_PKfPKiPfiiiiiiiiiiiiiiii
                                        ; -- End function
	.section	.AMDGPU.csdata,"",@progbits
; Kernel info:
; codeLenInByte = 72
; NumSgprs: 40
; NumVgprs: 41
; NumAgprs: 0
; TotalNumVgprs: 41
; ScratchSize: 16
; MemoryBound: 0
; FloatMode: 240
; IeeeMode: 1
; LDSByteSize: 0 bytes/workgroup (compile time only)
; SGPRBlocks: 4
; VGPRBlocks: 5
; NumSGPRsForWavesPerEU: 40
; NumVGPRsForWavesPerEU: 41
; AccumOffset: 44
; Occupancy: 8
; WaveLimiterHint : 1
; COMPUTE_PGM_RSRC2:SCRATCH_EN: 1
; COMPUTE_PGM_RSRC2:USER_SGPR: 2
; COMPUTE_PGM_RSRC2:TRAP_HANDLER: 0
; COMPUTE_PGM_RSRC2:TGID_X_EN: 1
; COMPUTE_PGM_RSRC2:TGID_Y_EN: 0
; COMPUTE_PGM_RSRC2:TGID_Z_EN: 0
; COMPUTE_PGM_RSRC2:TIDIG_COMP_CNT: 0
; COMPUTE_PGM_RSRC3_GFX90A:ACCUM_OFFSET: 10
; COMPUTE_PGM_RSRC3_GFX90A:TG_SPLIT: 0
	.section	.text._ZL9mul_mat_fIfLi32ELi14ELi2ELb0EEvPKT_PKfPKiPfiiiiiiiiiiiiiiii,"axG",@progbits,_ZL9mul_mat_fIfLi32ELi14ELi2ELb0EEvPKT_PKfPKiPfiiiiiiiiiiiiiiii,comdat
	.globl	_ZL9mul_mat_fIfLi32ELi14ELi2ELb0EEvPKT_PKfPKiPfiiiiiiiiiiiiiiii ; -- Begin function _ZL9mul_mat_fIfLi32ELi14ELi2ELb0EEvPKT_PKfPKiPfiiiiiiiiiiiiiiii
	.p2align	8
	.type	_ZL9mul_mat_fIfLi32ELi14ELi2ELb0EEvPKT_PKfPKiPfiiiiiiiiiiiiiiii,@function
_ZL9mul_mat_fIfLi32ELi14ELi2ELb0EEvPKT_PKfPKiPfiiiiiiiiiiiiiiii: ; @_ZL9mul_mat_fIfLi32ELi14ELi2ELb0EEvPKT_PKfPKiPfiiiiiiiiiiiiiiii
; %bb.0:
	s_add_u32 s8, s0, 0x60
	s_addc_u32 s9, s1, 0
	s_getpc_b64 s[0:1]
	s_add_u32 s0, s0, __FUNCTION__._ZL9mul_mat_fIfLi32ELi14ELi1ELb1EEvPKT_PKfPKiPfiiiiiiiiiiiiiiii@rel32@lo+4
	s_addc_u32 s1, s1, __FUNCTION__._ZL9mul_mat_fIfLi32ELi14ELi1ELb1EEvPKT_PKfPKiPfiiiiiiiiiiiiiiii@rel32@hi+12
	v_mov_b32_e32 v0, 64
	v_mov_b32_e32 v1, s0
	v_mov_b32_e32 v2, s1
	s_mov_b32 s32, 0
	s_getpc_b64 s[2:3]
	s_add_u32 s2, s2, _ZL14no_device_codePKciS0_iS0_@rel32@lo+4
	s_addc_u32 s3, s3, _ZL14no_device_codePKciS0_iS0_@rel32@hi+12
	s_swappc_b64 s[30:31], s[2:3]
	.section	.rodata,"a",@progbits
	.p2align	6, 0x0
	.amdhsa_kernel _ZL9mul_mat_fIfLi32ELi14ELi2ELb0EEvPKT_PKfPKiPfiiiiiiiiiiiiiiii
		.amdhsa_group_segment_fixed_size 0
		.amdhsa_private_segment_fixed_size 16
		.amdhsa_kernarg_size 352
		.amdhsa_user_sgpr_count 2
		.amdhsa_user_sgpr_dispatch_ptr 0
		.amdhsa_user_sgpr_queue_ptr 0
		.amdhsa_user_sgpr_kernarg_segment_ptr 1
		.amdhsa_user_sgpr_dispatch_id 0
		.amdhsa_user_sgpr_kernarg_preload_length 0
		.amdhsa_user_sgpr_kernarg_preload_offset 0
		.amdhsa_user_sgpr_private_segment_size 0
		.amdhsa_uses_dynamic_stack 0
		.amdhsa_enable_private_segment 1
		.amdhsa_system_sgpr_workgroup_id_x 1
		.amdhsa_system_sgpr_workgroup_id_y 0
		.amdhsa_system_sgpr_workgroup_id_z 0
		.amdhsa_system_sgpr_workgroup_info 0
		.amdhsa_system_vgpr_workitem_id 0
		.amdhsa_next_free_vgpr 41
		.amdhsa_next_free_sgpr 34
		.amdhsa_accum_offset 44
		.amdhsa_reserve_vcc 1
		.amdhsa_float_round_mode_32 0
		.amdhsa_float_round_mode_16_64 0
		.amdhsa_float_denorm_mode_32 3
		.amdhsa_float_denorm_mode_16_64 3
		.amdhsa_dx10_clamp 1
		.amdhsa_ieee_mode 1
		.amdhsa_fp16_overflow 0
		.amdhsa_tg_split 0
		.amdhsa_exception_fp_ieee_invalid_op 0
		.amdhsa_exception_fp_denorm_src 0
		.amdhsa_exception_fp_ieee_div_zero 0
		.amdhsa_exception_fp_ieee_overflow 0
		.amdhsa_exception_fp_ieee_underflow 0
		.amdhsa_exception_fp_ieee_inexact 0
		.amdhsa_exception_int_div_zero 0
	.end_amdhsa_kernel
	.section	.text._ZL9mul_mat_fIfLi32ELi14ELi2ELb0EEvPKT_PKfPKiPfiiiiiiiiiiiiiiii,"axG",@progbits,_ZL9mul_mat_fIfLi32ELi14ELi2ELb0EEvPKT_PKfPKiPfiiiiiiiiiiiiiiii,comdat
.Lfunc_end8:
	.size	_ZL9mul_mat_fIfLi32ELi14ELi2ELb0EEvPKT_PKfPKiPfiiiiiiiiiiiiiiii, .Lfunc_end8-_ZL9mul_mat_fIfLi32ELi14ELi2ELb0EEvPKT_PKfPKiPfiiiiiiiiiiiiiiii
                                        ; -- End function
	.section	.AMDGPU.csdata,"",@progbits
; Kernel info:
; codeLenInByte = 72
; NumSgprs: 40
; NumVgprs: 41
; NumAgprs: 0
; TotalNumVgprs: 41
; ScratchSize: 16
; MemoryBound: 0
; FloatMode: 240
; IeeeMode: 1
; LDSByteSize: 0 bytes/workgroup (compile time only)
; SGPRBlocks: 4
; VGPRBlocks: 5
; NumSGPRsForWavesPerEU: 40
; NumVGPRsForWavesPerEU: 41
; AccumOffset: 44
; Occupancy: 8
; WaveLimiterHint : 1
; COMPUTE_PGM_RSRC2:SCRATCH_EN: 1
; COMPUTE_PGM_RSRC2:USER_SGPR: 2
; COMPUTE_PGM_RSRC2:TRAP_HANDLER: 0
; COMPUTE_PGM_RSRC2:TGID_X_EN: 1
; COMPUTE_PGM_RSRC2:TGID_Y_EN: 0
; COMPUTE_PGM_RSRC2:TGID_Z_EN: 0
; COMPUTE_PGM_RSRC2:TIDIG_COMP_CNT: 0
; COMPUTE_PGM_RSRC3_GFX90A:ACCUM_OFFSET: 10
; COMPUTE_PGM_RSRC3_GFX90A:TG_SPLIT: 0
	.section	.text._ZL13mul_mat_f_idsIfLi32ELi14ELi3EEvPKT_PKfPKiS6_S6_Pfiiiiiiiiiiiiii15HIP_vector_typeIjLj3EES9_,"axG",@progbits,_ZL13mul_mat_f_idsIfLi32ELi14ELi3EEvPKT_PKfPKiS6_S6_Pfiiiiiiiiiiiiii15HIP_vector_typeIjLj3EES9_,comdat
	.globl	_ZL13mul_mat_f_idsIfLi32ELi14ELi3EEvPKT_PKfPKiS6_S6_Pfiiiiiiiiiiiiii15HIP_vector_typeIjLj3EES9_ ; -- Begin function _ZL13mul_mat_f_idsIfLi32ELi14ELi3EEvPKT_PKfPKiS6_S6_Pfiiiiiiiiiiiiii15HIP_vector_typeIjLj3EES9_
	.p2align	8
	.type	_ZL13mul_mat_f_idsIfLi32ELi14ELi3EEvPKT_PKfPKiS6_S6_Pfiiiiiiiiiiiiii15HIP_vector_typeIjLj3EES9_,@function
_ZL13mul_mat_f_idsIfLi32ELi14ELi3EEvPKT_PKfPKiS6_S6_Pfiiiiiiiiiiiiii15HIP_vector_typeIjLj3EES9_: ; @_ZL13mul_mat_f_idsIfLi32ELi14ELi3EEvPKT_PKfPKiS6_S6_Pfiiiiiiiiiiiiii15HIP_vector_typeIjLj3EES9_
; %bb.0:
	s_add_u32 s8, s0, 0x80
	s_addc_u32 s9, s1, 0
	s_getpc_b64 s[0:1]
	s_add_u32 s0, s0, __FUNCTION__._ZL13mul_mat_f_idsIfLi32ELi14ELi1EEvPKT_PKfPKiS6_S6_Pfiiiiiiiiiiiiii15HIP_vector_typeIjLj3EES9_@rel32@lo+4
	s_addc_u32 s1, s1, __FUNCTION__._ZL13mul_mat_f_idsIfLi32ELi14ELi1EEvPKT_PKfPKiS6_S6_Pfiiiiiiiiiiiiii15HIP_vector_typeIjLj3EES9_@rel32@hi+12
	v_mov_b32_e32 v0, 0x13b
	v_mov_b32_e32 v1, s0
	;; [unrolled: 1-line block ×3, first 2 shown]
	s_mov_b32 s32, 0
	s_getpc_b64 s[2:3]
	s_add_u32 s2, s2, _ZL14no_device_codePKciS0_iS0_@rel32@lo+4
	s_addc_u32 s3, s3, _ZL14no_device_codePKciS0_iS0_@rel32@hi+12
	s_swappc_b64 s[30:31], s[2:3]
	.section	.rodata,"a",@progbits
	.p2align	6, 0x0
	.amdhsa_kernel _ZL13mul_mat_f_idsIfLi32ELi14ELi3EEvPKT_PKfPKiS6_S6_Pfiiiiiiiiiiiiii15HIP_vector_typeIjLj3EES9_
		.amdhsa_group_segment_fixed_size 0
		.amdhsa_private_segment_fixed_size 16
		.amdhsa_kernarg_size 384
		.amdhsa_user_sgpr_count 2
		.amdhsa_user_sgpr_dispatch_ptr 0
		.amdhsa_user_sgpr_queue_ptr 0
		.amdhsa_user_sgpr_kernarg_segment_ptr 1
		.amdhsa_user_sgpr_dispatch_id 0
		.amdhsa_user_sgpr_kernarg_preload_length 0
		.amdhsa_user_sgpr_kernarg_preload_offset 0
		.amdhsa_user_sgpr_private_segment_size 0
		.amdhsa_uses_dynamic_stack 0
		.amdhsa_enable_private_segment 1
		.amdhsa_system_sgpr_workgroup_id_x 1
		.amdhsa_system_sgpr_workgroup_id_y 0
		.amdhsa_system_sgpr_workgroup_id_z 0
		.amdhsa_system_sgpr_workgroup_info 0
		.amdhsa_system_vgpr_workitem_id 0
		.amdhsa_next_free_vgpr 41
		.amdhsa_next_free_sgpr 34
		.amdhsa_accum_offset 44
		.amdhsa_reserve_vcc 1
		.amdhsa_float_round_mode_32 0
		.amdhsa_float_round_mode_16_64 0
		.amdhsa_float_denorm_mode_32 3
		.amdhsa_float_denorm_mode_16_64 3
		.amdhsa_dx10_clamp 1
		.amdhsa_ieee_mode 1
		.amdhsa_fp16_overflow 0
		.amdhsa_tg_split 0
		.amdhsa_exception_fp_ieee_invalid_op 0
		.amdhsa_exception_fp_denorm_src 0
		.amdhsa_exception_fp_ieee_div_zero 0
		.amdhsa_exception_fp_ieee_overflow 0
		.amdhsa_exception_fp_ieee_underflow 0
		.amdhsa_exception_fp_ieee_inexact 0
		.amdhsa_exception_int_div_zero 0
	.end_amdhsa_kernel
	.section	.text._ZL13mul_mat_f_idsIfLi32ELi14ELi3EEvPKT_PKfPKiS6_S6_Pfiiiiiiiiiiiiii15HIP_vector_typeIjLj3EES9_,"axG",@progbits,_ZL13mul_mat_f_idsIfLi32ELi14ELi3EEvPKT_PKfPKiS6_S6_Pfiiiiiiiiiiiiii15HIP_vector_typeIjLj3EES9_,comdat
.Lfunc_end9:
	.size	_ZL13mul_mat_f_idsIfLi32ELi14ELi3EEvPKT_PKfPKiS6_S6_Pfiiiiiiiiiiiiii15HIP_vector_typeIjLj3EES9_, .Lfunc_end9-_ZL13mul_mat_f_idsIfLi32ELi14ELi3EEvPKT_PKfPKiS6_S6_Pfiiiiiiiiiiiiii15HIP_vector_typeIjLj3EES9_
                                        ; -- End function
	.section	.AMDGPU.csdata,"",@progbits
; Kernel info:
; codeLenInByte = 76
; NumSgprs: 40
; NumVgprs: 41
; NumAgprs: 0
; TotalNumVgprs: 41
; ScratchSize: 16
; MemoryBound: 0
; FloatMode: 240
; IeeeMode: 1
; LDSByteSize: 0 bytes/workgroup (compile time only)
; SGPRBlocks: 4
; VGPRBlocks: 5
; NumSGPRsForWavesPerEU: 40
; NumVGPRsForWavesPerEU: 41
; AccumOffset: 44
; Occupancy: 8
; WaveLimiterHint : 1
; COMPUTE_PGM_RSRC2:SCRATCH_EN: 1
; COMPUTE_PGM_RSRC2:USER_SGPR: 2
; COMPUTE_PGM_RSRC2:TRAP_HANDLER: 0
; COMPUTE_PGM_RSRC2:TGID_X_EN: 1
; COMPUTE_PGM_RSRC2:TGID_Y_EN: 0
; COMPUTE_PGM_RSRC2:TGID_Z_EN: 0
; COMPUTE_PGM_RSRC2:TIDIG_COMP_CNT: 0
; COMPUTE_PGM_RSRC3_GFX90A:ACCUM_OFFSET: 10
; COMPUTE_PGM_RSRC3_GFX90A:TG_SPLIT: 0
	.section	.text._ZL9mul_mat_fIfLi32ELi14ELi3ELb1EEvPKT_PKfPKiPfiiiiiiiiiiiiiiii,"axG",@progbits,_ZL9mul_mat_fIfLi32ELi14ELi3ELb1EEvPKT_PKfPKiPfiiiiiiiiiiiiiiii,comdat
	.globl	_ZL9mul_mat_fIfLi32ELi14ELi3ELb1EEvPKT_PKfPKiPfiiiiiiiiiiiiiiii ; -- Begin function _ZL9mul_mat_fIfLi32ELi14ELi3ELb1EEvPKT_PKfPKiPfiiiiiiiiiiiiiiii
	.p2align	8
	.type	_ZL9mul_mat_fIfLi32ELi14ELi3ELb1EEvPKT_PKfPKiPfiiiiiiiiiiiiiiii,@function
_ZL9mul_mat_fIfLi32ELi14ELi3ELb1EEvPKT_PKfPKiPfiiiiiiiiiiiiiiii: ; @_ZL9mul_mat_fIfLi32ELi14ELi3ELb1EEvPKT_PKfPKiPfiiiiiiiiiiiiiiii
; %bb.0:
	s_add_u32 s8, s0, 0x60
	s_addc_u32 s9, s1, 0
	s_getpc_b64 s[0:1]
	s_add_u32 s0, s0, __FUNCTION__._ZL9mul_mat_fIfLi32ELi14ELi1ELb1EEvPKT_PKfPKiPfiiiiiiiiiiiiiiii@rel32@lo+4
	s_addc_u32 s1, s1, __FUNCTION__._ZL9mul_mat_fIfLi32ELi14ELi1ELb1EEvPKT_PKfPKiPfiiiiiiiiiiiiiiii@rel32@hi+12
	v_mov_b32_e32 v0, 64
	v_mov_b32_e32 v1, s0
	;; [unrolled: 1-line block ×3, first 2 shown]
	s_mov_b32 s32, 0
	s_getpc_b64 s[2:3]
	s_add_u32 s2, s2, _ZL14no_device_codePKciS0_iS0_@rel32@lo+4
	s_addc_u32 s3, s3, _ZL14no_device_codePKciS0_iS0_@rel32@hi+12
	s_swappc_b64 s[30:31], s[2:3]
	.section	.rodata,"a",@progbits
	.p2align	6, 0x0
	.amdhsa_kernel _ZL9mul_mat_fIfLi32ELi14ELi3ELb1EEvPKT_PKfPKiPfiiiiiiiiiiiiiiii
		.amdhsa_group_segment_fixed_size 0
		.amdhsa_private_segment_fixed_size 16
		.amdhsa_kernarg_size 352
		.amdhsa_user_sgpr_count 2
		.amdhsa_user_sgpr_dispatch_ptr 0
		.amdhsa_user_sgpr_queue_ptr 0
		.amdhsa_user_sgpr_kernarg_segment_ptr 1
		.amdhsa_user_sgpr_dispatch_id 0
		.amdhsa_user_sgpr_kernarg_preload_length 0
		.amdhsa_user_sgpr_kernarg_preload_offset 0
		.amdhsa_user_sgpr_private_segment_size 0
		.amdhsa_uses_dynamic_stack 0
		.amdhsa_enable_private_segment 1
		.amdhsa_system_sgpr_workgroup_id_x 1
		.amdhsa_system_sgpr_workgroup_id_y 0
		.amdhsa_system_sgpr_workgroup_id_z 0
		.amdhsa_system_sgpr_workgroup_info 0
		.amdhsa_system_vgpr_workitem_id 0
		.amdhsa_next_free_vgpr 41
		.amdhsa_next_free_sgpr 34
		.amdhsa_accum_offset 44
		.amdhsa_reserve_vcc 1
		.amdhsa_float_round_mode_32 0
		.amdhsa_float_round_mode_16_64 0
		.amdhsa_float_denorm_mode_32 3
		.amdhsa_float_denorm_mode_16_64 3
		.amdhsa_dx10_clamp 1
		.amdhsa_ieee_mode 1
		.amdhsa_fp16_overflow 0
		.amdhsa_tg_split 0
		.amdhsa_exception_fp_ieee_invalid_op 0
		.amdhsa_exception_fp_denorm_src 0
		.amdhsa_exception_fp_ieee_div_zero 0
		.amdhsa_exception_fp_ieee_overflow 0
		.amdhsa_exception_fp_ieee_underflow 0
		.amdhsa_exception_fp_ieee_inexact 0
		.amdhsa_exception_int_div_zero 0
	.end_amdhsa_kernel
	.section	.text._ZL9mul_mat_fIfLi32ELi14ELi3ELb1EEvPKT_PKfPKiPfiiiiiiiiiiiiiiii,"axG",@progbits,_ZL9mul_mat_fIfLi32ELi14ELi3ELb1EEvPKT_PKfPKiPfiiiiiiiiiiiiiiii,comdat
.Lfunc_end10:
	.size	_ZL9mul_mat_fIfLi32ELi14ELi3ELb1EEvPKT_PKfPKiPfiiiiiiiiiiiiiiii, .Lfunc_end10-_ZL9mul_mat_fIfLi32ELi14ELi3ELb1EEvPKT_PKfPKiPfiiiiiiiiiiiiiiii
                                        ; -- End function
	.section	.AMDGPU.csdata,"",@progbits
; Kernel info:
; codeLenInByte = 72
; NumSgprs: 40
; NumVgprs: 41
; NumAgprs: 0
; TotalNumVgprs: 41
; ScratchSize: 16
; MemoryBound: 0
; FloatMode: 240
; IeeeMode: 1
; LDSByteSize: 0 bytes/workgroup (compile time only)
; SGPRBlocks: 4
; VGPRBlocks: 5
; NumSGPRsForWavesPerEU: 40
; NumVGPRsForWavesPerEU: 41
; AccumOffset: 44
; Occupancy: 8
; WaveLimiterHint : 1
; COMPUTE_PGM_RSRC2:SCRATCH_EN: 1
; COMPUTE_PGM_RSRC2:USER_SGPR: 2
; COMPUTE_PGM_RSRC2:TRAP_HANDLER: 0
; COMPUTE_PGM_RSRC2:TGID_X_EN: 1
; COMPUTE_PGM_RSRC2:TGID_Y_EN: 0
; COMPUTE_PGM_RSRC2:TGID_Z_EN: 0
; COMPUTE_PGM_RSRC2:TIDIG_COMP_CNT: 0
; COMPUTE_PGM_RSRC3_GFX90A:ACCUM_OFFSET: 10
; COMPUTE_PGM_RSRC3_GFX90A:TG_SPLIT: 0
	.section	.text._ZL9mul_mat_fIfLi32ELi14ELi3ELb0EEvPKT_PKfPKiPfiiiiiiiiiiiiiiii,"axG",@progbits,_ZL9mul_mat_fIfLi32ELi14ELi3ELb0EEvPKT_PKfPKiPfiiiiiiiiiiiiiiii,comdat
	.globl	_ZL9mul_mat_fIfLi32ELi14ELi3ELb0EEvPKT_PKfPKiPfiiiiiiiiiiiiiiii ; -- Begin function _ZL9mul_mat_fIfLi32ELi14ELi3ELb0EEvPKT_PKfPKiPfiiiiiiiiiiiiiiii
	.p2align	8
	.type	_ZL9mul_mat_fIfLi32ELi14ELi3ELb0EEvPKT_PKfPKiPfiiiiiiiiiiiiiiii,@function
_ZL9mul_mat_fIfLi32ELi14ELi3ELb0EEvPKT_PKfPKiPfiiiiiiiiiiiiiiii: ; @_ZL9mul_mat_fIfLi32ELi14ELi3ELb0EEvPKT_PKfPKiPfiiiiiiiiiiiiiiii
; %bb.0:
	s_add_u32 s8, s0, 0x60
	s_addc_u32 s9, s1, 0
	s_getpc_b64 s[0:1]
	s_add_u32 s0, s0, __FUNCTION__._ZL9mul_mat_fIfLi32ELi14ELi1ELb1EEvPKT_PKfPKiPfiiiiiiiiiiiiiiii@rel32@lo+4
	s_addc_u32 s1, s1, __FUNCTION__._ZL9mul_mat_fIfLi32ELi14ELi1ELb1EEvPKT_PKfPKiPfiiiiiiiiiiiiiiii@rel32@hi+12
	v_mov_b32_e32 v0, 64
	v_mov_b32_e32 v1, s0
	v_mov_b32_e32 v2, s1
	s_mov_b32 s32, 0
	s_getpc_b64 s[2:3]
	s_add_u32 s2, s2, _ZL14no_device_codePKciS0_iS0_@rel32@lo+4
	s_addc_u32 s3, s3, _ZL14no_device_codePKciS0_iS0_@rel32@hi+12
	s_swappc_b64 s[30:31], s[2:3]
	.section	.rodata,"a",@progbits
	.p2align	6, 0x0
	.amdhsa_kernel _ZL9mul_mat_fIfLi32ELi14ELi3ELb0EEvPKT_PKfPKiPfiiiiiiiiiiiiiiii
		.amdhsa_group_segment_fixed_size 0
		.amdhsa_private_segment_fixed_size 16
		.amdhsa_kernarg_size 352
		.amdhsa_user_sgpr_count 2
		.amdhsa_user_sgpr_dispatch_ptr 0
		.amdhsa_user_sgpr_queue_ptr 0
		.amdhsa_user_sgpr_kernarg_segment_ptr 1
		.amdhsa_user_sgpr_dispatch_id 0
		.amdhsa_user_sgpr_kernarg_preload_length 0
		.amdhsa_user_sgpr_kernarg_preload_offset 0
		.amdhsa_user_sgpr_private_segment_size 0
		.amdhsa_uses_dynamic_stack 0
		.amdhsa_enable_private_segment 1
		.amdhsa_system_sgpr_workgroup_id_x 1
		.amdhsa_system_sgpr_workgroup_id_y 0
		.amdhsa_system_sgpr_workgroup_id_z 0
		.amdhsa_system_sgpr_workgroup_info 0
		.amdhsa_system_vgpr_workitem_id 0
		.amdhsa_next_free_vgpr 41
		.amdhsa_next_free_sgpr 34
		.amdhsa_accum_offset 44
		.amdhsa_reserve_vcc 1
		.amdhsa_float_round_mode_32 0
		.amdhsa_float_round_mode_16_64 0
		.amdhsa_float_denorm_mode_32 3
		.amdhsa_float_denorm_mode_16_64 3
		.amdhsa_dx10_clamp 1
		.amdhsa_ieee_mode 1
		.amdhsa_fp16_overflow 0
		.amdhsa_tg_split 0
		.amdhsa_exception_fp_ieee_invalid_op 0
		.amdhsa_exception_fp_denorm_src 0
		.amdhsa_exception_fp_ieee_div_zero 0
		.amdhsa_exception_fp_ieee_overflow 0
		.amdhsa_exception_fp_ieee_underflow 0
		.amdhsa_exception_fp_ieee_inexact 0
		.amdhsa_exception_int_div_zero 0
	.end_amdhsa_kernel
	.section	.text._ZL9mul_mat_fIfLi32ELi14ELi3ELb0EEvPKT_PKfPKiPfiiiiiiiiiiiiiiii,"axG",@progbits,_ZL9mul_mat_fIfLi32ELi14ELi3ELb0EEvPKT_PKfPKiPfiiiiiiiiiiiiiiii,comdat
.Lfunc_end11:
	.size	_ZL9mul_mat_fIfLi32ELi14ELi3ELb0EEvPKT_PKfPKiPfiiiiiiiiiiiiiiii, .Lfunc_end11-_ZL9mul_mat_fIfLi32ELi14ELi3ELb0EEvPKT_PKfPKiPfiiiiiiiiiiiiiiii
                                        ; -- End function
	.section	.AMDGPU.csdata,"",@progbits
; Kernel info:
; codeLenInByte = 72
; NumSgprs: 40
; NumVgprs: 41
; NumAgprs: 0
; TotalNumVgprs: 41
; ScratchSize: 16
; MemoryBound: 0
; FloatMode: 240
; IeeeMode: 1
; LDSByteSize: 0 bytes/workgroup (compile time only)
; SGPRBlocks: 4
; VGPRBlocks: 5
; NumSGPRsForWavesPerEU: 40
; NumVGPRsForWavesPerEU: 41
; AccumOffset: 44
; Occupancy: 8
; WaveLimiterHint : 1
; COMPUTE_PGM_RSRC2:SCRATCH_EN: 1
; COMPUTE_PGM_RSRC2:USER_SGPR: 2
; COMPUTE_PGM_RSRC2:TRAP_HANDLER: 0
; COMPUTE_PGM_RSRC2:TGID_X_EN: 1
; COMPUTE_PGM_RSRC2:TGID_Y_EN: 0
; COMPUTE_PGM_RSRC2:TGID_Z_EN: 0
; COMPUTE_PGM_RSRC2:TIDIG_COMP_CNT: 0
; COMPUTE_PGM_RSRC3_GFX90A:ACCUM_OFFSET: 10
; COMPUTE_PGM_RSRC3_GFX90A:TG_SPLIT: 0
	.section	.text._ZL13mul_mat_f_idsIfLi32ELi14ELi4EEvPKT_PKfPKiS6_S6_Pfiiiiiiiiiiiiii15HIP_vector_typeIjLj3EES9_,"axG",@progbits,_ZL13mul_mat_f_idsIfLi32ELi14ELi4EEvPKT_PKfPKiS6_S6_Pfiiiiiiiiiiiiii15HIP_vector_typeIjLj3EES9_,comdat
	.globl	_ZL13mul_mat_f_idsIfLi32ELi14ELi4EEvPKT_PKfPKiS6_S6_Pfiiiiiiiiiiiiii15HIP_vector_typeIjLj3EES9_ ; -- Begin function _ZL13mul_mat_f_idsIfLi32ELi14ELi4EEvPKT_PKfPKiS6_S6_Pfiiiiiiiiiiiiii15HIP_vector_typeIjLj3EES9_
	.p2align	8
	.type	_ZL13mul_mat_f_idsIfLi32ELi14ELi4EEvPKT_PKfPKiS6_S6_Pfiiiiiiiiiiiiii15HIP_vector_typeIjLj3EES9_,@function
_ZL13mul_mat_f_idsIfLi32ELi14ELi4EEvPKT_PKfPKiS6_S6_Pfiiiiiiiiiiiiii15HIP_vector_typeIjLj3EES9_: ; @_ZL13mul_mat_f_idsIfLi32ELi14ELi4EEvPKT_PKfPKiS6_S6_Pfiiiiiiiiiiiiii15HIP_vector_typeIjLj3EES9_
; %bb.0:
	s_add_u32 s8, s0, 0x80
	s_addc_u32 s9, s1, 0
	s_getpc_b64 s[0:1]
	s_add_u32 s0, s0, __FUNCTION__._ZL13mul_mat_f_idsIfLi32ELi14ELi1EEvPKT_PKfPKiS6_S6_Pfiiiiiiiiiiiiii15HIP_vector_typeIjLj3EES9_@rel32@lo+4
	s_addc_u32 s1, s1, __FUNCTION__._ZL13mul_mat_f_idsIfLi32ELi14ELi1EEvPKT_PKfPKiS6_S6_Pfiiiiiiiiiiiiii15HIP_vector_typeIjLj3EES9_@rel32@hi+12
	v_mov_b32_e32 v0, 0x13b
	v_mov_b32_e32 v1, s0
	;; [unrolled: 1-line block ×3, first 2 shown]
	s_mov_b32 s32, 0
	s_getpc_b64 s[2:3]
	s_add_u32 s2, s2, _ZL14no_device_codePKciS0_iS0_@rel32@lo+4
	s_addc_u32 s3, s3, _ZL14no_device_codePKciS0_iS0_@rel32@hi+12
	s_swappc_b64 s[30:31], s[2:3]
	.section	.rodata,"a",@progbits
	.p2align	6, 0x0
	.amdhsa_kernel _ZL13mul_mat_f_idsIfLi32ELi14ELi4EEvPKT_PKfPKiS6_S6_Pfiiiiiiiiiiiiii15HIP_vector_typeIjLj3EES9_
		.amdhsa_group_segment_fixed_size 0
		.amdhsa_private_segment_fixed_size 16
		.amdhsa_kernarg_size 384
		.amdhsa_user_sgpr_count 2
		.amdhsa_user_sgpr_dispatch_ptr 0
		.amdhsa_user_sgpr_queue_ptr 0
		.amdhsa_user_sgpr_kernarg_segment_ptr 1
		.amdhsa_user_sgpr_dispatch_id 0
		.amdhsa_user_sgpr_kernarg_preload_length 0
		.amdhsa_user_sgpr_kernarg_preload_offset 0
		.amdhsa_user_sgpr_private_segment_size 0
		.amdhsa_uses_dynamic_stack 0
		.amdhsa_enable_private_segment 1
		.amdhsa_system_sgpr_workgroup_id_x 1
		.amdhsa_system_sgpr_workgroup_id_y 0
		.amdhsa_system_sgpr_workgroup_id_z 0
		.amdhsa_system_sgpr_workgroup_info 0
		.amdhsa_system_vgpr_workitem_id 0
		.amdhsa_next_free_vgpr 41
		.amdhsa_next_free_sgpr 34
		.amdhsa_accum_offset 44
		.amdhsa_reserve_vcc 1
		.amdhsa_float_round_mode_32 0
		.amdhsa_float_round_mode_16_64 0
		.amdhsa_float_denorm_mode_32 3
		.amdhsa_float_denorm_mode_16_64 3
		.amdhsa_dx10_clamp 1
		.amdhsa_ieee_mode 1
		.amdhsa_fp16_overflow 0
		.amdhsa_tg_split 0
		.amdhsa_exception_fp_ieee_invalid_op 0
		.amdhsa_exception_fp_denorm_src 0
		.amdhsa_exception_fp_ieee_div_zero 0
		.amdhsa_exception_fp_ieee_overflow 0
		.amdhsa_exception_fp_ieee_underflow 0
		.amdhsa_exception_fp_ieee_inexact 0
		.amdhsa_exception_int_div_zero 0
	.end_amdhsa_kernel
	.section	.text._ZL13mul_mat_f_idsIfLi32ELi14ELi4EEvPKT_PKfPKiS6_S6_Pfiiiiiiiiiiiiii15HIP_vector_typeIjLj3EES9_,"axG",@progbits,_ZL13mul_mat_f_idsIfLi32ELi14ELi4EEvPKT_PKfPKiS6_S6_Pfiiiiiiiiiiiiii15HIP_vector_typeIjLj3EES9_,comdat
.Lfunc_end12:
	.size	_ZL13mul_mat_f_idsIfLi32ELi14ELi4EEvPKT_PKfPKiS6_S6_Pfiiiiiiiiiiiiii15HIP_vector_typeIjLj3EES9_, .Lfunc_end12-_ZL13mul_mat_f_idsIfLi32ELi14ELi4EEvPKT_PKfPKiS6_S6_Pfiiiiiiiiiiiiii15HIP_vector_typeIjLj3EES9_
                                        ; -- End function
	.section	.AMDGPU.csdata,"",@progbits
; Kernel info:
; codeLenInByte = 76
; NumSgprs: 40
; NumVgprs: 41
; NumAgprs: 0
; TotalNumVgprs: 41
; ScratchSize: 16
; MemoryBound: 0
; FloatMode: 240
; IeeeMode: 1
; LDSByteSize: 0 bytes/workgroup (compile time only)
; SGPRBlocks: 4
; VGPRBlocks: 5
; NumSGPRsForWavesPerEU: 40
; NumVGPRsForWavesPerEU: 41
; AccumOffset: 44
; Occupancy: 8
; WaveLimiterHint : 1
; COMPUTE_PGM_RSRC2:SCRATCH_EN: 1
; COMPUTE_PGM_RSRC2:USER_SGPR: 2
; COMPUTE_PGM_RSRC2:TRAP_HANDLER: 0
; COMPUTE_PGM_RSRC2:TGID_X_EN: 1
; COMPUTE_PGM_RSRC2:TGID_Y_EN: 0
; COMPUTE_PGM_RSRC2:TGID_Z_EN: 0
; COMPUTE_PGM_RSRC2:TIDIG_COMP_CNT: 0
; COMPUTE_PGM_RSRC3_GFX90A:ACCUM_OFFSET: 10
; COMPUTE_PGM_RSRC3_GFX90A:TG_SPLIT: 0
	.section	.text._ZL9mul_mat_fIfLi32ELi14ELi4ELb1EEvPKT_PKfPKiPfiiiiiiiiiiiiiiii,"axG",@progbits,_ZL9mul_mat_fIfLi32ELi14ELi4ELb1EEvPKT_PKfPKiPfiiiiiiiiiiiiiiii,comdat
	.globl	_ZL9mul_mat_fIfLi32ELi14ELi4ELb1EEvPKT_PKfPKiPfiiiiiiiiiiiiiiii ; -- Begin function _ZL9mul_mat_fIfLi32ELi14ELi4ELb1EEvPKT_PKfPKiPfiiiiiiiiiiiiiiii
	.p2align	8
	.type	_ZL9mul_mat_fIfLi32ELi14ELi4ELb1EEvPKT_PKfPKiPfiiiiiiiiiiiiiiii,@function
_ZL9mul_mat_fIfLi32ELi14ELi4ELb1EEvPKT_PKfPKiPfiiiiiiiiiiiiiiii: ; @_ZL9mul_mat_fIfLi32ELi14ELi4ELb1EEvPKT_PKfPKiPfiiiiiiiiiiiiiiii
; %bb.0:
	s_add_u32 s8, s0, 0x60
	s_addc_u32 s9, s1, 0
	s_getpc_b64 s[0:1]
	s_add_u32 s0, s0, __FUNCTION__._ZL9mul_mat_fIfLi32ELi14ELi1ELb1EEvPKT_PKfPKiPfiiiiiiiiiiiiiiii@rel32@lo+4
	s_addc_u32 s1, s1, __FUNCTION__._ZL9mul_mat_fIfLi32ELi14ELi1ELb1EEvPKT_PKfPKiPfiiiiiiiiiiiiiiii@rel32@hi+12
	v_mov_b32_e32 v0, 64
	v_mov_b32_e32 v1, s0
	;; [unrolled: 1-line block ×3, first 2 shown]
	s_mov_b32 s32, 0
	s_getpc_b64 s[2:3]
	s_add_u32 s2, s2, _ZL14no_device_codePKciS0_iS0_@rel32@lo+4
	s_addc_u32 s3, s3, _ZL14no_device_codePKciS0_iS0_@rel32@hi+12
	s_swappc_b64 s[30:31], s[2:3]
	.section	.rodata,"a",@progbits
	.p2align	6, 0x0
	.amdhsa_kernel _ZL9mul_mat_fIfLi32ELi14ELi4ELb1EEvPKT_PKfPKiPfiiiiiiiiiiiiiiii
		.amdhsa_group_segment_fixed_size 0
		.amdhsa_private_segment_fixed_size 16
		.amdhsa_kernarg_size 352
		.amdhsa_user_sgpr_count 2
		.amdhsa_user_sgpr_dispatch_ptr 0
		.amdhsa_user_sgpr_queue_ptr 0
		.amdhsa_user_sgpr_kernarg_segment_ptr 1
		.amdhsa_user_sgpr_dispatch_id 0
		.amdhsa_user_sgpr_kernarg_preload_length 0
		.amdhsa_user_sgpr_kernarg_preload_offset 0
		.amdhsa_user_sgpr_private_segment_size 0
		.amdhsa_uses_dynamic_stack 0
		.amdhsa_enable_private_segment 1
		.amdhsa_system_sgpr_workgroup_id_x 1
		.amdhsa_system_sgpr_workgroup_id_y 0
		.amdhsa_system_sgpr_workgroup_id_z 0
		.amdhsa_system_sgpr_workgroup_info 0
		.amdhsa_system_vgpr_workitem_id 0
		.amdhsa_next_free_vgpr 41
		.amdhsa_next_free_sgpr 34
		.amdhsa_accum_offset 44
		.amdhsa_reserve_vcc 1
		.amdhsa_float_round_mode_32 0
		.amdhsa_float_round_mode_16_64 0
		.amdhsa_float_denorm_mode_32 3
		.amdhsa_float_denorm_mode_16_64 3
		.amdhsa_dx10_clamp 1
		.amdhsa_ieee_mode 1
		.amdhsa_fp16_overflow 0
		.amdhsa_tg_split 0
		.amdhsa_exception_fp_ieee_invalid_op 0
		.amdhsa_exception_fp_denorm_src 0
		.amdhsa_exception_fp_ieee_div_zero 0
		.amdhsa_exception_fp_ieee_overflow 0
		.amdhsa_exception_fp_ieee_underflow 0
		.amdhsa_exception_fp_ieee_inexact 0
		.amdhsa_exception_int_div_zero 0
	.end_amdhsa_kernel
	.section	.text._ZL9mul_mat_fIfLi32ELi14ELi4ELb1EEvPKT_PKfPKiPfiiiiiiiiiiiiiiii,"axG",@progbits,_ZL9mul_mat_fIfLi32ELi14ELi4ELb1EEvPKT_PKfPKiPfiiiiiiiiiiiiiiii,comdat
.Lfunc_end13:
	.size	_ZL9mul_mat_fIfLi32ELi14ELi4ELb1EEvPKT_PKfPKiPfiiiiiiiiiiiiiiii, .Lfunc_end13-_ZL9mul_mat_fIfLi32ELi14ELi4ELb1EEvPKT_PKfPKiPfiiiiiiiiiiiiiiii
                                        ; -- End function
	.section	.AMDGPU.csdata,"",@progbits
; Kernel info:
; codeLenInByte = 72
; NumSgprs: 40
; NumVgprs: 41
; NumAgprs: 0
; TotalNumVgprs: 41
; ScratchSize: 16
; MemoryBound: 0
; FloatMode: 240
; IeeeMode: 1
; LDSByteSize: 0 bytes/workgroup (compile time only)
; SGPRBlocks: 4
; VGPRBlocks: 5
; NumSGPRsForWavesPerEU: 40
; NumVGPRsForWavesPerEU: 41
; AccumOffset: 44
; Occupancy: 8
; WaveLimiterHint : 1
; COMPUTE_PGM_RSRC2:SCRATCH_EN: 1
; COMPUTE_PGM_RSRC2:USER_SGPR: 2
; COMPUTE_PGM_RSRC2:TRAP_HANDLER: 0
; COMPUTE_PGM_RSRC2:TGID_X_EN: 1
; COMPUTE_PGM_RSRC2:TGID_Y_EN: 0
; COMPUTE_PGM_RSRC2:TGID_Z_EN: 0
; COMPUTE_PGM_RSRC2:TIDIG_COMP_CNT: 0
; COMPUTE_PGM_RSRC3_GFX90A:ACCUM_OFFSET: 10
; COMPUTE_PGM_RSRC3_GFX90A:TG_SPLIT: 0
	.section	.text._ZL9mul_mat_fIfLi32ELi14ELi4ELb0EEvPKT_PKfPKiPfiiiiiiiiiiiiiiii,"axG",@progbits,_ZL9mul_mat_fIfLi32ELi14ELi4ELb0EEvPKT_PKfPKiPfiiiiiiiiiiiiiiii,comdat
	.globl	_ZL9mul_mat_fIfLi32ELi14ELi4ELb0EEvPKT_PKfPKiPfiiiiiiiiiiiiiiii ; -- Begin function _ZL9mul_mat_fIfLi32ELi14ELi4ELb0EEvPKT_PKfPKiPfiiiiiiiiiiiiiiii
	.p2align	8
	.type	_ZL9mul_mat_fIfLi32ELi14ELi4ELb0EEvPKT_PKfPKiPfiiiiiiiiiiiiiiii,@function
_ZL9mul_mat_fIfLi32ELi14ELi4ELb0EEvPKT_PKfPKiPfiiiiiiiiiiiiiiii: ; @_ZL9mul_mat_fIfLi32ELi14ELi4ELb0EEvPKT_PKfPKiPfiiiiiiiiiiiiiiii
; %bb.0:
	s_add_u32 s8, s0, 0x60
	s_addc_u32 s9, s1, 0
	s_getpc_b64 s[0:1]
	s_add_u32 s0, s0, __FUNCTION__._ZL9mul_mat_fIfLi32ELi14ELi1ELb1EEvPKT_PKfPKiPfiiiiiiiiiiiiiiii@rel32@lo+4
	s_addc_u32 s1, s1, __FUNCTION__._ZL9mul_mat_fIfLi32ELi14ELi1ELb1EEvPKT_PKfPKiPfiiiiiiiiiiiiiiii@rel32@hi+12
	v_mov_b32_e32 v0, 64
	v_mov_b32_e32 v1, s0
	;; [unrolled: 1-line block ×3, first 2 shown]
	s_mov_b32 s32, 0
	s_getpc_b64 s[2:3]
	s_add_u32 s2, s2, _ZL14no_device_codePKciS0_iS0_@rel32@lo+4
	s_addc_u32 s3, s3, _ZL14no_device_codePKciS0_iS0_@rel32@hi+12
	s_swappc_b64 s[30:31], s[2:3]
	.section	.rodata,"a",@progbits
	.p2align	6, 0x0
	.amdhsa_kernel _ZL9mul_mat_fIfLi32ELi14ELi4ELb0EEvPKT_PKfPKiPfiiiiiiiiiiiiiiii
		.amdhsa_group_segment_fixed_size 0
		.amdhsa_private_segment_fixed_size 16
		.amdhsa_kernarg_size 352
		.amdhsa_user_sgpr_count 2
		.amdhsa_user_sgpr_dispatch_ptr 0
		.amdhsa_user_sgpr_queue_ptr 0
		.amdhsa_user_sgpr_kernarg_segment_ptr 1
		.amdhsa_user_sgpr_dispatch_id 0
		.amdhsa_user_sgpr_kernarg_preload_length 0
		.amdhsa_user_sgpr_kernarg_preload_offset 0
		.amdhsa_user_sgpr_private_segment_size 0
		.amdhsa_uses_dynamic_stack 0
		.amdhsa_enable_private_segment 1
		.amdhsa_system_sgpr_workgroup_id_x 1
		.amdhsa_system_sgpr_workgroup_id_y 0
		.amdhsa_system_sgpr_workgroup_id_z 0
		.amdhsa_system_sgpr_workgroup_info 0
		.amdhsa_system_vgpr_workitem_id 0
		.amdhsa_next_free_vgpr 41
		.amdhsa_next_free_sgpr 34
		.amdhsa_accum_offset 44
		.amdhsa_reserve_vcc 1
		.amdhsa_float_round_mode_32 0
		.amdhsa_float_round_mode_16_64 0
		.amdhsa_float_denorm_mode_32 3
		.amdhsa_float_denorm_mode_16_64 3
		.amdhsa_dx10_clamp 1
		.amdhsa_ieee_mode 1
		.amdhsa_fp16_overflow 0
		.amdhsa_tg_split 0
		.amdhsa_exception_fp_ieee_invalid_op 0
		.amdhsa_exception_fp_denorm_src 0
		.amdhsa_exception_fp_ieee_div_zero 0
		.amdhsa_exception_fp_ieee_overflow 0
		.amdhsa_exception_fp_ieee_underflow 0
		.amdhsa_exception_fp_ieee_inexact 0
		.amdhsa_exception_int_div_zero 0
	.end_amdhsa_kernel
	.section	.text._ZL9mul_mat_fIfLi32ELi14ELi4ELb0EEvPKT_PKfPKiPfiiiiiiiiiiiiiiii,"axG",@progbits,_ZL9mul_mat_fIfLi32ELi14ELi4ELb0EEvPKT_PKfPKiPfiiiiiiiiiiiiiiii,comdat
.Lfunc_end14:
	.size	_ZL9mul_mat_fIfLi32ELi14ELi4ELb0EEvPKT_PKfPKiPfiiiiiiiiiiiiiiii, .Lfunc_end14-_ZL9mul_mat_fIfLi32ELi14ELi4ELb0EEvPKT_PKfPKiPfiiiiiiiiiiiiiiii
                                        ; -- End function
	.section	.AMDGPU.csdata,"",@progbits
; Kernel info:
; codeLenInByte = 72
; NumSgprs: 40
; NumVgprs: 41
; NumAgprs: 0
; TotalNumVgprs: 41
; ScratchSize: 16
; MemoryBound: 0
; FloatMode: 240
; IeeeMode: 1
; LDSByteSize: 0 bytes/workgroup (compile time only)
; SGPRBlocks: 4
; VGPRBlocks: 5
; NumSGPRsForWavesPerEU: 40
; NumVGPRsForWavesPerEU: 41
; AccumOffset: 44
; Occupancy: 8
; WaveLimiterHint : 1
; COMPUTE_PGM_RSRC2:SCRATCH_EN: 1
; COMPUTE_PGM_RSRC2:USER_SGPR: 2
; COMPUTE_PGM_RSRC2:TRAP_HANDLER: 0
; COMPUTE_PGM_RSRC2:TGID_X_EN: 1
; COMPUTE_PGM_RSRC2:TGID_Y_EN: 0
; COMPUTE_PGM_RSRC2:TGID_Z_EN: 0
; COMPUTE_PGM_RSRC2:TIDIG_COMP_CNT: 0
; COMPUTE_PGM_RSRC3_GFX90A:ACCUM_OFFSET: 10
; COMPUTE_PGM_RSRC3_GFX90A:TG_SPLIT: 0
	.section	.text._ZL13mul_mat_f_idsIfLi32ELi14ELi5EEvPKT_PKfPKiS6_S6_Pfiiiiiiiiiiiiii15HIP_vector_typeIjLj3EES9_,"axG",@progbits,_ZL13mul_mat_f_idsIfLi32ELi14ELi5EEvPKT_PKfPKiS6_S6_Pfiiiiiiiiiiiiii15HIP_vector_typeIjLj3EES9_,comdat
	.globl	_ZL13mul_mat_f_idsIfLi32ELi14ELi5EEvPKT_PKfPKiS6_S6_Pfiiiiiiiiiiiiii15HIP_vector_typeIjLj3EES9_ ; -- Begin function _ZL13mul_mat_f_idsIfLi32ELi14ELi5EEvPKT_PKfPKiS6_S6_Pfiiiiiiiiiiiiii15HIP_vector_typeIjLj3EES9_
	.p2align	8
	.type	_ZL13mul_mat_f_idsIfLi32ELi14ELi5EEvPKT_PKfPKiS6_S6_Pfiiiiiiiiiiiiii15HIP_vector_typeIjLj3EES9_,@function
_ZL13mul_mat_f_idsIfLi32ELi14ELi5EEvPKT_PKfPKiS6_S6_Pfiiiiiiiiiiiiii15HIP_vector_typeIjLj3EES9_: ; @_ZL13mul_mat_f_idsIfLi32ELi14ELi5EEvPKT_PKfPKiS6_S6_Pfiiiiiiiiiiiiii15HIP_vector_typeIjLj3EES9_
; %bb.0:
	s_add_u32 s8, s0, 0x80
	s_addc_u32 s9, s1, 0
	s_getpc_b64 s[0:1]
	s_add_u32 s0, s0, __FUNCTION__._ZL13mul_mat_f_idsIfLi32ELi14ELi1EEvPKT_PKfPKiS6_S6_Pfiiiiiiiiiiiiii15HIP_vector_typeIjLj3EES9_@rel32@lo+4
	s_addc_u32 s1, s1, __FUNCTION__._ZL13mul_mat_f_idsIfLi32ELi14ELi1EEvPKT_PKfPKiS6_S6_Pfiiiiiiiiiiiiii15HIP_vector_typeIjLj3EES9_@rel32@hi+12
	v_mov_b32_e32 v0, 0x13b
	v_mov_b32_e32 v1, s0
	v_mov_b32_e32 v2, s1
	s_mov_b32 s32, 0
	s_getpc_b64 s[2:3]
	s_add_u32 s2, s2, _ZL14no_device_codePKciS0_iS0_@rel32@lo+4
	s_addc_u32 s3, s3, _ZL14no_device_codePKciS0_iS0_@rel32@hi+12
	s_swappc_b64 s[30:31], s[2:3]
	.section	.rodata,"a",@progbits
	.p2align	6, 0x0
	.amdhsa_kernel _ZL13mul_mat_f_idsIfLi32ELi14ELi5EEvPKT_PKfPKiS6_S6_Pfiiiiiiiiiiiiii15HIP_vector_typeIjLj3EES9_
		.amdhsa_group_segment_fixed_size 0
		.amdhsa_private_segment_fixed_size 16
		.amdhsa_kernarg_size 384
		.amdhsa_user_sgpr_count 2
		.amdhsa_user_sgpr_dispatch_ptr 0
		.amdhsa_user_sgpr_queue_ptr 0
		.amdhsa_user_sgpr_kernarg_segment_ptr 1
		.amdhsa_user_sgpr_dispatch_id 0
		.amdhsa_user_sgpr_kernarg_preload_length 0
		.amdhsa_user_sgpr_kernarg_preload_offset 0
		.amdhsa_user_sgpr_private_segment_size 0
		.amdhsa_uses_dynamic_stack 0
		.amdhsa_enable_private_segment 1
		.amdhsa_system_sgpr_workgroup_id_x 1
		.amdhsa_system_sgpr_workgroup_id_y 0
		.amdhsa_system_sgpr_workgroup_id_z 0
		.amdhsa_system_sgpr_workgroup_info 0
		.amdhsa_system_vgpr_workitem_id 0
		.amdhsa_next_free_vgpr 41
		.amdhsa_next_free_sgpr 34
		.amdhsa_accum_offset 44
		.amdhsa_reserve_vcc 1
		.amdhsa_float_round_mode_32 0
		.amdhsa_float_round_mode_16_64 0
		.amdhsa_float_denorm_mode_32 3
		.amdhsa_float_denorm_mode_16_64 3
		.amdhsa_dx10_clamp 1
		.amdhsa_ieee_mode 1
		.amdhsa_fp16_overflow 0
		.amdhsa_tg_split 0
		.amdhsa_exception_fp_ieee_invalid_op 0
		.amdhsa_exception_fp_denorm_src 0
		.amdhsa_exception_fp_ieee_div_zero 0
		.amdhsa_exception_fp_ieee_overflow 0
		.amdhsa_exception_fp_ieee_underflow 0
		.amdhsa_exception_fp_ieee_inexact 0
		.amdhsa_exception_int_div_zero 0
	.end_amdhsa_kernel
	.section	.text._ZL13mul_mat_f_idsIfLi32ELi14ELi5EEvPKT_PKfPKiS6_S6_Pfiiiiiiiiiiiiii15HIP_vector_typeIjLj3EES9_,"axG",@progbits,_ZL13mul_mat_f_idsIfLi32ELi14ELi5EEvPKT_PKfPKiS6_S6_Pfiiiiiiiiiiiiii15HIP_vector_typeIjLj3EES9_,comdat
.Lfunc_end15:
	.size	_ZL13mul_mat_f_idsIfLi32ELi14ELi5EEvPKT_PKfPKiS6_S6_Pfiiiiiiiiiiiiii15HIP_vector_typeIjLj3EES9_, .Lfunc_end15-_ZL13mul_mat_f_idsIfLi32ELi14ELi5EEvPKT_PKfPKiS6_S6_Pfiiiiiiiiiiiiii15HIP_vector_typeIjLj3EES9_
                                        ; -- End function
	.section	.AMDGPU.csdata,"",@progbits
; Kernel info:
; codeLenInByte = 76
; NumSgprs: 40
; NumVgprs: 41
; NumAgprs: 0
; TotalNumVgprs: 41
; ScratchSize: 16
; MemoryBound: 0
; FloatMode: 240
; IeeeMode: 1
; LDSByteSize: 0 bytes/workgroup (compile time only)
; SGPRBlocks: 4
; VGPRBlocks: 5
; NumSGPRsForWavesPerEU: 40
; NumVGPRsForWavesPerEU: 41
; AccumOffset: 44
; Occupancy: 8
; WaveLimiterHint : 1
; COMPUTE_PGM_RSRC2:SCRATCH_EN: 1
; COMPUTE_PGM_RSRC2:USER_SGPR: 2
; COMPUTE_PGM_RSRC2:TRAP_HANDLER: 0
; COMPUTE_PGM_RSRC2:TGID_X_EN: 1
; COMPUTE_PGM_RSRC2:TGID_Y_EN: 0
; COMPUTE_PGM_RSRC2:TGID_Z_EN: 0
; COMPUTE_PGM_RSRC2:TIDIG_COMP_CNT: 0
; COMPUTE_PGM_RSRC3_GFX90A:ACCUM_OFFSET: 10
; COMPUTE_PGM_RSRC3_GFX90A:TG_SPLIT: 0
	.section	.text._ZL9mul_mat_fIfLi32ELi14ELi5ELb1EEvPKT_PKfPKiPfiiiiiiiiiiiiiiii,"axG",@progbits,_ZL9mul_mat_fIfLi32ELi14ELi5ELb1EEvPKT_PKfPKiPfiiiiiiiiiiiiiiii,comdat
	.globl	_ZL9mul_mat_fIfLi32ELi14ELi5ELb1EEvPKT_PKfPKiPfiiiiiiiiiiiiiiii ; -- Begin function _ZL9mul_mat_fIfLi32ELi14ELi5ELb1EEvPKT_PKfPKiPfiiiiiiiiiiiiiiii
	.p2align	8
	.type	_ZL9mul_mat_fIfLi32ELi14ELi5ELb1EEvPKT_PKfPKiPfiiiiiiiiiiiiiiii,@function
_ZL9mul_mat_fIfLi32ELi14ELi5ELb1EEvPKT_PKfPKiPfiiiiiiiiiiiiiiii: ; @_ZL9mul_mat_fIfLi32ELi14ELi5ELb1EEvPKT_PKfPKiPfiiiiiiiiiiiiiiii
; %bb.0:
	s_add_u32 s8, s0, 0x60
	s_addc_u32 s9, s1, 0
	s_getpc_b64 s[0:1]
	s_add_u32 s0, s0, __FUNCTION__._ZL9mul_mat_fIfLi32ELi14ELi1ELb1EEvPKT_PKfPKiPfiiiiiiiiiiiiiiii@rel32@lo+4
	s_addc_u32 s1, s1, __FUNCTION__._ZL9mul_mat_fIfLi32ELi14ELi1ELb1EEvPKT_PKfPKiPfiiiiiiiiiiiiiiii@rel32@hi+12
	v_mov_b32_e32 v0, 64
	v_mov_b32_e32 v1, s0
	;; [unrolled: 1-line block ×3, first 2 shown]
	s_mov_b32 s32, 0
	s_getpc_b64 s[2:3]
	s_add_u32 s2, s2, _ZL14no_device_codePKciS0_iS0_@rel32@lo+4
	s_addc_u32 s3, s3, _ZL14no_device_codePKciS0_iS0_@rel32@hi+12
	s_swappc_b64 s[30:31], s[2:3]
	.section	.rodata,"a",@progbits
	.p2align	6, 0x0
	.amdhsa_kernel _ZL9mul_mat_fIfLi32ELi14ELi5ELb1EEvPKT_PKfPKiPfiiiiiiiiiiiiiiii
		.amdhsa_group_segment_fixed_size 0
		.amdhsa_private_segment_fixed_size 16
		.amdhsa_kernarg_size 352
		.amdhsa_user_sgpr_count 2
		.amdhsa_user_sgpr_dispatch_ptr 0
		.amdhsa_user_sgpr_queue_ptr 0
		.amdhsa_user_sgpr_kernarg_segment_ptr 1
		.amdhsa_user_sgpr_dispatch_id 0
		.amdhsa_user_sgpr_kernarg_preload_length 0
		.amdhsa_user_sgpr_kernarg_preload_offset 0
		.amdhsa_user_sgpr_private_segment_size 0
		.amdhsa_uses_dynamic_stack 0
		.amdhsa_enable_private_segment 1
		.amdhsa_system_sgpr_workgroup_id_x 1
		.amdhsa_system_sgpr_workgroup_id_y 0
		.amdhsa_system_sgpr_workgroup_id_z 0
		.amdhsa_system_sgpr_workgroup_info 0
		.amdhsa_system_vgpr_workitem_id 0
		.amdhsa_next_free_vgpr 41
		.amdhsa_next_free_sgpr 34
		.amdhsa_accum_offset 44
		.amdhsa_reserve_vcc 1
		.amdhsa_float_round_mode_32 0
		.amdhsa_float_round_mode_16_64 0
		.amdhsa_float_denorm_mode_32 3
		.amdhsa_float_denorm_mode_16_64 3
		.amdhsa_dx10_clamp 1
		.amdhsa_ieee_mode 1
		.amdhsa_fp16_overflow 0
		.amdhsa_tg_split 0
		.amdhsa_exception_fp_ieee_invalid_op 0
		.amdhsa_exception_fp_denorm_src 0
		.amdhsa_exception_fp_ieee_div_zero 0
		.amdhsa_exception_fp_ieee_overflow 0
		.amdhsa_exception_fp_ieee_underflow 0
		.amdhsa_exception_fp_ieee_inexact 0
		.amdhsa_exception_int_div_zero 0
	.end_amdhsa_kernel
	.section	.text._ZL9mul_mat_fIfLi32ELi14ELi5ELb1EEvPKT_PKfPKiPfiiiiiiiiiiiiiiii,"axG",@progbits,_ZL9mul_mat_fIfLi32ELi14ELi5ELb1EEvPKT_PKfPKiPfiiiiiiiiiiiiiiii,comdat
.Lfunc_end16:
	.size	_ZL9mul_mat_fIfLi32ELi14ELi5ELb1EEvPKT_PKfPKiPfiiiiiiiiiiiiiiii, .Lfunc_end16-_ZL9mul_mat_fIfLi32ELi14ELi5ELb1EEvPKT_PKfPKiPfiiiiiiiiiiiiiiii
                                        ; -- End function
	.section	.AMDGPU.csdata,"",@progbits
; Kernel info:
; codeLenInByte = 72
; NumSgprs: 40
; NumVgprs: 41
; NumAgprs: 0
; TotalNumVgprs: 41
; ScratchSize: 16
; MemoryBound: 0
; FloatMode: 240
; IeeeMode: 1
; LDSByteSize: 0 bytes/workgroup (compile time only)
; SGPRBlocks: 4
; VGPRBlocks: 5
; NumSGPRsForWavesPerEU: 40
; NumVGPRsForWavesPerEU: 41
; AccumOffset: 44
; Occupancy: 8
; WaveLimiterHint : 1
; COMPUTE_PGM_RSRC2:SCRATCH_EN: 1
; COMPUTE_PGM_RSRC2:USER_SGPR: 2
; COMPUTE_PGM_RSRC2:TRAP_HANDLER: 0
; COMPUTE_PGM_RSRC2:TGID_X_EN: 1
; COMPUTE_PGM_RSRC2:TGID_Y_EN: 0
; COMPUTE_PGM_RSRC2:TGID_Z_EN: 0
; COMPUTE_PGM_RSRC2:TIDIG_COMP_CNT: 0
; COMPUTE_PGM_RSRC3_GFX90A:ACCUM_OFFSET: 10
; COMPUTE_PGM_RSRC3_GFX90A:TG_SPLIT: 0
	.section	.text._ZL9mul_mat_fIfLi32ELi14ELi5ELb0EEvPKT_PKfPKiPfiiiiiiiiiiiiiiii,"axG",@progbits,_ZL9mul_mat_fIfLi32ELi14ELi5ELb0EEvPKT_PKfPKiPfiiiiiiiiiiiiiiii,comdat
	.globl	_ZL9mul_mat_fIfLi32ELi14ELi5ELb0EEvPKT_PKfPKiPfiiiiiiiiiiiiiiii ; -- Begin function _ZL9mul_mat_fIfLi32ELi14ELi5ELb0EEvPKT_PKfPKiPfiiiiiiiiiiiiiiii
	.p2align	8
	.type	_ZL9mul_mat_fIfLi32ELi14ELi5ELb0EEvPKT_PKfPKiPfiiiiiiiiiiiiiiii,@function
_ZL9mul_mat_fIfLi32ELi14ELi5ELb0EEvPKT_PKfPKiPfiiiiiiiiiiiiiiii: ; @_ZL9mul_mat_fIfLi32ELi14ELi5ELb0EEvPKT_PKfPKiPfiiiiiiiiiiiiiiii
; %bb.0:
	s_add_u32 s8, s0, 0x60
	s_addc_u32 s9, s1, 0
	s_getpc_b64 s[0:1]
	s_add_u32 s0, s0, __FUNCTION__._ZL9mul_mat_fIfLi32ELi14ELi1ELb1EEvPKT_PKfPKiPfiiiiiiiiiiiiiiii@rel32@lo+4
	s_addc_u32 s1, s1, __FUNCTION__._ZL9mul_mat_fIfLi32ELi14ELi1ELb1EEvPKT_PKfPKiPfiiiiiiiiiiiiiiii@rel32@hi+12
	v_mov_b32_e32 v0, 64
	v_mov_b32_e32 v1, s0
	;; [unrolled: 1-line block ×3, first 2 shown]
	s_mov_b32 s32, 0
	s_getpc_b64 s[2:3]
	s_add_u32 s2, s2, _ZL14no_device_codePKciS0_iS0_@rel32@lo+4
	s_addc_u32 s3, s3, _ZL14no_device_codePKciS0_iS0_@rel32@hi+12
	s_swappc_b64 s[30:31], s[2:3]
	.section	.rodata,"a",@progbits
	.p2align	6, 0x0
	.amdhsa_kernel _ZL9mul_mat_fIfLi32ELi14ELi5ELb0EEvPKT_PKfPKiPfiiiiiiiiiiiiiiii
		.amdhsa_group_segment_fixed_size 0
		.amdhsa_private_segment_fixed_size 16
		.amdhsa_kernarg_size 352
		.amdhsa_user_sgpr_count 2
		.amdhsa_user_sgpr_dispatch_ptr 0
		.amdhsa_user_sgpr_queue_ptr 0
		.amdhsa_user_sgpr_kernarg_segment_ptr 1
		.amdhsa_user_sgpr_dispatch_id 0
		.amdhsa_user_sgpr_kernarg_preload_length 0
		.amdhsa_user_sgpr_kernarg_preload_offset 0
		.amdhsa_user_sgpr_private_segment_size 0
		.amdhsa_uses_dynamic_stack 0
		.amdhsa_enable_private_segment 1
		.amdhsa_system_sgpr_workgroup_id_x 1
		.amdhsa_system_sgpr_workgroup_id_y 0
		.amdhsa_system_sgpr_workgroup_id_z 0
		.amdhsa_system_sgpr_workgroup_info 0
		.amdhsa_system_vgpr_workitem_id 0
		.amdhsa_next_free_vgpr 41
		.amdhsa_next_free_sgpr 34
		.amdhsa_accum_offset 44
		.amdhsa_reserve_vcc 1
		.amdhsa_float_round_mode_32 0
		.amdhsa_float_round_mode_16_64 0
		.amdhsa_float_denorm_mode_32 3
		.amdhsa_float_denorm_mode_16_64 3
		.amdhsa_dx10_clamp 1
		.amdhsa_ieee_mode 1
		.amdhsa_fp16_overflow 0
		.amdhsa_tg_split 0
		.amdhsa_exception_fp_ieee_invalid_op 0
		.amdhsa_exception_fp_denorm_src 0
		.amdhsa_exception_fp_ieee_div_zero 0
		.amdhsa_exception_fp_ieee_overflow 0
		.amdhsa_exception_fp_ieee_underflow 0
		.amdhsa_exception_fp_ieee_inexact 0
		.amdhsa_exception_int_div_zero 0
	.end_amdhsa_kernel
	.section	.text._ZL9mul_mat_fIfLi32ELi14ELi5ELb0EEvPKT_PKfPKiPfiiiiiiiiiiiiiiii,"axG",@progbits,_ZL9mul_mat_fIfLi32ELi14ELi5ELb0EEvPKT_PKfPKiPfiiiiiiiiiiiiiiii,comdat
.Lfunc_end17:
	.size	_ZL9mul_mat_fIfLi32ELi14ELi5ELb0EEvPKT_PKfPKiPfiiiiiiiiiiiiiiii, .Lfunc_end17-_ZL9mul_mat_fIfLi32ELi14ELi5ELb0EEvPKT_PKfPKiPfiiiiiiiiiiiiiiii
                                        ; -- End function
	.section	.AMDGPU.csdata,"",@progbits
; Kernel info:
; codeLenInByte = 72
; NumSgprs: 40
; NumVgprs: 41
; NumAgprs: 0
; TotalNumVgprs: 41
; ScratchSize: 16
; MemoryBound: 0
; FloatMode: 240
; IeeeMode: 1
; LDSByteSize: 0 bytes/workgroup (compile time only)
; SGPRBlocks: 4
; VGPRBlocks: 5
; NumSGPRsForWavesPerEU: 40
; NumVGPRsForWavesPerEU: 41
; AccumOffset: 44
; Occupancy: 8
; WaveLimiterHint : 1
; COMPUTE_PGM_RSRC2:SCRATCH_EN: 1
; COMPUTE_PGM_RSRC2:USER_SGPR: 2
; COMPUTE_PGM_RSRC2:TRAP_HANDLER: 0
; COMPUTE_PGM_RSRC2:TGID_X_EN: 1
; COMPUTE_PGM_RSRC2:TGID_Y_EN: 0
; COMPUTE_PGM_RSRC2:TGID_Z_EN: 0
; COMPUTE_PGM_RSRC2:TIDIG_COMP_CNT: 0
; COMPUTE_PGM_RSRC3_GFX90A:ACCUM_OFFSET: 10
; COMPUTE_PGM_RSRC3_GFX90A:TG_SPLIT: 0
	.section	.text._ZL13mul_mat_f_idsIfLi32ELi14ELi6EEvPKT_PKfPKiS6_S6_Pfiiiiiiiiiiiiii15HIP_vector_typeIjLj3EES9_,"axG",@progbits,_ZL13mul_mat_f_idsIfLi32ELi14ELi6EEvPKT_PKfPKiS6_S6_Pfiiiiiiiiiiiiii15HIP_vector_typeIjLj3EES9_,comdat
	.globl	_ZL13mul_mat_f_idsIfLi32ELi14ELi6EEvPKT_PKfPKiS6_S6_Pfiiiiiiiiiiiiii15HIP_vector_typeIjLj3EES9_ ; -- Begin function _ZL13mul_mat_f_idsIfLi32ELi14ELi6EEvPKT_PKfPKiS6_S6_Pfiiiiiiiiiiiiii15HIP_vector_typeIjLj3EES9_
	.p2align	8
	.type	_ZL13mul_mat_f_idsIfLi32ELi14ELi6EEvPKT_PKfPKiS6_S6_Pfiiiiiiiiiiiiii15HIP_vector_typeIjLj3EES9_,@function
_ZL13mul_mat_f_idsIfLi32ELi14ELi6EEvPKT_PKfPKiS6_S6_Pfiiiiiiiiiiiiii15HIP_vector_typeIjLj3EES9_: ; @_ZL13mul_mat_f_idsIfLi32ELi14ELi6EEvPKT_PKfPKiS6_S6_Pfiiiiiiiiiiiiii15HIP_vector_typeIjLj3EES9_
; %bb.0:
	s_add_u32 s8, s0, 0x80
	s_addc_u32 s9, s1, 0
	s_getpc_b64 s[0:1]
	s_add_u32 s0, s0, __FUNCTION__._ZL13mul_mat_f_idsIfLi32ELi14ELi1EEvPKT_PKfPKiS6_S6_Pfiiiiiiiiiiiiii15HIP_vector_typeIjLj3EES9_@rel32@lo+4
	s_addc_u32 s1, s1, __FUNCTION__._ZL13mul_mat_f_idsIfLi32ELi14ELi1EEvPKT_PKfPKiS6_S6_Pfiiiiiiiiiiiiii15HIP_vector_typeIjLj3EES9_@rel32@hi+12
	v_mov_b32_e32 v0, 0x13b
	v_mov_b32_e32 v1, s0
	;; [unrolled: 1-line block ×3, first 2 shown]
	s_mov_b32 s32, 0
	s_getpc_b64 s[2:3]
	s_add_u32 s2, s2, _ZL14no_device_codePKciS0_iS0_@rel32@lo+4
	s_addc_u32 s3, s3, _ZL14no_device_codePKciS0_iS0_@rel32@hi+12
	s_swappc_b64 s[30:31], s[2:3]
	.section	.rodata,"a",@progbits
	.p2align	6, 0x0
	.amdhsa_kernel _ZL13mul_mat_f_idsIfLi32ELi14ELi6EEvPKT_PKfPKiS6_S6_Pfiiiiiiiiiiiiii15HIP_vector_typeIjLj3EES9_
		.amdhsa_group_segment_fixed_size 0
		.amdhsa_private_segment_fixed_size 16
		.amdhsa_kernarg_size 384
		.amdhsa_user_sgpr_count 2
		.amdhsa_user_sgpr_dispatch_ptr 0
		.amdhsa_user_sgpr_queue_ptr 0
		.amdhsa_user_sgpr_kernarg_segment_ptr 1
		.amdhsa_user_sgpr_dispatch_id 0
		.amdhsa_user_sgpr_kernarg_preload_length 0
		.amdhsa_user_sgpr_kernarg_preload_offset 0
		.amdhsa_user_sgpr_private_segment_size 0
		.amdhsa_uses_dynamic_stack 0
		.amdhsa_enable_private_segment 1
		.amdhsa_system_sgpr_workgroup_id_x 1
		.amdhsa_system_sgpr_workgroup_id_y 0
		.amdhsa_system_sgpr_workgroup_id_z 0
		.amdhsa_system_sgpr_workgroup_info 0
		.amdhsa_system_vgpr_workitem_id 0
		.amdhsa_next_free_vgpr 41
		.amdhsa_next_free_sgpr 34
		.amdhsa_accum_offset 44
		.amdhsa_reserve_vcc 1
		.amdhsa_float_round_mode_32 0
		.amdhsa_float_round_mode_16_64 0
		.amdhsa_float_denorm_mode_32 3
		.amdhsa_float_denorm_mode_16_64 3
		.amdhsa_dx10_clamp 1
		.amdhsa_ieee_mode 1
		.amdhsa_fp16_overflow 0
		.amdhsa_tg_split 0
		.amdhsa_exception_fp_ieee_invalid_op 0
		.amdhsa_exception_fp_denorm_src 0
		.amdhsa_exception_fp_ieee_div_zero 0
		.amdhsa_exception_fp_ieee_overflow 0
		.amdhsa_exception_fp_ieee_underflow 0
		.amdhsa_exception_fp_ieee_inexact 0
		.amdhsa_exception_int_div_zero 0
	.end_amdhsa_kernel
	.section	.text._ZL13mul_mat_f_idsIfLi32ELi14ELi6EEvPKT_PKfPKiS6_S6_Pfiiiiiiiiiiiiii15HIP_vector_typeIjLj3EES9_,"axG",@progbits,_ZL13mul_mat_f_idsIfLi32ELi14ELi6EEvPKT_PKfPKiS6_S6_Pfiiiiiiiiiiiiii15HIP_vector_typeIjLj3EES9_,comdat
.Lfunc_end18:
	.size	_ZL13mul_mat_f_idsIfLi32ELi14ELi6EEvPKT_PKfPKiS6_S6_Pfiiiiiiiiiiiiii15HIP_vector_typeIjLj3EES9_, .Lfunc_end18-_ZL13mul_mat_f_idsIfLi32ELi14ELi6EEvPKT_PKfPKiS6_S6_Pfiiiiiiiiiiiiii15HIP_vector_typeIjLj3EES9_
                                        ; -- End function
	.section	.AMDGPU.csdata,"",@progbits
; Kernel info:
; codeLenInByte = 76
; NumSgprs: 40
; NumVgprs: 41
; NumAgprs: 0
; TotalNumVgprs: 41
; ScratchSize: 16
; MemoryBound: 0
; FloatMode: 240
; IeeeMode: 1
; LDSByteSize: 0 bytes/workgroup (compile time only)
; SGPRBlocks: 4
; VGPRBlocks: 5
; NumSGPRsForWavesPerEU: 40
; NumVGPRsForWavesPerEU: 41
; AccumOffset: 44
; Occupancy: 8
; WaveLimiterHint : 1
; COMPUTE_PGM_RSRC2:SCRATCH_EN: 1
; COMPUTE_PGM_RSRC2:USER_SGPR: 2
; COMPUTE_PGM_RSRC2:TRAP_HANDLER: 0
; COMPUTE_PGM_RSRC2:TGID_X_EN: 1
; COMPUTE_PGM_RSRC2:TGID_Y_EN: 0
; COMPUTE_PGM_RSRC2:TGID_Z_EN: 0
; COMPUTE_PGM_RSRC2:TIDIG_COMP_CNT: 0
; COMPUTE_PGM_RSRC3_GFX90A:ACCUM_OFFSET: 10
; COMPUTE_PGM_RSRC3_GFX90A:TG_SPLIT: 0
	.section	.text._ZL9mul_mat_fIfLi32ELi14ELi6ELb1EEvPKT_PKfPKiPfiiiiiiiiiiiiiiii,"axG",@progbits,_ZL9mul_mat_fIfLi32ELi14ELi6ELb1EEvPKT_PKfPKiPfiiiiiiiiiiiiiiii,comdat
	.globl	_ZL9mul_mat_fIfLi32ELi14ELi6ELb1EEvPKT_PKfPKiPfiiiiiiiiiiiiiiii ; -- Begin function _ZL9mul_mat_fIfLi32ELi14ELi6ELb1EEvPKT_PKfPKiPfiiiiiiiiiiiiiiii
	.p2align	8
	.type	_ZL9mul_mat_fIfLi32ELi14ELi6ELb1EEvPKT_PKfPKiPfiiiiiiiiiiiiiiii,@function
_ZL9mul_mat_fIfLi32ELi14ELi6ELb1EEvPKT_PKfPKiPfiiiiiiiiiiiiiiii: ; @_ZL9mul_mat_fIfLi32ELi14ELi6ELb1EEvPKT_PKfPKiPfiiiiiiiiiiiiiiii
; %bb.0:
	s_add_u32 s8, s0, 0x60
	s_addc_u32 s9, s1, 0
	s_getpc_b64 s[0:1]
	s_add_u32 s0, s0, __FUNCTION__._ZL9mul_mat_fIfLi32ELi14ELi1ELb1EEvPKT_PKfPKiPfiiiiiiiiiiiiiiii@rel32@lo+4
	s_addc_u32 s1, s1, __FUNCTION__._ZL9mul_mat_fIfLi32ELi14ELi1ELb1EEvPKT_PKfPKiPfiiiiiiiiiiiiiiii@rel32@hi+12
	v_mov_b32_e32 v0, 64
	v_mov_b32_e32 v1, s0
	;; [unrolled: 1-line block ×3, first 2 shown]
	s_mov_b32 s32, 0
	s_getpc_b64 s[2:3]
	s_add_u32 s2, s2, _ZL14no_device_codePKciS0_iS0_@rel32@lo+4
	s_addc_u32 s3, s3, _ZL14no_device_codePKciS0_iS0_@rel32@hi+12
	s_swappc_b64 s[30:31], s[2:3]
	.section	.rodata,"a",@progbits
	.p2align	6, 0x0
	.amdhsa_kernel _ZL9mul_mat_fIfLi32ELi14ELi6ELb1EEvPKT_PKfPKiPfiiiiiiiiiiiiiiii
		.amdhsa_group_segment_fixed_size 0
		.amdhsa_private_segment_fixed_size 16
		.amdhsa_kernarg_size 352
		.amdhsa_user_sgpr_count 2
		.amdhsa_user_sgpr_dispatch_ptr 0
		.amdhsa_user_sgpr_queue_ptr 0
		.amdhsa_user_sgpr_kernarg_segment_ptr 1
		.amdhsa_user_sgpr_dispatch_id 0
		.amdhsa_user_sgpr_kernarg_preload_length 0
		.amdhsa_user_sgpr_kernarg_preload_offset 0
		.amdhsa_user_sgpr_private_segment_size 0
		.amdhsa_uses_dynamic_stack 0
		.amdhsa_enable_private_segment 1
		.amdhsa_system_sgpr_workgroup_id_x 1
		.amdhsa_system_sgpr_workgroup_id_y 0
		.amdhsa_system_sgpr_workgroup_id_z 0
		.amdhsa_system_sgpr_workgroup_info 0
		.amdhsa_system_vgpr_workitem_id 0
		.amdhsa_next_free_vgpr 41
		.amdhsa_next_free_sgpr 34
		.amdhsa_accum_offset 44
		.amdhsa_reserve_vcc 1
		.amdhsa_float_round_mode_32 0
		.amdhsa_float_round_mode_16_64 0
		.amdhsa_float_denorm_mode_32 3
		.amdhsa_float_denorm_mode_16_64 3
		.amdhsa_dx10_clamp 1
		.amdhsa_ieee_mode 1
		.amdhsa_fp16_overflow 0
		.amdhsa_tg_split 0
		.amdhsa_exception_fp_ieee_invalid_op 0
		.amdhsa_exception_fp_denorm_src 0
		.amdhsa_exception_fp_ieee_div_zero 0
		.amdhsa_exception_fp_ieee_overflow 0
		.amdhsa_exception_fp_ieee_underflow 0
		.amdhsa_exception_fp_ieee_inexact 0
		.amdhsa_exception_int_div_zero 0
	.end_amdhsa_kernel
	.section	.text._ZL9mul_mat_fIfLi32ELi14ELi6ELb1EEvPKT_PKfPKiPfiiiiiiiiiiiiiiii,"axG",@progbits,_ZL9mul_mat_fIfLi32ELi14ELi6ELb1EEvPKT_PKfPKiPfiiiiiiiiiiiiiiii,comdat
.Lfunc_end19:
	.size	_ZL9mul_mat_fIfLi32ELi14ELi6ELb1EEvPKT_PKfPKiPfiiiiiiiiiiiiiiii, .Lfunc_end19-_ZL9mul_mat_fIfLi32ELi14ELi6ELb1EEvPKT_PKfPKiPfiiiiiiiiiiiiiiii
                                        ; -- End function
	.section	.AMDGPU.csdata,"",@progbits
; Kernel info:
; codeLenInByte = 72
; NumSgprs: 40
; NumVgprs: 41
; NumAgprs: 0
; TotalNumVgprs: 41
; ScratchSize: 16
; MemoryBound: 0
; FloatMode: 240
; IeeeMode: 1
; LDSByteSize: 0 bytes/workgroup (compile time only)
; SGPRBlocks: 4
; VGPRBlocks: 5
; NumSGPRsForWavesPerEU: 40
; NumVGPRsForWavesPerEU: 41
; AccumOffset: 44
; Occupancy: 8
; WaveLimiterHint : 1
; COMPUTE_PGM_RSRC2:SCRATCH_EN: 1
; COMPUTE_PGM_RSRC2:USER_SGPR: 2
; COMPUTE_PGM_RSRC2:TRAP_HANDLER: 0
; COMPUTE_PGM_RSRC2:TGID_X_EN: 1
; COMPUTE_PGM_RSRC2:TGID_Y_EN: 0
; COMPUTE_PGM_RSRC2:TGID_Z_EN: 0
; COMPUTE_PGM_RSRC2:TIDIG_COMP_CNT: 0
; COMPUTE_PGM_RSRC3_GFX90A:ACCUM_OFFSET: 10
; COMPUTE_PGM_RSRC3_GFX90A:TG_SPLIT: 0
	.section	.text._ZL9mul_mat_fIfLi32ELi14ELi6ELb0EEvPKT_PKfPKiPfiiiiiiiiiiiiiiii,"axG",@progbits,_ZL9mul_mat_fIfLi32ELi14ELi6ELb0EEvPKT_PKfPKiPfiiiiiiiiiiiiiiii,comdat
	.globl	_ZL9mul_mat_fIfLi32ELi14ELi6ELb0EEvPKT_PKfPKiPfiiiiiiiiiiiiiiii ; -- Begin function _ZL9mul_mat_fIfLi32ELi14ELi6ELb0EEvPKT_PKfPKiPfiiiiiiiiiiiiiiii
	.p2align	8
	.type	_ZL9mul_mat_fIfLi32ELi14ELi6ELb0EEvPKT_PKfPKiPfiiiiiiiiiiiiiiii,@function
_ZL9mul_mat_fIfLi32ELi14ELi6ELb0EEvPKT_PKfPKiPfiiiiiiiiiiiiiiii: ; @_ZL9mul_mat_fIfLi32ELi14ELi6ELb0EEvPKT_PKfPKiPfiiiiiiiiiiiiiiii
; %bb.0:
	s_add_u32 s8, s0, 0x60
	s_addc_u32 s9, s1, 0
	s_getpc_b64 s[0:1]
	s_add_u32 s0, s0, __FUNCTION__._ZL9mul_mat_fIfLi32ELi14ELi1ELb1EEvPKT_PKfPKiPfiiiiiiiiiiiiiiii@rel32@lo+4
	s_addc_u32 s1, s1, __FUNCTION__._ZL9mul_mat_fIfLi32ELi14ELi1ELb1EEvPKT_PKfPKiPfiiiiiiiiiiiiiiii@rel32@hi+12
	v_mov_b32_e32 v0, 64
	v_mov_b32_e32 v1, s0
	;; [unrolled: 1-line block ×3, first 2 shown]
	s_mov_b32 s32, 0
	s_getpc_b64 s[2:3]
	s_add_u32 s2, s2, _ZL14no_device_codePKciS0_iS0_@rel32@lo+4
	s_addc_u32 s3, s3, _ZL14no_device_codePKciS0_iS0_@rel32@hi+12
	s_swappc_b64 s[30:31], s[2:3]
	.section	.rodata,"a",@progbits
	.p2align	6, 0x0
	.amdhsa_kernel _ZL9mul_mat_fIfLi32ELi14ELi6ELb0EEvPKT_PKfPKiPfiiiiiiiiiiiiiiii
		.amdhsa_group_segment_fixed_size 0
		.amdhsa_private_segment_fixed_size 16
		.amdhsa_kernarg_size 352
		.amdhsa_user_sgpr_count 2
		.amdhsa_user_sgpr_dispatch_ptr 0
		.amdhsa_user_sgpr_queue_ptr 0
		.amdhsa_user_sgpr_kernarg_segment_ptr 1
		.amdhsa_user_sgpr_dispatch_id 0
		.amdhsa_user_sgpr_kernarg_preload_length 0
		.amdhsa_user_sgpr_kernarg_preload_offset 0
		.amdhsa_user_sgpr_private_segment_size 0
		.amdhsa_uses_dynamic_stack 0
		.amdhsa_enable_private_segment 1
		.amdhsa_system_sgpr_workgroup_id_x 1
		.amdhsa_system_sgpr_workgroup_id_y 0
		.amdhsa_system_sgpr_workgroup_id_z 0
		.amdhsa_system_sgpr_workgroup_info 0
		.amdhsa_system_vgpr_workitem_id 0
		.amdhsa_next_free_vgpr 41
		.amdhsa_next_free_sgpr 34
		.amdhsa_accum_offset 44
		.amdhsa_reserve_vcc 1
		.amdhsa_float_round_mode_32 0
		.amdhsa_float_round_mode_16_64 0
		.amdhsa_float_denorm_mode_32 3
		.amdhsa_float_denorm_mode_16_64 3
		.amdhsa_dx10_clamp 1
		.amdhsa_ieee_mode 1
		.amdhsa_fp16_overflow 0
		.amdhsa_tg_split 0
		.amdhsa_exception_fp_ieee_invalid_op 0
		.amdhsa_exception_fp_denorm_src 0
		.amdhsa_exception_fp_ieee_div_zero 0
		.amdhsa_exception_fp_ieee_overflow 0
		.amdhsa_exception_fp_ieee_underflow 0
		.amdhsa_exception_fp_ieee_inexact 0
		.amdhsa_exception_int_div_zero 0
	.end_amdhsa_kernel
	.section	.text._ZL9mul_mat_fIfLi32ELi14ELi6ELb0EEvPKT_PKfPKiPfiiiiiiiiiiiiiiii,"axG",@progbits,_ZL9mul_mat_fIfLi32ELi14ELi6ELb0EEvPKT_PKfPKiPfiiiiiiiiiiiiiiii,comdat
.Lfunc_end20:
	.size	_ZL9mul_mat_fIfLi32ELi14ELi6ELb0EEvPKT_PKfPKiPfiiiiiiiiiiiiiiii, .Lfunc_end20-_ZL9mul_mat_fIfLi32ELi14ELi6ELb0EEvPKT_PKfPKiPfiiiiiiiiiiiiiiii
                                        ; -- End function
	.section	.AMDGPU.csdata,"",@progbits
; Kernel info:
; codeLenInByte = 72
; NumSgprs: 40
; NumVgprs: 41
; NumAgprs: 0
; TotalNumVgprs: 41
; ScratchSize: 16
; MemoryBound: 0
; FloatMode: 240
; IeeeMode: 1
; LDSByteSize: 0 bytes/workgroup (compile time only)
; SGPRBlocks: 4
; VGPRBlocks: 5
; NumSGPRsForWavesPerEU: 40
; NumVGPRsForWavesPerEU: 41
; AccumOffset: 44
; Occupancy: 8
; WaveLimiterHint : 1
; COMPUTE_PGM_RSRC2:SCRATCH_EN: 1
; COMPUTE_PGM_RSRC2:USER_SGPR: 2
; COMPUTE_PGM_RSRC2:TRAP_HANDLER: 0
; COMPUTE_PGM_RSRC2:TGID_X_EN: 1
; COMPUTE_PGM_RSRC2:TGID_Y_EN: 0
; COMPUTE_PGM_RSRC2:TGID_Z_EN: 0
; COMPUTE_PGM_RSRC2:TIDIG_COMP_CNT: 0
; COMPUTE_PGM_RSRC3_GFX90A:ACCUM_OFFSET: 10
; COMPUTE_PGM_RSRC3_GFX90A:TG_SPLIT: 0
	.section	.text._ZL13mul_mat_f_idsIfLi32ELi14ELi7EEvPKT_PKfPKiS6_S6_Pfiiiiiiiiiiiiii15HIP_vector_typeIjLj3EES9_,"axG",@progbits,_ZL13mul_mat_f_idsIfLi32ELi14ELi7EEvPKT_PKfPKiS6_S6_Pfiiiiiiiiiiiiii15HIP_vector_typeIjLj3EES9_,comdat
	.globl	_ZL13mul_mat_f_idsIfLi32ELi14ELi7EEvPKT_PKfPKiS6_S6_Pfiiiiiiiiiiiiii15HIP_vector_typeIjLj3EES9_ ; -- Begin function _ZL13mul_mat_f_idsIfLi32ELi14ELi7EEvPKT_PKfPKiS6_S6_Pfiiiiiiiiiiiiii15HIP_vector_typeIjLj3EES9_
	.p2align	8
	.type	_ZL13mul_mat_f_idsIfLi32ELi14ELi7EEvPKT_PKfPKiS6_S6_Pfiiiiiiiiiiiiii15HIP_vector_typeIjLj3EES9_,@function
_ZL13mul_mat_f_idsIfLi32ELi14ELi7EEvPKT_PKfPKiS6_S6_Pfiiiiiiiiiiiiii15HIP_vector_typeIjLj3EES9_: ; @_ZL13mul_mat_f_idsIfLi32ELi14ELi7EEvPKT_PKfPKiS6_S6_Pfiiiiiiiiiiiiii15HIP_vector_typeIjLj3EES9_
; %bb.0:
	s_add_u32 s8, s0, 0x80
	s_addc_u32 s9, s1, 0
	s_getpc_b64 s[0:1]
	s_add_u32 s0, s0, __FUNCTION__._ZL13mul_mat_f_idsIfLi32ELi14ELi1EEvPKT_PKfPKiS6_S6_Pfiiiiiiiiiiiiii15HIP_vector_typeIjLj3EES9_@rel32@lo+4
	s_addc_u32 s1, s1, __FUNCTION__._ZL13mul_mat_f_idsIfLi32ELi14ELi1EEvPKT_PKfPKiS6_S6_Pfiiiiiiiiiiiiii15HIP_vector_typeIjLj3EES9_@rel32@hi+12
	v_mov_b32_e32 v0, 0x13b
	v_mov_b32_e32 v1, s0
	;; [unrolled: 1-line block ×3, first 2 shown]
	s_mov_b32 s32, 0
	s_getpc_b64 s[2:3]
	s_add_u32 s2, s2, _ZL14no_device_codePKciS0_iS0_@rel32@lo+4
	s_addc_u32 s3, s3, _ZL14no_device_codePKciS0_iS0_@rel32@hi+12
	s_swappc_b64 s[30:31], s[2:3]
	.section	.rodata,"a",@progbits
	.p2align	6, 0x0
	.amdhsa_kernel _ZL13mul_mat_f_idsIfLi32ELi14ELi7EEvPKT_PKfPKiS6_S6_Pfiiiiiiiiiiiiii15HIP_vector_typeIjLj3EES9_
		.amdhsa_group_segment_fixed_size 0
		.amdhsa_private_segment_fixed_size 16
		.amdhsa_kernarg_size 384
		.amdhsa_user_sgpr_count 2
		.amdhsa_user_sgpr_dispatch_ptr 0
		.amdhsa_user_sgpr_queue_ptr 0
		.amdhsa_user_sgpr_kernarg_segment_ptr 1
		.amdhsa_user_sgpr_dispatch_id 0
		.amdhsa_user_sgpr_kernarg_preload_length 0
		.amdhsa_user_sgpr_kernarg_preload_offset 0
		.amdhsa_user_sgpr_private_segment_size 0
		.amdhsa_uses_dynamic_stack 0
		.amdhsa_enable_private_segment 1
		.amdhsa_system_sgpr_workgroup_id_x 1
		.amdhsa_system_sgpr_workgroup_id_y 0
		.amdhsa_system_sgpr_workgroup_id_z 0
		.amdhsa_system_sgpr_workgroup_info 0
		.amdhsa_system_vgpr_workitem_id 0
		.amdhsa_next_free_vgpr 41
		.amdhsa_next_free_sgpr 34
		.amdhsa_accum_offset 44
		.amdhsa_reserve_vcc 1
		.amdhsa_float_round_mode_32 0
		.amdhsa_float_round_mode_16_64 0
		.amdhsa_float_denorm_mode_32 3
		.amdhsa_float_denorm_mode_16_64 3
		.amdhsa_dx10_clamp 1
		.amdhsa_ieee_mode 1
		.amdhsa_fp16_overflow 0
		.amdhsa_tg_split 0
		.amdhsa_exception_fp_ieee_invalid_op 0
		.amdhsa_exception_fp_denorm_src 0
		.amdhsa_exception_fp_ieee_div_zero 0
		.amdhsa_exception_fp_ieee_overflow 0
		.amdhsa_exception_fp_ieee_underflow 0
		.amdhsa_exception_fp_ieee_inexact 0
		.amdhsa_exception_int_div_zero 0
	.end_amdhsa_kernel
	.section	.text._ZL13mul_mat_f_idsIfLi32ELi14ELi7EEvPKT_PKfPKiS6_S6_Pfiiiiiiiiiiiiii15HIP_vector_typeIjLj3EES9_,"axG",@progbits,_ZL13mul_mat_f_idsIfLi32ELi14ELi7EEvPKT_PKfPKiS6_S6_Pfiiiiiiiiiiiiii15HIP_vector_typeIjLj3EES9_,comdat
.Lfunc_end21:
	.size	_ZL13mul_mat_f_idsIfLi32ELi14ELi7EEvPKT_PKfPKiS6_S6_Pfiiiiiiiiiiiiii15HIP_vector_typeIjLj3EES9_, .Lfunc_end21-_ZL13mul_mat_f_idsIfLi32ELi14ELi7EEvPKT_PKfPKiS6_S6_Pfiiiiiiiiiiiiii15HIP_vector_typeIjLj3EES9_
                                        ; -- End function
	.section	.AMDGPU.csdata,"",@progbits
; Kernel info:
; codeLenInByte = 76
; NumSgprs: 40
; NumVgprs: 41
; NumAgprs: 0
; TotalNumVgprs: 41
; ScratchSize: 16
; MemoryBound: 0
; FloatMode: 240
; IeeeMode: 1
; LDSByteSize: 0 bytes/workgroup (compile time only)
; SGPRBlocks: 4
; VGPRBlocks: 5
; NumSGPRsForWavesPerEU: 40
; NumVGPRsForWavesPerEU: 41
; AccumOffset: 44
; Occupancy: 7
; WaveLimiterHint : 1
; COMPUTE_PGM_RSRC2:SCRATCH_EN: 1
; COMPUTE_PGM_RSRC2:USER_SGPR: 2
; COMPUTE_PGM_RSRC2:TRAP_HANDLER: 0
; COMPUTE_PGM_RSRC2:TGID_X_EN: 1
; COMPUTE_PGM_RSRC2:TGID_Y_EN: 0
; COMPUTE_PGM_RSRC2:TGID_Z_EN: 0
; COMPUTE_PGM_RSRC2:TIDIG_COMP_CNT: 0
; COMPUTE_PGM_RSRC3_GFX90A:ACCUM_OFFSET: 10
; COMPUTE_PGM_RSRC3_GFX90A:TG_SPLIT: 0
	.section	.text._ZL9mul_mat_fIfLi32ELi14ELi7ELb1EEvPKT_PKfPKiPfiiiiiiiiiiiiiiii,"axG",@progbits,_ZL9mul_mat_fIfLi32ELi14ELi7ELb1EEvPKT_PKfPKiPfiiiiiiiiiiiiiiii,comdat
	.globl	_ZL9mul_mat_fIfLi32ELi14ELi7ELb1EEvPKT_PKfPKiPfiiiiiiiiiiiiiiii ; -- Begin function _ZL9mul_mat_fIfLi32ELi14ELi7ELb1EEvPKT_PKfPKiPfiiiiiiiiiiiiiiii
	.p2align	8
	.type	_ZL9mul_mat_fIfLi32ELi14ELi7ELb1EEvPKT_PKfPKiPfiiiiiiiiiiiiiiii,@function
_ZL9mul_mat_fIfLi32ELi14ELi7ELb1EEvPKT_PKfPKiPfiiiiiiiiiiiiiiii: ; @_ZL9mul_mat_fIfLi32ELi14ELi7ELb1EEvPKT_PKfPKiPfiiiiiiiiiiiiiiii
; %bb.0:
	s_add_u32 s8, s0, 0x60
	s_addc_u32 s9, s1, 0
	s_getpc_b64 s[0:1]
	s_add_u32 s0, s0, __FUNCTION__._ZL9mul_mat_fIfLi32ELi14ELi1ELb1EEvPKT_PKfPKiPfiiiiiiiiiiiiiiii@rel32@lo+4
	s_addc_u32 s1, s1, __FUNCTION__._ZL9mul_mat_fIfLi32ELi14ELi1ELb1EEvPKT_PKfPKiPfiiiiiiiiiiiiiiii@rel32@hi+12
	v_mov_b32_e32 v0, 64
	v_mov_b32_e32 v1, s0
	;; [unrolled: 1-line block ×3, first 2 shown]
	s_mov_b32 s32, 0
	s_getpc_b64 s[2:3]
	s_add_u32 s2, s2, _ZL14no_device_codePKciS0_iS0_@rel32@lo+4
	s_addc_u32 s3, s3, _ZL14no_device_codePKciS0_iS0_@rel32@hi+12
	s_swappc_b64 s[30:31], s[2:3]
	.section	.rodata,"a",@progbits
	.p2align	6, 0x0
	.amdhsa_kernel _ZL9mul_mat_fIfLi32ELi14ELi7ELb1EEvPKT_PKfPKiPfiiiiiiiiiiiiiiii
		.amdhsa_group_segment_fixed_size 0
		.amdhsa_private_segment_fixed_size 16
		.amdhsa_kernarg_size 352
		.amdhsa_user_sgpr_count 2
		.amdhsa_user_sgpr_dispatch_ptr 0
		.amdhsa_user_sgpr_queue_ptr 0
		.amdhsa_user_sgpr_kernarg_segment_ptr 1
		.amdhsa_user_sgpr_dispatch_id 0
		.amdhsa_user_sgpr_kernarg_preload_length 0
		.amdhsa_user_sgpr_kernarg_preload_offset 0
		.amdhsa_user_sgpr_private_segment_size 0
		.amdhsa_uses_dynamic_stack 0
		.amdhsa_enable_private_segment 1
		.amdhsa_system_sgpr_workgroup_id_x 1
		.amdhsa_system_sgpr_workgroup_id_y 0
		.amdhsa_system_sgpr_workgroup_id_z 0
		.amdhsa_system_sgpr_workgroup_info 0
		.amdhsa_system_vgpr_workitem_id 0
		.amdhsa_next_free_vgpr 41
		.amdhsa_next_free_sgpr 34
		.amdhsa_accum_offset 44
		.amdhsa_reserve_vcc 1
		.amdhsa_float_round_mode_32 0
		.amdhsa_float_round_mode_16_64 0
		.amdhsa_float_denorm_mode_32 3
		.amdhsa_float_denorm_mode_16_64 3
		.amdhsa_dx10_clamp 1
		.amdhsa_ieee_mode 1
		.amdhsa_fp16_overflow 0
		.amdhsa_tg_split 0
		.amdhsa_exception_fp_ieee_invalid_op 0
		.amdhsa_exception_fp_denorm_src 0
		.amdhsa_exception_fp_ieee_div_zero 0
		.amdhsa_exception_fp_ieee_overflow 0
		.amdhsa_exception_fp_ieee_underflow 0
		.amdhsa_exception_fp_ieee_inexact 0
		.amdhsa_exception_int_div_zero 0
	.end_amdhsa_kernel
	.section	.text._ZL9mul_mat_fIfLi32ELi14ELi7ELb1EEvPKT_PKfPKiPfiiiiiiiiiiiiiiii,"axG",@progbits,_ZL9mul_mat_fIfLi32ELi14ELi7ELb1EEvPKT_PKfPKiPfiiiiiiiiiiiiiiii,comdat
.Lfunc_end22:
	.size	_ZL9mul_mat_fIfLi32ELi14ELi7ELb1EEvPKT_PKfPKiPfiiiiiiiiiiiiiiii, .Lfunc_end22-_ZL9mul_mat_fIfLi32ELi14ELi7ELb1EEvPKT_PKfPKiPfiiiiiiiiiiiiiiii
                                        ; -- End function
	.section	.AMDGPU.csdata,"",@progbits
; Kernel info:
; codeLenInByte = 72
; NumSgprs: 40
; NumVgprs: 41
; NumAgprs: 0
; TotalNumVgprs: 41
; ScratchSize: 16
; MemoryBound: 0
; FloatMode: 240
; IeeeMode: 1
; LDSByteSize: 0 bytes/workgroup (compile time only)
; SGPRBlocks: 4
; VGPRBlocks: 5
; NumSGPRsForWavesPerEU: 40
; NumVGPRsForWavesPerEU: 41
; AccumOffset: 44
; Occupancy: 7
; WaveLimiterHint : 1
; COMPUTE_PGM_RSRC2:SCRATCH_EN: 1
; COMPUTE_PGM_RSRC2:USER_SGPR: 2
; COMPUTE_PGM_RSRC2:TRAP_HANDLER: 0
; COMPUTE_PGM_RSRC2:TGID_X_EN: 1
; COMPUTE_PGM_RSRC2:TGID_Y_EN: 0
; COMPUTE_PGM_RSRC2:TGID_Z_EN: 0
; COMPUTE_PGM_RSRC2:TIDIG_COMP_CNT: 0
; COMPUTE_PGM_RSRC3_GFX90A:ACCUM_OFFSET: 10
; COMPUTE_PGM_RSRC3_GFX90A:TG_SPLIT: 0
	.section	.text._ZL9mul_mat_fIfLi32ELi14ELi7ELb0EEvPKT_PKfPKiPfiiiiiiiiiiiiiiii,"axG",@progbits,_ZL9mul_mat_fIfLi32ELi14ELi7ELb0EEvPKT_PKfPKiPfiiiiiiiiiiiiiiii,comdat
	.globl	_ZL9mul_mat_fIfLi32ELi14ELi7ELb0EEvPKT_PKfPKiPfiiiiiiiiiiiiiiii ; -- Begin function _ZL9mul_mat_fIfLi32ELi14ELi7ELb0EEvPKT_PKfPKiPfiiiiiiiiiiiiiiii
	.p2align	8
	.type	_ZL9mul_mat_fIfLi32ELi14ELi7ELb0EEvPKT_PKfPKiPfiiiiiiiiiiiiiiii,@function
_ZL9mul_mat_fIfLi32ELi14ELi7ELb0EEvPKT_PKfPKiPfiiiiiiiiiiiiiiii: ; @_ZL9mul_mat_fIfLi32ELi14ELi7ELb0EEvPKT_PKfPKiPfiiiiiiiiiiiiiiii
; %bb.0:
	s_add_u32 s8, s0, 0x60
	s_addc_u32 s9, s1, 0
	s_getpc_b64 s[0:1]
	s_add_u32 s0, s0, __FUNCTION__._ZL9mul_mat_fIfLi32ELi14ELi1ELb1EEvPKT_PKfPKiPfiiiiiiiiiiiiiiii@rel32@lo+4
	s_addc_u32 s1, s1, __FUNCTION__._ZL9mul_mat_fIfLi32ELi14ELi1ELb1EEvPKT_PKfPKiPfiiiiiiiiiiiiiiii@rel32@hi+12
	v_mov_b32_e32 v0, 64
	v_mov_b32_e32 v1, s0
	;; [unrolled: 1-line block ×3, first 2 shown]
	s_mov_b32 s32, 0
	s_getpc_b64 s[2:3]
	s_add_u32 s2, s2, _ZL14no_device_codePKciS0_iS0_@rel32@lo+4
	s_addc_u32 s3, s3, _ZL14no_device_codePKciS0_iS0_@rel32@hi+12
	s_swappc_b64 s[30:31], s[2:3]
	.section	.rodata,"a",@progbits
	.p2align	6, 0x0
	.amdhsa_kernel _ZL9mul_mat_fIfLi32ELi14ELi7ELb0EEvPKT_PKfPKiPfiiiiiiiiiiiiiiii
		.amdhsa_group_segment_fixed_size 0
		.amdhsa_private_segment_fixed_size 16
		.amdhsa_kernarg_size 352
		.amdhsa_user_sgpr_count 2
		.amdhsa_user_sgpr_dispatch_ptr 0
		.amdhsa_user_sgpr_queue_ptr 0
		.amdhsa_user_sgpr_kernarg_segment_ptr 1
		.amdhsa_user_sgpr_dispatch_id 0
		.amdhsa_user_sgpr_kernarg_preload_length 0
		.amdhsa_user_sgpr_kernarg_preload_offset 0
		.amdhsa_user_sgpr_private_segment_size 0
		.amdhsa_uses_dynamic_stack 0
		.amdhsa_enable_private_segment 1
		.amdhsa_system_sgpr_workgroup_id_x 1
		.amdhsa_system_sgpr_workgroup_id_y 0
		.amdhsa_system_sgpr_workgroup_id_z 0
		.amdhsa_system_sgpr_workgroup_info 0
		.amdhsa_system_vgpr_workitem_id 0
		.amdhsa_next_free_vgpr 41
		.amdhsa_next_free_sgpr 34
		.amdhsa_accum_offset 44
		.amdhsa_reserve_vcc 1
		.amdhsa_float_round_mode_32 0
		.amdhsa_float_round_mode_16_64 0
		.amdhsa_float_denorm_mode_32 3
		.amdhsa_float_denorm_mode_16_64 3
		.amdhsa_dx10_clamp 1
		.amdhsa_ieee_mode 1
		.amdhsa_fp16_overflow 0
		.amdhsa_tg_split 0
		.amdhsa_exception_fp_ieee_invalid_op 0
		.amdhsa_exception_fp_denorm_src 0
		.amdhsa_exception_fp_ieee_div_zero 0
		.amdhsa_exception_fp_ieee_overflow 0
		.amdhsa_exception_fp_ieee_underflow 0
		.amdhsa_exception_fp_ieee_inexact 0
		.amdhsa_exception_int_div_zero 0
	.end_amdhsa_kernel
	.section	.text._ZL9mul_mat_fIfLi32ELi14ELi7ELb0EEvPKT_PKfPKiPfiiiiiiiiiiiiiiii,"axG",@progbits,_ZL9mul_mat_fIfLi32ELi14ELi7ELb0EEvPKT_PKfPKiPfiiiiiiiiiiiiiiii,comdat
.Lfunc_end23:
	.size	_ZL9mul_mat_fIfLi32ELi14ELi7ELb0EEvPKT_PKfPKiPfiiiiiiiiiiiiiiii, .Lfunc_end23-_ZL9mul_mat_fIfLi32ELi14ELi7ELb0EEvPKT_PKfPKiPfiiiiiiiiiiiiiiii
                                        ; -- End function
	.section	.AMDGPU.csdata,"",@progbits
; Kernel info:
; codeLenInByte = 72
; NumSgprs: 40
; NumVgprs: 41
; NumAgprs: 0
; TotalNumVgprs: 41
; ScratchSize: 16
; MemoryBound: 0
; FloatMode: 240
; IeeeMode: 1
; LDSByteSize: 0 bytes/workgroup (compile time only)
; SGPRBlocks: 4
; VGPRBlocks: 5
; NumSGPRsForWavesPerEU: 40
; NumVGPRsForWavesPerEU: 41
; AccumOffset: 44
; Occupancy: 7
; WaveLimiterHint : 1
; COMPUTE_PGM_RSRC2:SCRATCH_EN: 1
; COMPUTE_PGM_RSRC2:USER_SGPR: 2
; COMPUTE_PGM_RSRC2:TRAP_HANDLER: 0
; COMPUTE_PGM_RSRC2:TGID_X_EN: 1
; COMPUTE_PGM_RSRC2:TGID_Y_EN: 0
; COMPUTE_PGM_RSRC2:TGID_Z_EN: 0
; COMPUTE_PGM_RSRC2:TIDIG_COMP_CNT: 0
; COMPUTE_PGM_RSRC3_GFX90A:ACCUM_OFFSET: 10
; COMPUTE_PGM_RSRC3_GFX90A:TG_SPLIT: 0
	.section	.text._ZL13mul_mat_f_idsIfLi32ELi14ELi8EEvPKT_PKfPKiS6_S6_Pfiiiiiiiiiiiiii15HIP_vector_typeIjLj3EES9_,"axG",@progbits,_ZL13mul_mat_f_idsIfLi32ELi14ELi8EEvPKT_PKfPKiS6_S6_Pfiiiiiiiiiiiiii15HIP_vector_typeIjLj3EES9_,comdat
	.globl	_ZL13mul_mat_f_idsIfLi32ELi14ELi8EEvPKT_PKfPKiS6_S6_Pfiiiiiiiiiiiiii15HIP_vector_typeIjLj3EES9_ ; -- Begin function _ZL13mul_mat_f_idsIfLi32ELi14ELi8EEvPKT_PKfPKiS6_S6_Pfiiiiiiiiiiiiii15HIP_vector_typeIjLj3EES9_
	.p2align	8
	.type	_ZL13mul_mat_f_idsIfLi32ELi14ELi8EEvPKT_PKfPKiS6_S6_Pfiiiiiiiiiiiiii15HIP_vector_typeIjLj3EES9_,@function
_ZL13mul_mat_f_idsIfLi32ELi14ELi8EEvPKT_PKfPKiS6_S6_Pfiiiiiiiiiiiiii15HIP_vector_typeIjLj3EES9_: ; @_ZL13mul_mat_f_idsIfLi32ELi14ELi8EEvPKT_PKfPKiS6_S6_Pfiiiiiiiiiiiiii15HIP_vector_typeIjLj3EES9_
; %bb.0:
	s_add_u32 s8, s0, 0x80
	s_addc_u32 s9, s1, 0
	s_getpc_b64 s[0:1]
	s_add_u32 s0, s0, __FUNCTION__._ZL13mul_mat_f_idsIfLi32ELi14ELi1EEvPKT_PKfPKiS6_S6_Pfiiiiiiiiiiiiii15HIP_vector_typeIjLj3EES9_@rel32@lo+4
	s_addc_u32 s1, s1, __FUNCTION__._ZL13mul_mat_f_idsIfLi32ELi14ELi1EEvPKT_PKfPKiS6_S6_Pfiiiiiiiiiiiiii15HIP_vector_typeIjLj3EES9_@rel32@hi+12
	v_mov_b32_e32 v0, 0x13b
	v_mov_b32_e32 v1, s0
	;; [unrolled: 1-line block ×3, first 2 shown]
	s_mov_b32 s32, 0
	s_getpc_b64 s[2:3]
	s_add_u32 s2, s2, _ZL14no_device_codePKciS0_iS0_@rel32@lo+4
	s_addc_u32 s3, s3, _ZL14no_device_codePKciS0_iS0_@rel32@hi+12
	s_swappc_b64 s[30:31], s[2:3]
	.section	.rodata,"a",@progbits
	.p2align	6, 0x0
	.amdhsa_kernel _ZL13mul_mat_f_idsIfLi32ELi14ELi8EEvPKT_PKfPKiS6_S6_Pfiiiiiiiiiiiiii15HIP_vector_typeIjLj3EES9_
		.amdhsa_group_segment_fixed_size 0
		.amdhsa_private_segment_fixed_size 16
		.amdhsa_kernarg_size 384
		.amdhsa_user_sgpr_count 2
		.amdhsa_user_sgpr_dispatch_ptr 0
		.amdhsa_user_sgpr_queue_ptr 0
		.amdhsa_user_sgpr_kernarg_segment_ptr 1
		.amdhsa_user_sgpr_dispatch_id 0
		.amdhsa_user_sgpr_kernarg_preload_length 0
		.amdhsa_user_sgpr_kernarg_preload_offset 0
		.amdhsa_user_sgpr_private_segment_size 0
		.amdhsa_uses_dynamic_stack 0
		.amdhsa_enable_private_segment 1
		.amdhsa_system_sgpr_workgroup_id_x 1
		.amdhsa_system_sgpr_workgroup_id_y 0
		.amdhsa_system_sgpr_workgroup_id_z 0
		.amdhsa_system_sgpr_workgroup_info 0
		.amdhsa_system_vgpr_workitem_id 0
		.amdhsa_next_free_vgpr 41
		.amdhsa_next_free_sgpr 34
		.amdhsa_accum_offset 44
		.amdhsa_reserve_vcc 1
		.amdhsa_float_round_mode_32 0
		.amdhsa_float_round_mode_16_64 0
		.amdhsa_float_denorm_mode_32 3
		.amdhsa_float_denorm_mode_16_64 3
		.amdhsa_dx10_clamp 1
		.amdhsa_ieee_mode 1
		.amdhsa_fp16_overflow 0
		.amdhsa_tg_split 0
		.amdhsa_exception_fp_ieee_invalid_op 0
		.amdhsa_exception_fp_denorm_src 0
		.amdhsa_exception_fp_ieee_div_zero 0
		.amdhsa_exception_fp_ieee_overflow 0
		.amdhsa_exception_fp_ieee_underflow 0
		.amdhsa_exception_fp_ieee_inexact 0
		.amdhsa_exception_int_div_zero 0
	.end_amdhsa_kernel
	.section	.text._ZL13mul_mat_f_idsIfLi32ELi14ELi8EEvPKT_PKfPKiS6_S6_Pfiiiiiiiiiiiiii15HIP_vector_typeIjLj3EES9_,"axG",@progbits,_ZL13mul_mat_f_idsIfLi32ELi14ELi8EEvPKT_PKfPKiS6_S6_Pfiiiiiiiiiiiiii15HIP_vector_typeIjLj3EES9_,comdat
.Lfunc_end24:
	.size	_ZL13mul_mat_f_idsIfLi32ELi14ELi8EEvPKT_PKfPKiS6_S6_Pfiiiiiiiiiiiiii15HIP_vector_typeIjLj3EES9_, .Lfunc_end24-_ZL13mul_mat_f_idsIfLi32ELi14ELi8EEvPKT_PKfPKiS6_S6_Pfiiiiiiiiiiiiii15HIP_vector_typeIjLj3EES9_
                                        ; -- End function
	.section	.AMDGPU.csdata,"",@progbits
; Kernel info:
; codeLenInByte = 76
; NumSgprs: 40
; NumVgprs: 41
; NumAgprs: 0
; TotalNumVgprs: 41
; ScratchSize: 16
; MemoryBound: 0
; FloatMode: 240
; IeeeMode: 1
; LDSByteSize: 0 bytes/workgroup (compile time only)
; SGPRBlocks: 4
; VGPRBlocks: 5
; NumSGPRsForWavesPerEU: 40
; NumVGPRsForWavesPerEU: 41
; AccumOffset: 44
; Occupancy: 8
; WaveLimiterHint : 1
; COMPUTE_PGM_RSRC2:SCRATCH_EN: 1
; COMPUTE_PGM_RSRC2:USER_SGPR: 2
; COMPUTE_PGM_RSRC2:TRAP_HANDLER: 0
; COMPUTE_PGM_RSRC2:TGID_X_EN: 1
; COMPUTE_PGM_RSRC2:TGID_Y_EN: 0
; COMPUTE_PGM_RSRC2:TGID_Z_EN: 0
; COMPUTE_PGM_RSRC2:TIDIG_COMP_CNT: 0
; COMPUTE_PGM_RSRC3_GFX90A:ACCUM_OFFSET: 10
; COMPUTE_PGM_RSRC3_GFX90A:TG_SPLIT: 0
	.section	.text._ZL9mul_mat_fIfLi32ELi14ELi8ELb1EEvPKT_PKfPKiPfiiiiiiiiiiiiiiii,"axG",@progbits,_ZL9mul_mat_fIfLi32ELi14ELi8ELb1EEvPKT_PKfPKiPfiiiiiiiiiiiiiiii,comdat
	.globl	_ZL9mul_mat_fIfLi32ELi14ELi8ELb1EEvPKT_PKfPKiPfiiiiiiiiiiiiiiii ; -- Begin function _ZL9mul_mat_fIfLi32ELi14ELi8ELb1EEvPKT_PKfPKiPfiiiiiiiiiiiiiiii
	.p2align	8
	.type	_ZL9mul_mat_fIfLi32ELi14ELi8ELb1EEvPKT_PKfPKiPfiiiiiiiiiiiiiiii,@function
_ZL9mul_mat_fIfLi32ELi14ELi8ELb1EEvPKT_PKfPKiPfiiiiiiiiiiiiiiii: ; @_ZL9mul_mat_fIfLi32ELi14ELi8ELb1EEvPKT_PKfPKiPfiiiiiiiiiiiiiiii
; %bb.0:
	s_add_u32 s8, s0, 0x60
	s_addc_u32 s9, s1, 0
	s_getpc_b64 s[0:1]
	s_add_u32 s0, s0, __FUNCTION__._ZL9mul_mat_fIfLi32ELi14ELi1ELb1EEvPKT_PKfPKiPfiiiiiiiiiiiiiiii@rel32@lo+4
	s_addc_u32 s1, s1, __FUNCTION__._ZL9mul_mat_fIfLi32ELi14ELi1ELb1EEvPKT_PKfPKiPfiiiiiiiiiiiiiiii@rel32@hi+12
	v_mov_b32_e32 v0, 64
	v_mov_b32_e32 v1, s0
	;; [unrolled: 1-line block ×3, first 2 shown]
	s_mov_b32 s32, 0
	s_getpc_b64 s[2:3]
	s_add_u32 s2, s2, _ZL14no_device_codePKciS0_iS0_@rel32@lo+4
	s_addc_u32 s3, s3, _ZL14no_device_codePKciS0_iS0_@rel32@hi+12
	s_swappc_b64 s[30:31], s[2:3]
	.section	.rodata,"a",@progbits
	.p2align	6, 0x0
	.amdhsa_kernel _ZL9mul_mat_fIfLi32ELi14ELi8ELb1EEvPKT_PKfPKiPfiiiiiiiiiiiiiiii
		.amdhsa_group_segment_fixed_size 0
		.amdhsa_private_segment_fixed_size 16
		.amdhsa_kernarg_size 352
		.amdhsa_user_sgpr_count 2
		.amdhsa_user_sgpr_dispatch_ptr 0
		.amdhsa_user_sgpr_queue_ptr 0
		.amdhsa_user_sgpr_kernarg_segment_ptr 1
		.amdhsa_user_sgpr_dispatch_id 0
		.amdhsa_user_sgpr_kernarg_preload_length 0
		.amdhsa_user_sgpr_kernarg_preload_offset 0
		.amdhsa_user_sgpr_private_segment_size 0
		.amdhsa_uses_dynamic_stack 0
		.amdhsa_enable_private_segment 1
		.amdhsa_system_sgpr_workgroup_id_x 1
		.amdhsa_system_sgpr_workgroup_id_y 0
		.amdhsa_system_sgpr_workgroup_id_z 0
		.amdhsa_system_sgpr_workgroup_info 0
		.amdhsa_system_vgpr_workitem_id 0
		.amdhsa_next_free_vgpr 41
		.amdhsa_next_free_sgpr 34
		.amdhsa_accum_offset 44
		.amdhsa_reserve_vcc 1
		.amdhsa_float_round_mode_32 0
		.amdhsa_float_round_mode_16_64 0
		.amdhsa_float_denorm_mode_32 3
		.amdhsa_float_denorm_mode_16_64 3
		.amdhsa_dx10_clamp 1
		.amdhsa_ieee_mode 1
		.amdhsa_fp16_overflow 0
		.amdhsa_tg_split 0
		.amdhsa_exception_fp_ieee_invalid_op 0
		.amdhsa_exception_fp_denorm_src 0
		.amdhsa_exception_fp_ieee_div_zero 0
		.amdhsa_exception_fp_ieee_overflow 0
		.amdhsa_exception_fp_ieee_underflow 0
		.amdhsa_exception_fp_ieee_inexact 0
		.amdhsa_exception_int_div_zero 0
	.end_amdhsa_kernel
	.section	.text._ZL9mul_mat_fIfLi32ELi14ELi8ELb1EEvPKT_PKfPKiPfiiiiiiiiiiiiiiii,"axG",@progbits,_ZL9mul_mat_fIfLi32ELi14ELi8ELb1EEvPKT_PKfPKiPfiiiiiiiiiiiiiiii,comdat
.Lfunc_end25:
	.size	_ZL9mul_mat_fIfLi32ELi14ELi8ELb1EEvPKT_PKfPKiPfiiiiiiiiiiiiiiii, .Lfunc_end25-_ZL9mul_mat_fIfLi32ELi14ELi8ELb1EEvPKT_PKfPKiPfiiiiiiiiiiiiiiii
                                        ; -- End function
	.section	.AMDGPU.csdata,"",@progbits
; Kernel info:
; codeLenInByte = 72
; NumSgprs: 40
; NumVgprs: 41
; NumAgprs: 0
; TotalNumVgprs: 41
; ScratchSize: 16
; MemoryBound: 0
; FloatMode: 240
; IeeeMode: 1
; LDSByteSize: 0 bytes/workgroup (compile time only)
; SGPRBlocks: 4
; VGPRBlocks: 5
; NumSGPRsForWavesPerEU: 40
; NumVGPRsForWavesPerEU: 41
; AccumOffset: 44
; Occupancy: 8
; WaveLimiterHint : 1
; COMPUTE_PGM_RSRC2:SCRATCH_EN: 1
; COMPUTE_PGM_RSRC2:USER_SGPR: 2
; COMPUTE_PGM_RSRC2:TRAP_HANDLER: 0
; COMPUTE_PGM_RSRC2:TGID_X_EN: 1
; COMPUTE_PGM_RSRC2:TGID_Y_EN: 0
; COMPUTE_PGM_RSRC2:TGID_Z_EN: 0
; COMPUTE_PGM_RSRC2:TIDIG_COMP_CNT: 0
; COMPUTE_PGM_RSRC3_GFX90A:ACCUM_OFFSET: 10
; COMPUTE_PGM_RSRC3_GFX90A:TG_SPLIT: 0
	.section	.text._ZL9mul_mat_fIfLi32ELi14ELi8ELb0EEvPKT_PKfPKiPfiiiiiiiiiiiiiiii,"axG",@progbits,_ZL9mul_mat_fIfLi32ELi14ELi8ELb0EEvPKT_PKfPKiPfiiiiiiiiiiiiiiii,comdat
	.globl	_ZL9mul_mat_fIfLi32ELi14ELi8ELb0EEvPKT_PKfPKiPfiiiiiiiiiiiiiiii ; -- Begin function _ZL9mul_mat_fIfLi32ELi14ELi8ELb0EEvPKT_PKfPKiPfiiiiiiiiiiiiiiii
	.p2align	8
	.type	_ZL9mul_mat_fIfLi32ELi14ELi8ELb0EEvPKT_PKfPKiPfiiiiiiiiiiiiiiii,@function
_ZL9mul_mat_fIfLi32ELi14ELi8ELb0EEvPKT_PKfPKiPfiiiiiiiiiiiiiiii: ; @_ZL9mul_mat_fIfLi32ELi14ELi8ELb0EEvPKT_PKfPKiPfiiiiiiiiiiiiiiii
; %bb.0:
	s_add_u32 s8, s0, 0x60
	s_addc_u32 s9, s1, 0
	s_getpc_b64 s[0:1]
	s_add_u32 s0, s0, __FUNCTION__._ZL9mul_mat_fIfLi32ELi14ELi1ELb1EEvPKT_PKfPKiPfiiiiiiiiiiiiiiii@rel32@lo+4
	s_addc_u32 s1, s1, __FUNCTION__._ZL9mul_mat_fIfLi32ELi14ELi1ELb1EEvPKT_PKfPKiPfiiiiiiiiiiiiiiii@rel32@hi+12
	v_mov_b32_e32 v0, 64
	v_mov_b32_e32 v1, s0
	;; [unrolled: 1-line block ×3, first 2 shown]
	s_mov_b32 s32, 0
	s_getpc_b64 s[2:3]
	s_add_u32 s2, s2, _ZL14no_device_codePKciS0_iS0_@rel32@lo+4
	s_addc_u32 s3, s3, _ZL14no_device_codePKciS0_iS0_@rel32@hi+12
	s_swappc_b64 s[30:31], s[2:3]
	.section	.rodata,"a",@progbits
	.p2align	6, 0x0
	.amdhsa_kernel _ZL9mul_mat_fIfLi32ELi14ELi8ELb0EEvPKT_PKfPKiPfiiiiiiiiiiiiiiii
		.amdhsa_group_segment_fixed_size 0
		.amdhsa_private_segment_fixed_size 16
		.amdhsa_kernarg_size 352
		.amdhsa_user_sgpr_count 2
		.amdhsa_user_sgpr_dispatch_ptr 0
		.amdhsa_user_sgpr_queue_ptr 0
		.amdhsa_user_sgpr_kernarg_segment_ptr 1
		.amdhsa_user_sgpr_dispatch_id 0
		.amdhsa_user_sgpr_kernarg_preload_length 0
		.amdhsa_user_sgpr_kernarg_preload_offset 0
		.amdhsa_user_sgpr_private_segment_size 0
		.amdhsa_uses_dynamic_stack 0
		.amdhsa_enable_private_segment 1
		.amdhsa_system_sgpr_workgroup_id_x 1
		.amdhsa_system_sgpr_workgroup_id_y 0
		.amdhsa_system_sgpr_workgroup_id_z 0
		.amdhsa_system_sgpr_workgroup_info 0
		.amdhsa_system_vgpr_workitem_id 0
		.amdhsa_next_free_vgpr 41
		.amdhsa_next_free_sgpr 34
		.amdhsa_accum_offset 44
		.amdhsa_reserve_vcc 1
		.amdhsa_float_round_mode_32 0
		.amdhsa_float_round_mode_16_64 0
		.amdhsa_float_denorm_mode_32 3
		.amdhsa_float_denorm_mode_16_64 3
		.amdhsa_dx10_clamp 1
		.amdhsa_ieee_mode 1
		.amdhsa_fp16_overflow 0
		.amdhsa_tg_split 0
		.amdhsa_exception_fp_ieee_invalid_op 0
		.amdhsa_exception_fp_denorm_src 0
		.amdhsa_exception_fp_ieee_div_zero 0
		.amdhsa_exception_fp_ieee_overflow 0
		.amdhsa_exception_fp_ieee_underflow 0
		.amdhsa_exception_fp_ieee_inexact 0
		.amdhsa_exception_int_div_zero 0
	.end_amdhsa_kernel
	.section	.text._ZL9mul_mat_fIfLi32ELi14ELi8ELb0EEvPKT_PKfPKiPfiiiiiiiiiiiiiiii,"axG",@progbits,_ZL9mul_mat_fIfLi32ELi14ELi8ELb0EEvPKT_PKfPKiPfiiiiiiiiiiiiiiii,comdat
.Lfunc_end26:
	.size	_ZL9mul_mat_fIfLi32ELi14ELi8ELb0EEvPKT_PKfPKiPfiiiiiiiiiiiiiiii, .Lfunc_end26-_ZL9mul_mat_fIfLi32ELi14ELi8ELb0EEvPKT_PKfPKiPfiiiiiiiiiiiiiiii
                                        ; -- End function
	.section	.AMDGPU.csdata,"",@progbits
; Kernel info:
; codeLenInByte = 72
; NumSgprs: 40
; NumVgprs: 41
; NumAgprs: 0
; TotalNumVgprs: 41
; ScratchSize: 16
; MemoryBound: 0
; FloatMode: 240
; IeeeMode: 1
; LDSByteSize: 0 bytes/workgroup (compile time only)
; SGPRBlocks: 4
; VGPRBlocks: 5
; NumSGPRsForWavesPerEU: 40
; NumVGPRsForWavesPerEU: 41
; AccumOffset: 44
; Occupancy: 8
; WaveLimiterHint : 1
; COMPUTE_PGM_RSRC2:SCRATCH_EN: 1
; COMPUTE_PGM_RSRC2:USER_SGPR: 2
; COMPUTE_PGM_RSRC2:TRAP_HANDLER: 0
; COMPUTE_PGM_RSRC2:TGID_X_EN: 1
; COMPUTE_PGM_RSRC2:TGID_Y_EN: 0
; COMPUTE_PGM_RSRC2:TGID_Z_EN: 0
; COMPUTE_PGM_RSRC2:TIDIG_COMP_CNT: 0
; COMPUTE_PGM_RSRC3_GFX90A:ACCUM_OFFSET: 10
; COMPUTE_PGM_RSRC3_GFX90A:TG_SPLIT: 0
	.section	.text._ZL13mul_mat_f_idsI7__half2Li32ELi14ELi1EEvPKT_PKfPKiS7_S7_Pfiiiiiiiiiiiiii15HIP_vector_typeIjLj3EESA_,"axG",@progbits,_ZL13mul_mat_f_idsI7__half2Li32ELi14ELi1EEvPKT_PKfPKiS7_S7_Pfiiiiiiiiiiiiii15HIP_vector_typeIjLj3EESA_,comdat
	.globl	_ZL13mul_mat_f_idsI7__half2Li32ELi14ELi1EEvPKT_PKfPKiS7_S7_Pfiiiiiiiiiiiiii15HIP_vector_typeIjLj3EESA_ ; -- Begin function _ZL13mul_mat_f_idsI7__half2Li32ELi14ELi1EEvPKT_PKfPKiS7_S7_Pfiiiiiiiiiiiiii15HIP_vector_typeIjLj3EESA_
	.p2align	8
	.type	_ZL13mul_mat_f_idsI7__half2Li32ELi14ELi1EEvPKT_PKfPKiS7_S7_Pfiiiiiiiiiiiiii15HIP_vector_typeIjLj3EESA_,@function
_ZL13mul_mat_f_idsI7__half2Li32ELi14ELi1EEvPKT_PKfPKiS7_S7_Pfiiiiiiiiiiiiii15HIP_vector_typeIjLj3EESA_: ; @_ZL13mul_mat_f_idsI7__half2Li32ELi14ELi1EEvPKT_PKfPKiS7_S7_Pfiiiiiiiiiiiiii15HIP_vector_typeIjLj3EESA_
; %bb.0:
	s_add_u32 s8, s0, 0x80
	s_addc_u32 s9, s1, 0
	s_getpc_b64 s[0:1]
	s_add_u32 s0, s0, __FUNCTION__._ZL13mul_mat_f_idsIfLi32ELi14ELi1EEvPKT_PKfPKiS6_S6_Pfiiiiiiiiiiiiii15HIP_vector_typeIjLj3EES9_@rel32@lo+4
	s_addc_u32 s1, s1, __FUNCTION__._ZL13mul_mat_f_idsIfLi32ELi14ELi1EEvPKT_PKfPKiS6_S6_Pfiiiiiiiiiiiiii15HIP_vector_typeIjLj3EES9_@rel32@hi+12
	v_mov_b32_e32 v0, 0x13b
	v_mov_b32_e32 v1, s0
	;; [unrolled: 1-line block ×3, first 2 shown]
	s_mov_b32 s32, 0
	s_getpc_b64 s[2:3]
	s_add_u32 s2, s2, _ZL14no_device_codePKciS0_iS0_@rel32@lo+4
	s_addc_u32 s3, s3, _ZL14no_device_codePKciS0_iS0_@rel32@hi+12
	s_swappc_b64 s[30:31], s[2:3]
	.section	.rodata,"a",@progbits
	.p2align	6, 0x0
	.amdhsa_kernel _ZL13mul_mat_f_idsI7__half2Li32ELi14ELi1EEvPKT_PKfPKiS7_S7_Pfiiiiiiiiiiiiii15HIP_vector_typeIjLj3EESA_
		.amdhsa_group_segment_fixed_size 0
		.amdhsa_private_segment_fixed_size 16
		.amdhsa_kernarg_size 384
		.amdhsa_user_sgpr_count 2
		.amdhsa_user_sgpr_dispatch_ptr 0
		.amdhsa_user_sgpr_queue_ptr 0
		.amdhsa_user_sgpr_kernarg_segment_ptr 1
		.amdhsa_user_sgpr_dispatch_id 0
		.amdhsa_user_sgpr_kernarg_preload_length 0
		.amdhsa_user_sgpr_kernarg_preload_offset 0
		.amdhsa_user_sgpr_private_segment_size 0
		.amdhsa_uses_dynamic_stack 0
		.amdhsa_enable_private_segment 1
		.amdhsa_system_sgpr_workgroup_id_x 1
		.amdhsa_system_sgpr_workgroup_id_y 0
		.amdhsa_system_sgpr_workgroup_id_z 0
		.amdhsa_system_sgpr_workgroup_info 0
		.amdhsa_system_vgpr_workitem_id 0
		.amdhsa_next_free_vgpr 41
		.amdhsa_next_free_sgpr 34
		.amdhsa_accum_offset 44
		.amdhsa_reserve_vcc 1
		.amdhsa_float_round_mode_32 0
		.amdhsa_float_round_mode_16_64 0
		.amdhsa_float_denorm_mode_32 3
		.amdhsa_float_denorm_mode_16_64 3
		.amdhsa_dx10_clamp 1
		.amdhsa_ieee_mode 1
		.amdhsa_fp16_overflow 0
		.amdhsa_tg_split 0
		.amdhsa_exception_fp_ieee_invalid_op 0
		.amdhsa_exception_fp_denorm_src 0
		.amdhsa_exception_fp_ieee_div_zero 0
		.amdhsa_exception_fp_ieee_overflow 0
		.amdhsa_exception_fp_ieee_underflow 0
		.amdhsa_exception_fp_ieee_inexact 0
		.amdhsa_exception_int_div_zero 0
	.end_amdhsa_kernel
	.section	.text._ZL13mul_mat_f_idsI7__half2Li32ELi14ELi1EEvPKT_PKfPKiS7_S7_Pfiiiiiiiiiiiiii15HIP_vector_typeIjLj3EESA_,"axG",@progbits,_ZL13mul_mat_f_idsI7__half2Li32ELi14ELi1EEvPKT_PKfPKiS7_S7_Pfiiiiiiiiiiiiii15HIP_vector_typeIjLj3EESA_,comdat
.Lfunc_end27:
	.size	_ZL13mul_mat_f_idsI7__half2Li32ELi14ELi1EEvPKT_PKfPKiS7_S7_Pfiiiiiiiiiiiiii15HIP_vector_typeIjLj3EESA_, .Lfunc_end27-_ZL13mul_mat_f_idsI7__half2Li32ELi14ELi1EEvPKT_PKfPKiS7_S7_Pfiiiiiiiiiiiiii15HIP_vector_typeIjLj3EESA_
                                        ; -- End function
	.section	.AMDGPU.csdata,"",@progbits
; Kernel info:
; codeLenInByte = 76
; NumSgprs: 40
; NumVgprs: 41
; NumAgprs: 0
; TotalNumVgprs: 41
; ScratchSize: 16
; MemoryBound: 0
; FloatMode: 240
; IeeeMode: 1
; LDSByteSize: 0 bytes/workgroup (compile time only)
; SGPRBlocks: 4
; VGPRBlocks: 5
; NumSGPRsForWavesPerEU: 40
; NumVGPRsForWavesPerEU: 41
; AccumOffset: 44
; Occupancy: 8
; WaveLimiterHint : 1
; COMPUTE_PGM_RSRC2:SCRATCH_EN: 1
; COMPUTE_PGM_RSRC2:USER_SGPR: 2
; COMPUTE_PGM_RSRC2:TRAP_HANDLER: 0
; COMPUTE_PGM_RSRC2:TGID_X_EN: 1
; COMPUTE_PGM_RSRC2:TGID_Y_EN: 0
; COMPUTE_PGM_RSRC2:TGID_Z_EN: 0
; COMPUTE_PGM_RSRC2:TIDIG_COMP_CNT: 0
; COMPUTE_PGM_RSRC3_GFX90A:ACCUM_OFFSET: 10
; COMPUTE_PGM_RSRC3_GFX90A:TG_SPLIT: 0
	.section	.text._ZL9mul_mat_fI7__half2Li32ELi14ELi1ELb1EEvPKT_PKfPKiPfiiiiiiiiiiiiiiii,"axG",@progbits,_ZL9mul_mat_fI7__half2Li32ELi14ELi1ELb1EEvPKT_PKfPKiPfiiiiiiiiiiiiiiii,comdat
	.globl	_ZL9mul_mat_fI7__half2Li32ELi14ELi1ELb1EEvPKT_PKfPKiPfiiiiiiiiiiiiiiii ; -- Begin function _ZL9mul_mat_fI7__half2Li32ELi14ELi1ELb1EEvPKT_PKfPKiPfiiiiiiiiiiiiiiii
	.p2align	8
	.type	_ZL9mul_mat_fI7__half2Li32ELi14ELi1ELb1EEvPKT_PKfPKiPfiiiiiiiiiiiiiiii,@function
_ZL9mul_mat_fI7__half2Li32ELi14ELi1ELb1EEvPKT_PKfPKiPfiiiiiiiiiiiiiiii: ; @_ZL9mul_mat_fI7__half2Li32ELi14ELi1ELb1EEvPKT_PKfPKiPfiiiiiiiiiiiiiiii
; %bb.0:
	s_add_u32 s8, s0, 0x60
	s_addc_u32 s9, s1, 0
	s_getpc_b64 s[0:1]
	s_add_u32 s0, s0, __FUNCTION__._ZL9mul_mat_fIfLi32ELi14ELi1ELb1EEvPKT_PKfPKiPfiiiiiiiiiiiiiiii@rel32@lo+4
	s_addc_u32 s1, s1, __FUNCTION__._ZL9mul_mat_fIfLi32ELi14ELi1ELb1EEvPKT_PKfPKiPfiiiiiiiiiiiiiiii@rel32@hi+12
	v_mov_b32_e32 v0, 64
	v_mov_b32_e32 v1, s0
	;; [unrolled: 1-line block ×3, first 2 shown]
	s_mov_b32 s32, 0
	s_getpc_b64 s[2:3]
	s_add_u32 s2, s2, _ZL14no_device_codePKciS0_iS0_@rel32@lo+4
	s_addc_u32 s3, s3, _ZL14no_device_codePKciS0_iS0_@rel32@hi+12
	s_swappc_b64 s[30:31], s[2:3]
	.section	.rodata,"a",@progbits
	.p2align	6, 0x0
	.amdhsa_kernel _ZL9mul_mat_fI7__half2Li32ELi14ELi1ELb1EEvPKT_PKfPKiPfiiiiiiiiiiiiiiii
		.amdhsa_group_segment_fixed_size 0
		.amdhsa_private_segment_fixed_size 16
		.amdhsa_kernarg_size 352
		.amdhsa_user_sgpr_count 2
		.amdhsa_user_sgpr_dispatch_ptr 0
		.amdhsa_user_sgpr_queue_ptr 0
		.amdhsa_user_sgpr_kernarg_segment_ptr 1
		.amdhsa_user_sgpr_dispatch_id 0
		.amdhsa_user_sgpr_kernarg_preload_length 0
		.amdhsa_user_sgpr_kernarg_preload_offset 0
		.amdhsa_user_sgpr_private_segment_size 0
		.amdhsa_uses_dynamic_stack 0
		.amdhsa_enable_private_segment 1
		.amdhsa_system_sgpr_workgroup_id_x 1
		.amdhsa_system_sgpr_workgroup_id_y 0
		.amdhsa_system_sgpr_workgroup_id_z 0
		.amdhsa_system_sgpr_workgroup_info 0
		.amdhsa_system_vgpr_workitem_id 0
		.amdhsa_next_free_vgpr 41
		.amdhsa_next_free_sgpr 34
		.amdhsa_accum_offset 44
		.amdhsa_reserve_vcc 1
		.amdhsa_float_round_mode_32 0
		.amdhsa_float_round_mode_16_64 0
		.amdhsa_float_denorm_mode_32 3
		.amdhsa_float_denorm_mode_16_64 3
		.amdhsa_dx10_clamp 1
		.amdhsa_ieee_mode 1
		.amdhsa_fp16_overflow 0
		.amdhsa_tg_split 0
		.amdhsa_exception_fp_ieee_invalid_op 0
		.amdhsa_exception_fp_denorm_src 0
		.amdhsa_exception_fp_ieee_div_zero 0
		.amdhsa_exception_fp_ieee_overflow 0
		.amdhsa_exception_fp_ieee_underflow 0
		.amdhsa_exception_fp_ieee_inexact 0
		.amdhsa_exception_int_div_zero 0
	.end_amdhsa_kernel
	.section	.text._ZL9mul_mat_fI7__half2Li32ELi14ELi1ELb1EEvPKT_PKfPKiPfiiiiiiiiiiiiiiii,"axG",@progbits,_ZL9mul_mat_fI7__half2Li32ELi14ELi1ELb1EEvPKT_PKfPKiPfiiiiiiiiiiiiiiii,comdat
.Lfunc_end28:
	.size	_ZL9mul_mat_fI7__half2Li32ELi14ELi1ELb1EEvPKT_PKfPKiPfiiiiiiiiiiiiiiii, .Lfunc_end28-_ZL9mul_mat_fI7__half2Li32ELi14ELi1ELb1EEvPKT_PKfPKiPfiiiiiiiiiiiiiiii
                                        ; -- End function
	.section	.AMDGPU.csdata,"",@progbits
; Kernel info:
; codeLenInByte = 72
; NumSgprs: 40
; NumVgprs: 41
; NumAgprs: 0
; TotalNumVgprs: 41
; ScratchSize: 16
; MemoryBound: 0
; FloatMode: 240
; IeeeMode: 1
; LDSByteSize: 0 bytes/workgroup (compile time only)
; SGPRBlocks: 4
; VGPRBlocks: 5
; NumSGPRsForWavesPerEU: 40
; NumVGPRsForWavesPerEU: 41
; AccumOffset: 44
; Occupancy: 8
; WaveLimiterHint : 1
; COMPUTE_PGM_RSRC2:SCRATCH_EN: 1
; COMPUTE_PGM_RSRC2:USER_SGPR: 2
; COMPUTE_PGM_RSRC2:TRAP_HANDLER: 0
; COMPUTE_PGM_RSRC2:TGID_X_EN: 1
; COMPUTE_PGM_RSRC2:TGID_Y_EN: 0
; COMPUTE_PGM_RSRC2:TGID_Z_EN: 0
; COMPUTE_PGM_RSRC2:TIDIG_COMP_CNT: 0
; COMPUTE_PGM_RSRC3_GFX90A:ACCUM_OFFSET: 10
; COMPUTE_PGM_RSRC3_GFX90A:TG_SPLIT: 0
	.section	.text._ZL9mul_mat_fI7__half2Li32ELi14ELi1ELb0EEvPKT_PKfPKiPfiiiiiiiiiiiiiiii,"axG",@progbits,_ZL9mul_mat_fI7__half2Li32ELi14ELi1ELb0EEvPKT_PKfPKiPfiiiiiiiiiiiiiiii,comdat
	.globl	_ZL9mul_mat_fI7__half2Li32ELi14ELi1ELb0EEvPKT_PKfPKiPfiiiiiiiiiiiiiiii ; -- Begin function _ZL9mul_mat_fI7__half2Li32ELi14ELi1ELb0EEvPKT_PKfPKiPfiiiiiiiiiiiiiiii
	.p2align	8
	.type	_ZL9mul_mat_fI7__half2Li32ELi14ELi1ELb0EEvPKT_PKfPKiPfiiiiiiiiiiiiiiii,@function
_ZL9mul_mat_fI7__half2Li32ELi14ELi1ELb0EEvPKT_PKfPKiPfiiiiiiiiiiiiiiii: ; @_ZL9mul_mat_fI7__half2Li32ELi14ELi1ELb0EEvPKT_PKfPKiPfiiiiiiiiiiiiiiii
; %bb.0:
	s_add_u32 s8, s0, 0x60
	s_addc_u32 s9, s1, 0
	s_getpc_b64 s[0:1]
	s_add_u32 s0, s0, __FUNCTION__._ZL9mul_mat_fIfLi32ELi14ELi1ELb1EEvPKT_PKfPKiPfiiiiiiiiiiiiiiii@rel32@lo+4
	s_addc_u32 s1, s1, __FUNCTION__._ZL9mul_mat_fIfLi32ELi14ELi1ELb1EEvPKT_PKfPKiPfiiiiiiiiiiiiiiii@rel32@hi+12
	v_mov_b32_e32 v0, 64
	v_mov_b32_e32 v1, s0
	;; [unrolled: 1-line block ×3, first 2 shown]
	s_mov_b32 s32, 0
	s_getpc_b64 s[2:3]
	s_add_u32 s2, s2, _ZL14no_device_codePKciS0_iS0_@rel32@lo+4
	s_addc_u32 s3, s3, _ZL14no_device_codePKciS0_iS0_@rel32@hi+12
	s_swappc_b64 s[30:31], s[2:3]
	.section	.rodata,"a",@progbits
	.p2align	6, 0x0
	.amdhsa_kernel _ZL9mul_mat_fI7__half2Li32ELi14ELi1ELb0EEvPKT_PKfPKiPfiiiiiiiiiiiiiiii
		.amdhsa_group_segment_fixed_size 0
		.amdhsa_private_segment_fixed_size 16
		.amdhsa_kernarg_size 352
		.amdhsa_user_sgpr_count 2
		.amdhsa_user_sgpr_dispatch_ptr 0
		.amdhsa_user_sgpr_queue_ptr 0
		.amdhsa_user_sgpr_kernarg_segment_ptr 1
		.amdhsa_user_sgpr_dispatch_id 0
		.amdhsa_user_sgpr_kernarg_preload_length 0
		.amdhsa_user_sgpr_kernarg_preload_offset 0
		.amdhsa_user_sgpr_private_segment_size 0
		.amdhsa_uses_dynamic_stack 0
		.amdhsa_enable_private_segment 1
		.amdhsa_system_sgpr_workgroup_id_x 1
		.amdhsa_system_sgpr_workgroup_id_y 0
		.amdhsa_system_sgpr_workgroup_id_z 0
		.amdhsa_system_sgpr_workgroup_info 0
		.amdhsa_system_vgpr_workitem_id 0
		.amdhsa_next_free_vgpr 41
		.amdhsa_next_free_sgpr 34
		.amdhsa_accum_offset 44
		.amdhsa_reserve_vcc 1
		.amdhsa_float_round_mode_32 0
		.amdhsa_float_round_mode_16_64 0
		.amdhsa_float_denorm_mode_32 3
		.amdhsa_float_denorm_mode_16_64 3
		.amdhsa_dx10_clamp 1
		.amdhsa_ieee_mode 1
		.amdhsa_fp16_overflow 0
		.amdhsa_tg_split 0
		.amdhsa_exception_fp_ieee_invalid_op 0
		.amdhsa_exception_fp_denorm_src 0
		.amdhsa_exception_fp_ieee_div_zero 0
		.amdhsa_exception_fp_ieee_overflow 0
		.amdhsa_exception_fp_ieee_underflow 0
		.amdhsa_exception_fp_ieee_inexact 0
		.amdhsa_exception_int_div_zero 0
	.end_amdhsa_kernel
	.section	.text._ZL9mul_mat_fI7__half2Li32ELi14ELi1ELb0EEvPKT_PKfPKiPfiiiiiiiiiiiiiiii,"axG",@progbits,_ZL9mul_mat_fI7__half2Li32ELi14ELi1ELb0EEvPKT_PKfPKiPfiiiiiiiiiiiiiiii,comdat
.Lfunc_end29:
	.size	_ZL9mul_mat_fI7__half2Li32ELi14ELi1ELb0EEvPKT_PKfPKiPfiiiiiiiiiiiiiiii, .Lfunc_end29-_ZL9mul_mat_fI7__half2Li32ELi14ELi1ELb0EEvPKT_PKfPKiPfiiiiiiiiiiiiiiii
                                        ; -- End function
	.section	.AMDGPU.csdata,"",@progbits
; Kernel info:
; codeLenInByte = 72
; NumSgprs: 40
; NumVgprs: 41
; NumAgprs: 0
; TotalNumVgprs: 41
; ScratchSize: 16
; MemoryBound: 0
; FloatMode: 240
; IeeeMode: 1
; LDSByteSize: 0 bytes/workgroup (compile time only)
; SGPRBlocks: 4
; VGPRBlocks: 5
; NumSGPRsForWavesPerEU: 40
; NumVGPRsForWavesPerEU: 41
; AccumOffset: 44
; Occupancy: 8
; WaveLimiterHint : 1
; COMPUTE_PGM_RSRC2:SCRATCH_EN: 1
; COMPUTE_PGM_RSRC2:USER_SGPR: 2
; COMPUTE_PGM_RSRC2:TRAP_HANDLER: 0
; COMPUTE_PGM_RSRC2:TGID_X_EN: 1
; COMPUTE_PGM_RSRC2:TGID_Y_EN: 0
; COMPUTE_PGM_RSRC2:TGID_Z_EN: 0
; COMPUTE_PGM_RSRC2:TIDIG_COMP_CNT: 0
; COMPUTE_PGM_RSRC3_GFX90A:ACCUM_OFFSET: 10
; COMPUTE_PGM_RSRC3_GFX90A:TG_SPLIT: 0
	.section	.text._ZL13mul_mat_f_idsI7__half2Li32ELi14ELi2EEvPKT_PKfPKiS7_S7_Pfiiiiiiiiiiiiii15HIP_vector_typeIjLj3EESA_,"axG",@progbits,_ZL13mul_mat_f_idsI7__half2Li32ELi14ELi2EEvPKT_PKfPKiS7_S7_Pfiiiiiiiiiiiiii15HIP_vector_typeIjLj3EESA_,comdat
	.globl	_ZL13mul_mat_f_idsI7__half2Li32ELi14ELi2EEvPKT_PKfPKiS7_S7_Pfiiiiiiiiiiiiii15HIP_vector_typeIjLj3EESA_ ; -- Begin function _ZL13mul_mat_f_idsI7__half2Li32ELi14ELi2EEvPKT_PKfPKiS7_S7_Pfiiiiiiiiiiiiii15HIP_vector_typeIjLj3EESA_
	.p2align	8
	.type	_ZL13mul_mat_f_idsI7__half2Li32ELi14ELi2EEvPKT_PKfPKiS7_S7_Pfiiiiiiiiiiiiii15HIP_vector_typeIjLj3EESA_,@function
_ZL13mul_mat_f_idsI7__half2Li32ELi14ELi2EEvPKT_PKfPKiS7_S7_Pfiiiiiiiiiiiiii15HIP_vector_typeIjLj3EESA_: ; @_ZL13mul_mat_f_idsI7__half2Li32ELi14ELi2EEvPKT_PKfPKiS7_S7_Pfiiiiiiiiiiiiii15HIP_vector_typeIjLj3EESA_
; %bb.0:
	s_add_u32 s8, s0, 0x80
	s_addc_u32 s9, s1, 0
	s_getpc_b64 s[0:1]
	s_add_u32 s0, s0, __FUNCTION__._ZL13mul_mat_f_idsIfLi32ELi14ELi1EEvPKT_PKfPKiS6_S6_Pfiiiiiiiiiiiiii15HIP_vector_typeIjLj3EES9_@rel32@lo+4
	s_addc_u32 s1, s1, __FUNCTION__._ZL13mul_mat_f_idsIfLi32ELi14ELi1EEvPKT_PKfPKiS6_S6_Pfiiiiiiiiiiiiii15HIP_vector_typeIjLj3EES9_@rel32@hi+12
	v_mov_b32_e32 v0, 0x13b
	v_mov_b32_e32 v1, s0
	;; [unrolled: 1-line block ×3, first 2 shown]
	s_mov_b32 s32, 0
	s_getpc_b64 s[2:3]
	s_add_u32 s2, s2, _ZL14no_device_codePKciS0_iS0_@rel32@lo+4
	s_addc_u32 s3, s3, _ZL14no_device_codePKciS0_iS0_@rel32@hi+12
	s_swappc_b64 s[30:31], s[2:3]
	.section	.rodata,"a",@progbits
	.p2align	6, 0x0
	.amdhsa_kernel _ZL13mul_mat_f_idsI7__half2Li32ELi14ELi2EEvPKT_PKfPKiS7_S7_Pfiiiiiiiiiiiiii15HIP_vector_typeIjLj3EESA_
		.amdhsa_group_segment_fixed_size 0
		.amdhsa_private_segment_fixed_size 16
		.amdhsa_kernarg_size 384
		.amdhsa_user_sgpr_count 2
		.amdhsa_user_sgpr_dispatch_ptr 0
		.amdhsa_user_sgpr_queue_ptr 0
		.amdhsa_user_sgpr_kernarg_segment_ptr 1
		.amdhsa_user_sgpr_dispatch_id 0
		.amdhsa_user_sgpr_kernarg_preload_length 0
		.amdhsa_user_sgpr_kernarg_preload_offset 0
		.amdhsa_user_sgpr_private_segment_size 0
		.amdhsa_uses_dynamic_stack 0
		.amdhsa_enable_private_segment 1
		.amdhsa_system_sgpr_workgroup_id_x 1
		.amdhsa_system_sgpr_workgroup_id_y 0
		.amdhsa_system_sgpr_workgroup_id_z 0
		.amdhsa_system_sgpr_workgroup_info 0
		.amdhsa_system_vgpr_workitem_id 0
		.amdhsa_next_free_vgpr 41
		.amdhsa_next_free_sgpr 34
		.amdhsa_accum_offset 44
		.amdhsa_reserve_vcc 1
		.amdhsa_float_round_mode_32 0
		.amdhsa_float_round_mode_16_64 0
		.amdhsa_float_denorm_mode_32 3
		.amdhsa_float_denorm_mode_16_64 3
		.amdhsa_dx10_clamp 1
		.amdhsa_ieee_mode 1
		.amdhsa_fp16_overflow 0
		.amdhsa_tg_split 0
		.amdhsa_exception_fp_ieee_invalid_op 0
		.amdhsa_exception_fp_denorm_src 0
		.amdhsa_exception_fp_ieee_div_zero 0
		.amdhsa_exception_fp_ieee_overflow 0
		.amdhsa_exception_fp_ieee_underflow 0
		.amdhsa_exception_fp_ieee_inexact 0
		.amdhsa_exception_int_div_zero 0
	.end_amdhsa_kernel
	.section	.text._ZL13mul_mat_f_idsI7__half2Li32ELi14ELi2EEvPKT_PKfPKiS7_S7_Pfiiiiiiiiiiiiii15HIP_vector_typeIjLj3EESA_,"axG",@progbits,_ZL13mul_mat_f_idsI7__half2Li32ELi14ELi2EEvPKT_PKfPKiS7_S7_Pfiiiiiiiiiiiiii15HIP_vector_typeIjLj3EESA_,comdat
.Lfunc_end30:
	.size	_ZL13mul_mat_f_idsI7__half2Li32ELi14ELi2EEvPKT_PKfPKiS7_S7_Pfiiiiiiiiiiiiii15HIP_vector_typeIjLj3EESA_, .Lfunc_end30-_ZL13mul_mat_f_idsI7__half2Li32ELi14ELi2EEvPKT_PKfPKiS7_S7_Pfiiiiiiiiiiiiii15HIP_vector_typeIjLj3EESA_
                                        ; -- End function
	.section	.AMDGPU.csdata,"",@progbits
; Kernel info:
; codeLenInByte = 76
; NumSgprs: 40
; NumVgprs: 41
; NumAgprs: 0
; TotalNumVgprs: 41
; ScratchSize: 16
; MemoryBound: 0
; FloatMode: 240
; IeeeMode: 1
; LDSByteSize: 0 bytes/workgroup (compile time only)
; SGPRBlocks: 4
; VGPRBlocks: 5
; NumSGPRsForWavesPerEU: 40
; NumVGPRsForWavesPerEU: 41
; AccumOffset: 44
; Occupancy: 8
; WaveLimiterHint : 1
; COMPUTE_PGM_RSRC2:SCRATCH_EN: 1
; COMPUTE_PGM_RSRC2:USER_SGPR: 2
; COMPUTE_PGM_RSRC2:TRAP_HANDLER: 0
; COMPUTE_PGM_RSRC2:TGID_X_EN: 1
; COMPUTE_PGM_RSRC2:TGID_Y_EN: 0
; COMPUTE_PGM_RSRC2:TGID_Z_EN: 0
; COMPUTE_PGM_RSRC2:TIDIG_COMP_CNT: 0
; COMPUTE_PGM_RSRC3_GFX90A:ACCUM_OFFSET: 10
; COMPUTE_PGM_RSRC3_GFX90A:TG_SPLIT: 0
	.section	.text._ZL9mul_mat_fI7__half2Li32ELi14ELi2ELb1EEvPKT_PKfPKiPfiiiiiiiiiiiiiiii,"axG",@progbits,_ZL9mul_mat_fI7__half2Li32ELi14ELi2ELb1EEvPKT_PKfPKiPfiiiiiiiiiiiiiiii,comdat
	.globl	_ZL9mul_mat_fI7__half2Li32ELi14ELi2ELb1EEvPKT_PKfPKiPfiiiiiiiiiiiiiiii ; -- Begin function _ZL9mul_mat_fI7__half2Li32ELi14ELi2ELb1EEvPKT_PKfPKiPfiiiiiiiiiiiiiiii
	.p2align	8
	.type	_ZL9mul_mat_fI7__half2Li32ELi14ELi2ELb1EEvPKT_PKfPKiPfiiiiiiiiiiiiiiii,@function
_ZL9mul_mat_fI7__half2Li32ELi14ELi2ELb1EEvPKT_PKfPKiPfiiiiiiiiiiiiiiii: ; @_ZL9mul_mat_fI7__half2Li32ELi14ELi2ELb1EEvPKT_PKfPKiPfiiiiiiiiiiiiiiii
; %bb.0:
	s_add_u32 s8, s0, 0x60
	s_addc_u32 s9, s1, 0
	s_getpc_b64 s[0:1]
	s_add_u32 s0, s0, __FUNCTION__._ZL9mul_mat_fIfLi32ELi14ELi1ELb1EEvPKT_PKfPKiPfiiiiiiiiiiiiiiii@rel32@lo+4
	s_addc_u32 s1, s1, __FUNCTION__._ZL9mul_mat_fIfLi32ELi14ELi1ELb1EEvPKT_PKfPKiPfiiiiiiiiiiiiiiii@rel32@hi+12
	v_mov_b32_e32 v0, 64
	v_mov_b32_e32 v1, s0
	;; [unrolled: 1-line block ×3, first 2 shown]
	s_mov_b32 s32, 0
	s_getpc_b64 s[2:3]
	s_add_u32 s2, s2, _ZL14no_device_codePKciS0_iS0_@rel32@lo+4
	s_addc_u32 s3, s3, _ZL14no_device_codePKciS0_iS0_@rel32@hi+12
	s_swappc_b64 s[30:31], s[2:3]
	.section	.rodata,"a",@progbits
	.p2align	6, 0x0
	.amdhsa_kernel _ZL9mul_mat_fI7__half2Li32ELi14ELi2ELb1EEvPKT_PKfPKiPfiiiiiiiiiiiiiiii
		.amdhsa_group_segment_fixed_size 0
		.amdhsa_private_segment_fixed_size 16
		.amdhsa_kernarg_size 352
		.amdhsa_user_sgpr_count 2
		.amdhsa_user_sgpr_dispatch_ptr 0
		.amdhsa_user_sgpr_queue_ptr 0
		.amdhsa_user_sgpr_kernarg_segment_ptr 1
		.amdhsa_user_sgpr_dispatch_id 0
		.amdhsa_user_sgpr_kernarg_preload_length 0
		.amdhsa_user_sgpr_kernarg_preload_offset 0
		.amdhsa_user_sgpr_private_segment_size 0
		.amdhsa_uses_dynamic_stack 0
		.amdhsa_enable_private_segment 1
		.amdhsa_system_sgpr_workgroup_id_x 1
		.amdhsa_system_sgpr_workgroup_id_y 0
		.amdhsa_system_sgpr_workgroup_id_z 0
		.amdhsa_system_sgpr_workgroup_info 0
		.amdhsa_system_vgpr_workitem_id 0
		.amdhsa_next_free_vgpr 41
		.amdhsa_next_free_sgpr 34
		.amdhsa_accum_offset 44
		.amdhsa_reserve_vcc 1
		.amdhsa_float_round_mode_32 0
		.amdhsa_float_round_mode_16_64 0
		.amdhsa_float_denorm_mode_32 3
		.amdhsa_float_denorm_mode_16_64 3
		.amdhsa_dx10_clamp 1
		.amdhsa_ieee_mode 1
		.amdhsa_fp16_overflow 0
		.amdhsa_tg_split 0
		.amdhsa_exception_fp_ieee_invalid_op 0
		.amdhsa_exception_fp_denorm_src 0
		.amdhsa_exception_fp_ieee_div_zero 0
		.amdhsa_exception_fp_ieee_overflow 0
		.amdhsa_exception_fp_ieee_underflow 0
		.amdhsa_exception_fp_ieee_inexact 0
		.amdhsa_exception_int_div_zero 0
	.end_amdhsa_kernel
	.section	.text._ZL9mul_mat_fI7__half2Li32ELi14ELi2ELb1EEvPKT_PKfPKiPfiiiiiiiiiiiiiiii,"axG",@progbits,_ZL9mul_mat_fI7__half2Li32ELi14ELi2ELb1EEvPKT_PKfPKiPfiiiiiiiiiiiiiiii,comdat
.Lfunc_end31:
	.size	_ZL9mul_mat_fI7__half2Li32ELi14ELi2ELb1EEvPKT_PKfPKiPfiiiiiiiiiiiiiiii, .Lfunc_end31-_ZL9mul_mat_fI7__half2Li32ELi14ELi2ELb1EEvPKT_PKfPKiPfiiiiiiiiiiiiiiii
                                        ; -- End function
	.section	.AMDGPU.csdata,"",@progbits
; Kernel info:
; codeLenInByte = 72
; NumSgprs: 40
; NumVgprs: 41
; NumAgprs: 0
; TotalNumVgprs: 41
; ScratchSize: 16
; MemoryBound: 0
; FloatMode: 240
; IeeeMode: 1
; LDSByteSize: 0 bytes/workgroup (compile time only)
; SGPRBlocks: 4
; VGPRBlocks: 5
; NumSGPRsForWavesPerEU: 40
; NumVGPRsForWavesPerEU: 41
; AccumOffset: 44
; Occupancy: 8
; WaveLimiterHint : 1
; COMPUTE_PGM_RSRC2:SCRATCH_EN: 1
; COMPUTE_PGM_RSRC2:USER_SGPR: 2
; COMPUTE_PGM_RSRC2:TRAP_HANDLER: 0
; COMPUTE_PGM_RSRC2:TGID_X_EN: 1
; COMPUTE_PGM_RSRC2:TGID_Y_EN: 0
; COMPUTE_PGM_RSRC2:TGID_Z_EN: 0
; COMPUTE_PGM_RSRC2:TIDIG_COMP_CNT: 0
; COMPUTE_PGM_RSRC3_GFX90A:ACCUM_OFFSET: 10
; COMPUTE_PGM_RSRC3_GFX90A:TG_SPLIT: 0
	.section	.text._ZL9mul_mat_fI7__half2Li32ELi14ELi2ELb0EEvPKT_PKfPKiPfiiiiiiiiiiiiiiii,"axG",@progbits,_ZL9mul_mat_fI7__half2Li32ELi14ELi2ELb0EEvPKT_PKfPKiPfiiiiiiiiiiiiiiii,comdat
	.globl	_ZL9mul_mat_fI7__half2Li32ELi14ELi2ELb0EEvPKT_PKfPKiPfiiiiiiiiiiiiiiii ; -- Begin function _ZL9mul_mat_fI7__half2Li32ELi14ELi2ELb0EEvPKT_PKfPKiPfiiiiiiiiiiiiiiii
	.p2align	8
	.type	_ZL9mul_mat_fI7__half2Li32ELi14ELi2ELb0EEvPKT_PKfPKiPfiiiiiiiiiiiiiiii,@function
_ZL9mul_mat_fI7__half2Li32ELi14ELi2ELb0EEvPKT_PKfPKiPfiiiiiiiiiiiiiiii: ; @_ZL9mul_mat_fI7__half2Li32ELi14ELi2ELb0EEvPKT_PKfPKiPfiiiiiiiiiiiiiiii
; %bb.0:
	s_add_u32 s8, s0, 0x60
	s_addc_u32 s9, s1, 0
	s_getpc_b64 s[0:1]
	s_add_u32 s0, s0, __FUNCTION__._ZL9mul_mat_fIfLi32ELi14ELi1ELb1EEvPKT_PKfPKiPfiiiiiiiiiiiiiiii@rel32@lo+4
	s_addc_u32 s1, s1, __FUNCTION__._ZL9mul_mat_fIfLi32ELi14ELi1ELb1EEvPKT_PKfPKiPfiiiiiiiiiiiiiiii@rel32@hi+12
	v_mov_b32_e32 v0, 64
	v_mov_b32_e32 v1, s0
	;; [unrolled: 1-line block ×3, first 2 shown]
	s_mov_b32 s32, 0
	s_getpc_b64 s[2:3]
	s_add_u32 s2, s2, _ZL14no_device_codePKciS0_iS0_@rel32@lo+4
	s_addc_u32 s3, s3, _ZL14no_device_codePKciS0_iS0_@rel32@hi+12
	s_swappc_b64 s[30:31], s[2:3]
	.section	.rodata,"a",@progbits
	.p2align	6, 0x0
	.amdhsa_kernel _ZL9mul_mat_fI7__half2Li32ELi14ELi2ELb0EEvPKT_PKfPKiPfiiiiiiiiiiiiiiii
		.amdhsa_group_segment_fixed_size 0
		.amdhsa_private_segment_fixed_size 16
		.amdhsa_kernarg_size 352
		.amdhsa_user_sgpr_count 2
		.amdhsa_user_sgpr_dispatch_ptr 0
		.amdhsa_user_sgpr_queue_ptr 0
		.amdhsa_user_sgpr_kernarg_segment_ptr 1
		.amdhsa_user_sgpr_dispatch_id 0
		.amdhsa_user_sgpr_kernarg_preload_length 0
		.amdhsa_user_sgpr_kernarg_preload_offset 0
		.amdhsa_user_sgpr_private_segment_size 0
		.amdhsa_uses_dynamic_stack 0
		.amdhsa_enable_private_segment 1
		.amdhsa_system_sgpr_workgroup_id_x 1
		.amdhsa_system_sgpr_workgroup_id_y 0
		.amdhsa_system_sgpr_workgroup_id_z 0
		.amdhsa_system_sgpr_workgroup_info 0
		.amdhsa_system_vgpr_workitem_id 0
		.amdhsa_next_free_vgpr 41
		.amdhsa_next_free_sgpr 34
		.amdhsa_accum_offset 44
		.amdhsa_reserve_vcc 1
		.amdhsa_float_round_mode_32 0
		.amdhsa_float_round_mode_16_64 0
		.amdhsa_float_denorm_mode_32 3
		.amdhsa_float_denorm_mode_16_64 3
		.amdhsa_dx10_clamp 1
		.amdhsa_ieee_mode 1
		.amdhsa_fp16_overflow 0
		.amdhsa_tg_split 0
		.amdhsa_exception_fp_ieee_invalid_op 0
		.amdhsa_exception_fp_denorm_src 0
		.amdhsa_exception_fp_ieee_div_zero 0
		.amdhsa_exception_fp_ieee_overflow 0
		.amdhsa_exception_fp_ieee_underflow 0
		.amdhsa_exception_fp_ieee_inexact 0
		.amdhsa_exception_int_div_zero 0
	.end_amdhsa_kernel
	.section	.text._ZL9mul_mat_fI7__half2Li32ELi14ELi2ELb0EEvPKT_PKfPKiPfiiiiiiiiiiiiiiii,"axG",@progbits,_ZL9mul_mat_fI7__half2Li32ELi14ELi2ELb0EEvPKT_PKfPKiPfiiiiiiiiiiiiiiii,comdat
.Lfunc_end32:
	.size	_ZL9mul_mat_fI7__half2Li32ELi14ELi2ELb0EEvPKT_PKfPKiPfiiiiiiiiiiiiiiii, .Lfunc_end32-_ZL9mul_mat_fI7__half2Li32ELi14ELi2ELb0EEvPKT_PKfPKiPfiiiiiiiiiiiiiiii
                                        ; -- End function
	.section	.AMDGPU.csdata,"",@progbits
; Kernel info:
; codeLenInByte = 72
; NumSgprs: 40
; NumVgprs: 41
; NumAgprs: 0
; TotalNumVgprs: 41
; ScratchSize: 16
; MemoryBound: 0
; FloatMode: 240
; IeeeMode: 1
; LDSByteSize: 0 bytes/workgroup (compile time only)
; SGPRBlocks: 4
; VGPRBlocks: 5
; NumSGPRsForWavesPerEU: 40
; NumVGPRsForWavesPerEU: 41
; AccumOffset: 44
; Occupancy: 8
; WaveLimiterHint : 1
; COMPUTE_PGM_RSRC2:SCRATCH_EN: 1
; COMPUTE_PGM_RSRC2:USER_SGPR: 2
; COMPUTE_PGM_RSRC2:TRAP_HANDLER: 0
; COMPUTE_PGM_RSRC2:TGID_X_EN: 1
; COMPUTE_PGM_RSRC2:TGID_Y_EN: 0
; COMPUTE_PGM_RSRC2:TGID_Z_EN: 0
; COMPUTE_PGM_RSRC2:TIDIG_COMP_CNT: 0
; COMPUTE_PGM_RSRC3_GFX90A:ACCUM_OFFSET: 10
; COMPUTE_PGM_RSRC3_GFX90A:TG_SPLIT: 0
	.section	.text._ZL13mul_mat_f_idsI7__half2Li32ELi14ELi3EEvPKT_PKfPKiS7_S7_Pfiiiiiiiiiiiiii15HIP_vector_typeIjLj3EESA_,"axG",@progbits,_ZL13mul_mat_f_idsI7__half2Li32ELi14ELi3EEvPKT_PKfPKiS7_S7_Pfiiiiiiiiiiiiii15HIP_vector_typeIjLj3EESA_,comdat
	.globl	_ZL13mul_mat_f_idsI7__half2Li32ELi14ELi3EEvPKT_PKfPKiS7_S7_Pfiiiiiiiiiiiiii15HIP_vector_typeIjLj3EESA_ ; -- Begin function _ZL13mul_mat_f_idsI7__half2Li32ELi14ELi3EEvPKT_PKfPKiS7_S7_Pfiiiiiiiiiiiiii15HIP_vector_typeIjLj3EESA_
	.p2align	8
	.type	_ZL13mul_mat_f_idsI7__half2Li32ELi14ELi3EEvPKT_PKfPKiS7_S7_Pfiiiiiiiiiiiiii15HIP_vector_typeIjLj3EESA_,@function
_ZL13mul_mat_f_idsI7__half2Li32ELi14ELi3EEvPKT_PKfPKiS7_S7_Pfiiiiiiiiiiiiii15HIP_vector_typeIjLj3EESA_: ; @_ZL13mul_mat_f_idsI7__half2Li32ELi14ELi3EEvPKT_PKfPKiS7_S7_Pfiiiiiiiiiiiiii15HIP_vector_typeIjLj3EESA_
; %bb.0:
	s_add_u32 s8, s0, 0x80
	s_addc_u32 s9, s1, 0
	s_getpc_b64 s[0:1]
	s_add_u32 s0, s0, __FUNCTION__._ZL13mul_mat_f_idsIfLi32ELi14ELi1EEvPKT_PKfPKiS6_S6_Pfiiiiiiiiiiiiii15HIP_vector_typeIjLj3EES9_@rel32@lo+4
	s_addc_u32 s1, s1, __FUNCTION__._ZL13mul_mat_f_idsIfLi32ELi14ELi1EEvPKT_PKfPKiS6_S6_Pfiiiiiiiiiiiiii15HIP_vector_typeIjLj3EES9_@rel32@hi+12
	v_mov_b32_e32 v0, 0x13b
	v_mov_b32_e32 v1, s0
	v_mov_b32_e32 v2, s1
	s_mov_b32 s32, 0
	s_getpc_b64 s[2:3]
	s_add_u32 s2, s2, _ZL14no_device_codePKciS0_iS0_@rel32@lo+4
	s_addc_u32 s3, s3, _ZL14no_device_codePKciS0_iS0_@rel32@hi+12
	s_swappc_b64 s[30:31], s[2:3]
	.section	.rodata,"a",@progbits
	.p2align	6, 0x0
	.amdhsa_kernel _ZL13mul_mat_f_idsI7__half2Li32ELi14ELi3EEvPKT_PKfPKiS7_S7_Pfiiiiiiiiiiiiii15HIP_vector_typeIjLj3EESA_
		.amdhsa_group_segment_fixed_size 0
		.amdhsa_private_segment_fixed_size 16
		.amdhsa_kernarg_size 384
		.amdhsa_user_sgpr_count 2
		.amdhsa_user_sgpr_dispatch_ptr 0
		.amdhsa_user_sgpr_queue_ptr 0
		.amdhsa_user_sgpr_kernarg_segment_ptr 1
		.amdhsa_user_sgpr_dispatch_id 0
		.amdhsa_user_sgpr_kernarg_preload_length 0
		.amdhsa_user_sgpr_kernarg_preload_offset 0
		.amdhsa_user_sgpr_private_segment_size 0
		.amdhsa_uses_dynamic_stack 0
		.amdhsa_enable_private_segment 1
		.amdhsa_system_sgpr_workgroup_id_x 1
		.amdhsa_system_sgpr_workgroup_id_y 0
		.amdhsa_system_sgpr_workgroup_id_z 0
		.amdhsa_system_sgpr_workgroup_info 0
		.amdhsa_system_vgpr_workitem_id 0
		.amdhsa_next_free_vgpr 41
		.amdhsa_next_free_sgpr 34
		.amdhsa_accum_offset 44
		.amdhsa_reserve_vcc 1
		.amdhsa_float_round_mode_32 0
		.amdhsa_float_round_mode_16_64 0
		.amdhsa_float_denorm_mode_32 3
		.amdhsa_float_denorm_mode_16_64 3
		.amdhsa_dx10_clamp 1
		.amdhsa_ieee_mode 1
		.amdhsa_fp16_overflow 0
		.amdhsa_tg_split 0
		.amdhsa_exception_fp_ieee_invalid_op 0
		.amdhsa_exception_fp_denorm_src 0
		.amdhsa_exception_fp_ieee_div_zero 0
		.amdhsa_exception_fp_ieee_overflow 0
		.amdhsa_exception_fp_ieee_underflow 0
		.amdhsa_exception_fp_ieee_inexact 0
		.amdhsa_exception_int_div_zero 0
	.end_amdhsa_kernel
	.section	.text._ZL13mul_mat_f_idsI7__half2Li32ELi14ELi3EEvPKT_PKfPKiS7_S7_Pfiiiiiiiiiiiiii15HIP_vector_typeIjLj3EESA_,"axG",@progbits,_ZL13mul_mat_f_idsI7__half2Li32ELi14ELi3EEvPKT_PKfPKiS7_S7_Pfiiiiiiiiiiiiii15HIP_vector_typeIjLj3EESA_,comdat
.Lfunc_end33:
	.size	_ZL13mul_mat_f_idsI7__half2Li32ELi14ELi3EEvPKT_PKfPKiS7_S7_Pfiiiiiiiiiiiiii15HIP_vector_typeIjLj3EESA_, .Lfunc_end33-_ZL13mul_mat_f_idsI7__half2Li32ELi14ELi3EEvPKT_PKfPKiS7_S7_Pfiiiiiiiiiiiiii15HIP_vector_typeIjLj3EESA_
                                        ; -- End function
	.section	.AMDGPU.csdata,"",@progbits
; Kernel info:
; codeLenInByte = 76
; NumSgprs: 40
; NumVgprs: 41
; NumAgprs: 0
; TotalNumVgprs: 41
; ScratchSize: 16
; MemoryBound: 0
; FloatMode: 240
; IeeeMode: 1
; LDSByteSize: 0 bytes/workgroup (compile time only)
; SGPRBlocks: 4
; VGPRBlocks: 5
; NumSGPRsForWavesPerEU: 40
; NumVGPRsForWavesPerEU: 41
; AccumOffset: 44
; Occupancy: 8
; WaveLimiterHint : 1
; COMPUTE_PGM_RSRC2:SCRATCH_EN: 1
; COMPUTE_PGM_RSRC2:USER_SGPR: 2
; COMPUTE_PGM_RSRC2:TRAP_HANDLER: 0
; COMPUTE_PGM_RSRC2:TGID_X_EN: 1
; COMPUTE_PGM_RSRC2:TGID_Y_EN: 0
; COMPUTE_PGM_RSRC2:TGID_Z_EN: 0
; COMPUTE_PGM_RSRC2:TIDIG_COMP_CNT: 0
; COMPUTE_PGM_RSRC3_GFX90A:ACCUM_OFFSET: 10
; COMPUTE_PGM_RSRC3_GFX90A:TG_SPLIT: 0
	.section	.text._ZL9mul_mat_fI7__half2Li32ELi14ELi3ELb1EEvPKT_PKfPKiPfiiiiiiiiiiiiiiii,"axG",@progbits,_ZL9mul_mat_fI7__half2Li32ELi14ELi3ELb1EEvPKT_PKfPKiPfiiiiiiiiiiiiiiii,comdat
	.globl	_ZL9mul_mat_fI7__half2Li32ELi14ELi3ELb1EEvPKT_PKfPKiPfiiiiiiiiiiiiiiii ; -- Begin function _ZL9mul_mat_fI7__half2Li32ELi14ELi3ELb1EEvPKT_PKfPKiPfiiiiiiiiiiiiiiii
	.p2align	8
	.type	_ZL9mul_mat_fI7__half2Li32ELi14ELi3ELb1EEvPKT_PKfPKiPfiiiiiiiiiiiiiiii,@function
_ZL9mul_mat_fI7__half2Li32ELi14ELi3ELb1EEvPKT_PKfPKiPfiiiiiiiiiiiiiiii: ; @_ZL9mul_mat_fI7__half2Li32ELi14ELi3ELb1EEvPKT_PKfPKiPfiiiiiiiiiiiiiiii
; %bb.0:
	s_add_u32 s8, s0, 0x60
	s_addc_u32 s9, s1, 0
	s_getpc_b64 s[0:1]
	s_add_u32 s0, s0, __FUNCTION__._ZL9mul_mat_fIfLi32ELi14ELi1ELb1EEvPKT_PKfPKiPfiiiiiiiiiiiiiiii@rel32@lo+4
	s_addc_u32 s1, s1, __FUNCTION__._ZL9mul_mat_fIfLi32ELi14ELi1ELb1EEvPKT_PKfPKiPfiiiiiiiiiiiiiiii@rel32@hi+12
	v_mov_b32_e32 v0, 64
	v_mov_b32_e32 v1, s0
	;; [unrolled: 1-line block ×3, first 2 shown]
	s_mov_b32 s32, 0
	s_getpc_b64 s[2:3]
	s_add_u32 s2, s2, _ZL14no_device_codePKciS0_iS0_@rel32@lo+4
	s_addc_u32 s3, s3, _ZL14no_device_codePKciS0_iS0_@rel32@hi+12
	s_swappc_b64 s[30:31], s[2:3]
	.section	.rodata,"a",@progbits
	.p2align	6, 0x0
	.amdhsa_kernel _ZL9mul_mat_fI7__half2Li32ELi14ELi3ELb1EEvPKT_PKfPKiPfiiiiiiiiiiiiiiii
		.amdhsa_group_segment_fixed_size 0
		.amdhsa_private_segment_fixed_size 16
		.amdhsa_kernarg_size 352
		.amdhsa_user_sgpr_count 2
		.amdhsa_user_sgpr_dispatch_ptr 0
		.amdhsa_user_sgpr_queue_ptr 0
		.amdhsa_user_sgpr_kernarg_segment_ptr 1
		.amdhsa_user_sgpr_dispatch_id 0
		.amdhsa_user_sgpr_kernarg_preload_length 0
		.amdhsa_user_sgpr_kernarg_preload_offset 0
		.amdhsa_user_sgpr_private_segment_size 0
		.amdhsa_uses_dynamic_stack 0
		.amdhsa_enable_private_segment 1
		.amdhsa_system_sgpr_workgroup_id_x 1
		.amdhsa_system_sgpr_workgroup_id_y 0
		.amdhsa_system_sgpr_workgroup_id_z 0
		.amdhsa_system_sgpr_workgroup_info 0
		.amdhsa_system_vgpr_workitem_id 0
		.amdhsa_next_free_vgpr 41
		.amdhsa_next_free_sgpr 34
		.amdhsa_accum_offset 44
		.amdhsa_reserve_vcc 1
		.amdhsa_float_round_mode_32 0
		.amdhsa_float_round_mode_16_64 0
		.amdhsa_float_denorm_mode_32 3
		.amdhsa_float_denorm_mode_16_64 3
		.amdhsa_dx10_clamp 1
		.amdhsa_ieee_mode 1
		.amdhsa_fp16_overflow 0
		.amdhsa_tg_split 0
		.amdhsa_exception_fp_ieee_invalid_op 0
		.amdhsa_exception_fp_denorm_src 0
		.amdhsa_exception_fp_ieee_div_zero 0
		.amdhsa_exception_fp_ieee_overflow 0
		.amdhsa_exception_fp_ieee_underflow 0
		.amdhsa_exception_fp_ieee_inexact 0
		.amdhsa_exception_int_div_zero 0
	.end_amdhsa_kernel
	.section	.text._ZL9mul_mat_fI7__half2Li32ELi14ELi3ELb1EEvPKT_PKfPKiPfiiiiiiiiiiiiiiii,"axG",@progbits,_ZL9mul_mat_fI7__half2Li32ELi14ELi3ELb1EEvPKT_PKfPKiPfiiiiiiiiiiiiiiii,comdat
.Lfunc_end34:
	.size	_ZL9mul_mat_fI7__half2Li32ELi14ELi3ELb1EEvPKT_PKfPKiPfiiiiiiiiiiiiiiii, .Lfunc_end34-_ZL9mul_mat_fI7__half2Li32ELi14ELi3ELb1EEvPKT_PKfPKiPfiiiiiiiiiiiiiiii
                                        ; -- End function
	.section	.AMDGPU.csdata,"",@progbits
; Kernel info:
; codeLenInByte = 72
; NumSgprs: 40
; NumVgprs: 41
; NumAgprs: 0
; TotalNumVgprs: 41
; ScratchSize: 16
; MemoryBound: 0
; FloatMode: 240
; IeeeMode: 1
; LDSByteSize: 0 bytes/workgroup (compile time only)
; SGPRBlocks: 4
; VGPRBlocks: 5
; NumSGPRsForWavesPerEU: 40
; NumVGPRsForWavesPerEU: 41
; AccumOffset: 44
; Occupancy: 8
; WaveLimiterHint : 1
; COMPUTE_PGM_RSRC2:SCRATCH_EN: 1
; COMPUTE_PGM_RSRC2:USER_SGPR: 2
; COMPUTE_PGM_RSRC2:TRAP_HANDLER: 0
; COMPUTE_PGM_RSRC2:TGID_X_EN: 1
; COMPUTE_PGM_RSRC2:TGID_Y_EN: 0
; COMPUTE_PGM_RSRC2:TGID_Z_EN: 0
; COMPUTE_PGM_RSRC2:TIDIG_COMP_CNT: 0
; COMPUTE_PGM_RSRC3_GFX90A:ACCUM_OFFSET: 10
; COMPUTE_PGM_RSRC3_GFX90A:TG_SPLIT: 0
	.section	.text._ZL9mul_mat_fI7__half2Li32ELi14ELi3ELb0EEvPKT_PKfPKiPfiiiiiiiiiiiiiiii,"axG",@progbits,_ZL9mul_mat_fI7__half2Li32ELi14ELi3ELb0EEvPKT_PKfPKiPfiiiiiiiiiiiiiiii,comdat
	.globl	_ZL9mul_mat_fI7__half2Li32ELi14ELi3ELb0EEvPKT_PKfPKiPfiiiiiiiiiiiiiiii ; -- Begin function _ZL9mul_mat_fI7__half2Li32ELi14ELi3ELb0EEvPKT_PKfPKiPfiiiiiiiiiiiiiiii
	.p2align	8
	.type	_ZL9mul_mat_fI7__half2Li32ELi14ELi3ELb0EEvPKT_PKfPKiPfiiiiiiiiiiiiiiii,@function
_ZL9mul_mat_fI7__half2Li32ELi14ELi3ELb0EEvPKT_PKfPKiPfiiiiiiiiiiiiiiii: ; @_ZL9mul_mat_fI7__half2Li32ELi14ELi3ELb0EEvPKT_PKfPKiPfiiiiiiiiiiiiiiii
; %bb.0:
	s_add_u32 s8, s0, 0x60
	s_addc_u32 s9, s1, 0
	s_getpc_b64 s[0:1]
	s_add_u32 s0, s0, __FUNCTION__._ZL9mul_mat_fIfLi32ELi14ELi1ELb1EEvPKT_PKfPKiPfiiiiiiiiiiiiiiii@rel32@lo+4
	s_addc_u32 s1, s1, __FUNCTION__._ZL9mul_mat_fIfLi32ELi14ELi1ELb1EEvPKT_PKfPKiPfiiiiiiiiiiiiiiii@rel32@hi+12
	v_mov_b32_e32 v0, 64
	v_mov_b32_e32 v1, s0
	;; [unrolled: 1-line block ×3, first 2 shown]
	s_mov_b32 s32, 0
	s_getpc_b64 s[2:3]
	s_add_u32 s2, s2, _ZL14no_device_codePKciS0_iS0_@rel32@lo+4
	s_addc_u32 s3, s3, _ZL14no_device_codePKciS0_iS0_@rel32@hi+12
	s_swappc_b64 s[30:31], s[2:3]
	.section	.rodata,"a",@progbits
	.p2align	6, 0x0
	.amdhsa_kernel _ZL9mul_mat_fI7__half2Li32ELi14ELi3ELb0EEvPKT_PKfPKiPfiiiiiiiiiiiiiiii
		.amdhsa_group_segment_fixed_size 0
		.amdhsa_private_segment_fixed_size 16
		.amdhsa_kernarg_size 352
		.amdhsa_user_sgpr_count 2
		.amdhsa_user_sgpr_dispatch_ptr 0
		.amdhsa_user_sgpr_queue_ptr 0
		.amdhsa_user_sgpr_kernarg_segment_ptr 1
		.amdhsa_user_sgpr_dispatch_id 0
		.amdhsa_user_sgpr_kernarg_preload_length 0
		.amdhsa_user_sgpr_kernarg_preload_offset 0
		.amdhsa_user_sgpr_private_segment_size 0
		.amdhsa_uses_dynamic_stack 0
		.amdhsa_enable_private_segment 1
		.amdhsa_system_sgpr_workgroup_id_x 1
		.amdhsa_system_sgpr_workgroup_id_y 0
		.amdhsa_system_sgpr_workgroup_id_z 0
		.amdhsa_system_sgpr_workgroup_info 0
		.amdhsa_system_vgpr_workitem_id 0
		.amdhsa_next_free_vgpr 41
		.amdhsa_next_free_sgpr 34
		.amdhsa_accum_offset 44
		.amdhsa_reserve_vcc 1
		.amdhsa_float_round_mode_32 0
		.amdhsa_float_round_mode_16_64 0
		.amdhsa_float_denorm_mode_32 3
		.amdhsa_float_denorm_mode_16_64 3
		.amdhsa_dx10_clamp 1
		.amdhsa_ieee_mode 1
		.amdhsa_fp16_overflow 0
		.amdhsa_tg_split 0
		.amdhsa_exception_fp_ieee_invalid_op 0
		.amdhsa_exception_fp_denorm_src 0
		.amdhsa_exception_fp_ieee_div_zero 0
		.amdhsa_exception_fp_ieee_overflow 0
		.amdhsa_exception_fp_ieee_underflow 0
		.amdhsa_exception_fp_ieee_inexact 0
		.amdhsa_exception_int_div_zero 0
	.end_amdhsa_kernel
	.section	.text._ZL9mul_mat_fI7__half2Li32ELi14ELi3ELb0EEvPKT_PKfPKiPfiiiiiiiiiiiiiiii,"axG",@progbits,_ZL9mul_mat_fI7__half2Li32ELi14ELi3ELb0EEvPKT_PKfPKiPfiiiiiiiiiiiiiiii,comdat
.Lfunc_end35:
	.size	_ZL9mul_mat_fI7__half2Li32ELi14ELi3ELb0EEvPKT_PKfPKiPfiiiiiiiiiiiiiiii, .Lfunc_end35-_ZL9mul_mat_fI7__half2Li32ELi14ELi3ELb0EEvPKT_PKfPKiPfiiiiiiiiiiiiiiii
                                        ; -- End function
	.section	.AMDGPU.csdata,"",@progbits
; Kernel info:
; codeLenInByte = 72
; NumSgprs: 40
; NumVgprs: 41
; NumAgprs: 0
; TotalNumVgprs: 41
; ScratchSize: 16
; MemoryBound: 0
; FloatMode: 240
; IeeeMode: 1
; LDSByteSize: 0 bytes/workgroup (compile time only)
; SGPRBlocks: 4
; VGPRBlocks: 5
; NumSGPRsForWavesPerEU: 40
; NumVGPRsForWavesPerEU: 41
; AccumOffset: 44
; Occupancy: 8
; WaveLimiterHint : 1
; COMPUTE_PGM_RSRC2:SCRATCH_EN: 1
; COMPUTE_PGM_RSRC2:USER_SGPR: 2
; COMPUTE_PGM_RSRC2:TRAP_HANDLER: 0
; COMPUTE_PGM_RSRC2:TGID_X_EN: 1
; COMPUTE_PGM_RSRC2:TGID_Y_EN: 0
; COMPUTE_PGM_RSRC2:TGID_Z_EN: 0
; COMPUTE_PGM_RSRC2:TIDIG_COMP_CNT: 0
; COMPUTE_PGM_RSRC3_GFX90A:ACCUM_OFFSET: 10
; COMPUTE_PGM_RSRC3_GFX90A:TG_SPLIT: 0
	.section	.text._ZL13mul_mat_f_idsI7__half2Li32ELi14ELi4EEvPKT_PKfPKiS7_S7_Pfiiiiiiiiiiiiii15HIP_vector_typeIjLj3EESA_,"axG",@progbits,_ZL13mul_mat_f_idsI7__half2Li32ELi14ELi4EEvPKT_PKfPKiS7_S7_Pfiiiiiiiiiiiiii15HIP_vector_typeIjLj3EESA_,comdat
	.globl	_ZL13mul_mat_f_idsI7__half2Li32ELi14ELi4EEvPKT_PKfPKiS7_S7_Pfiiiiiiiiiiiiii15HIP_vector_typeIjLj3EESA_ ; -- Begin function _ZL13mul_mat_f_idsI7__half2Li32ELi14ELi4EEvPKT_PKfPKiS7_S7_Pfiiiiiiiiiiiiii15HIP_vector_typeIjLj3EESA_
	.p2align	8
	.type	_ZL13mul_mat_f_idsI7__half2Li32ELi14ELi4EEvPKT_PKfPKiS7_S7_Pfiiiiiiiiiiiiii15HIP_vector_typeIjLj3EESA_,@function
_ZL13mul_mat_f_idsI7__half2Li32ELi14ELi4EEvPKT_PKfPKiS7_S7_Pfiiiiiiiiiiiiii15HIP_vector_typeIjLj3EESA_: ; @_ZL13mul_mat_f_idsI7__half2Li32ELi14ELi4EEvPKT_PKfPKiS7_S7_Pfiiiiiiiiiiiiii15HIP_vector_typeIjLj3EESA_
; %bb.0:
	s_add_u32 s8, s0, 0x80
	s_addc_u32 s9, s1, 0
	s_getpc_b64 s[0:1]
	s_add_u32 s0, s0, __FUNCTION__._ZL13mul_mat_f_idsIfLi32ELi14ELi1EEvPKT_PKfPKiS6_S6_Pfiiiiiiiiiiiiii15HIP_vector_typeIjLj3EES9_@rel32@lo+4
	s_addc_u32 s1, s1, __FUNCTION__._ZL13mul_mat_f_idsIfLi32ELi14ELi1EEvPKT_PKfPKiS6_S6_Pfiiiiiiiiiiiiii15HIP_vector_typeIjLj3EES9_@rel32@hi+12
	v_mov_b32_e32 v0, 0x13b
	v_mov_b32_e32 v1, s0
	;; [unrolled: 1-line block ×3, first 2 shown]
	s_mov_b32 s32, 0
	s_getpc_b64 s[2:3]
	s_add_u32 s2, s2, _ZL14no_device_codePKciS0_iS0_@rel32@lo+4
	s_addc_u32 s3, s3, _ZL14no_device_codePKciS0_iS0_@rel32@hi+12
	s_swappc_b64 s[30:31], s[2:3]
	.section	.rodata,"a",@progbits
	.p2align	6, 0x0
	.amdhsa_kernel _ZL13mul_mat_f_idsI7__half2Li32ELi14ELi4EEvPKT_PKfPKiS7_S7_Pfiiiiiiiiiiiiii15HIP_vector_typeIjLj3EESA_
		.amdhsa_group_segment_fixed_size 0
		.amdhsa_private_segment_fixed_size 16
		.amdhsa_kernarg_size 384
		.amdhsa_user_sgpr_count 2
		.amdhsa_user_sgpr_dispatch_ptr 0
		.amdhsa_user_sgpr_queue_ptr 0
		.amdhsa_user_sgpr_kernarg_segment_ptr 1
		.amdhsa_user_sgpr_dispatch_id 0
		.amdhsa_user_sgpr_kernarg_preload_length 0
		.amdhsa_user_sgpr_kernarg_preload_offset 0
		.amdhsa_user_sgpr_private_segment_size 0
		.amdhsa_uses_dynamic_stack 0
		.amdhsa_enable_private_segment 1
		.amdhsa_system_sgpr_workgroup_id_x 1
		.amdhsa_system_sgpr_workgroup_id_y 0
		.amdhsa_system_sgpr_workgroup_id_z 0
		.amdhsa_system_sgpr_workgroup_info 0
		.amdhsa_system_vgpr_workitem_id 0
		.amdhsa_next_free_vgpr 41
		.amdhsa_next_free_sgpr 34
		.amdhsa_accum_offset 44
		.amdhsa_reserve_vcc 1
		.amdhsa_float_round_mode_32 0
		.amdhsa_float_round_mode_16_64 0
		.amdhsa_float_denorm_mode_32 3
		.amdhsa_float_denorm_mode_16_64 3
		.amdhsa_dx10_clamp 1
		.amdhsa_ieee_mode 1
		.amdhsa_fp16_overflow 0
		.amdhsa_tg_split 0
		.amdhsa_exception_fp_ieee_invalid_op 0
		.amdhsa_exception_fp_denorm_src 0
		.amdhsa_exception_fp_ieee_div_zero 0
		.amdhsa_exception_fp_ieee_overflow 0
		.amdhsa_exception_fp_ieee_underflow 0
		.amdhsa_exception_fp_ieee_inexact 0
		.amdhsa_exception_int_div_zero 0
	.end_amdhsa_kernel
	.section	.text._ZL13mul_mat_f_idsI7__half2Li32ELi14ELi4EEvPKT_PKfPKiS7_S7_Pfiiiiiiiiiiiiii15HIP_vector_typeIjLj3EESA_,"axG",@progbits,_ZL13mul_mat_f_idsI7__half2Li32ELi14ELi4EEvPKT_PKfPKiS7_S7_Pfiiiiiiiiiiiiii15HIP_vector_typeIjLj3EESA_,comdat
.Lfunc_end36:
	.size	_ZL13mul_mat_f_idsI7__half2Li32ELi14ELi4EEvPKT_PKfPKiS7_S7_Pfiiiiiiiiiiiiii15HIP_vector_typeIjLj3EESA_, .Lfunc_end36-_ZL13mul_mat_f_idsI7__half2Li32ELi14ELi4EEvPKT_PKfPKiS7_S7_Pfiiiiiiiiiiiiii15HIP_vector_typeIjLj3EESA_
                                        ; -- End function
	.section	.AMDGPU.csdata,"",@progbits
; Kernel info:
; codeLenInByte = 76
; NumSgprs: 40
; NumVgprs: 41
; NumAgprs: 0
; TotalNumVgprs: 41
; ScratchSize: 16
; MemoryBound: 0
; FloatMode: 240
; IeeeMode: 1
; LDSByteSize: 0 bytes/workgroup (compile time only)
; SGPRBlocks: 4
; VGPRBlocks: 5
; NumSGPRsForWavesPerEU: 40
; NumVGPRsForWavesPerEU: 41
; AccumOffset: 44
; Occupancy: 8
; WaveLimiterHint : 1
; COMPUTE_PGM_RSRC2:SCRATCH_EN: 1
; COMPUTE_PGM_RSRC2:USER_SGPR: 2
; COMPUTE_PGM_RSRC2:TRAP_HANDLER: 0
; COMPUTE_PGM_RSRC2:TGID_X_EN: 1
; COMPUTE_PGM_RSRC2:TGID_Y_EN: 0
; COMPUTE_PGM_RSRC2:TGID_Z_EN: 0
; COMPUTE_PGM_RSRC2:TIDIG_COMP_CNT: 0
; COMPUTE_PGM_RSRC3_GFX90A:ACCUM_OFFSET: 10
; COMPUTE_PGM_RSRC3_GFX90A:TG_SPLIT: 0
	.section	.text._ZL9mul_mat_fI7__half2Li32ELi14ELi4ELb1EEvPKT_PKfPKiPfiiiiiiiiiiiiiiii,"axG",@progbits,_ZL9mul_mat_fI7__half2Li32ELi14ELi4ELb1EEvPKT_PKfPKiPfiiiiiiiiiiiiiiii,comdat
	.globl	_ZL9mul_mat_fI7__half2Li32ELi14ELi4ELb1EEvPKT_PKfPKiPfiiiiiiiiiiiiiiii ; -- Begin function _ZL9mul_mat_fI7__half2Li32ELi14ELi4ELb1EEvPKT_PKfPKiPfiiiiiiiiiiiiiiii
	.p2align	8
	.type	_ZL9mul_mat_fI7__half2Li32ELi14ELi4ELb1EEvPKT_PKfPKiPfiiiiiiiiiiiiiiii,@function
_ZL9mul_mat_fI7__half2Li32ELi14ELi4ELb1EEvPKT_PKfPKiPfiiiiiiiiiiiiiiii: ; @_ZL9mul_mat_fI7__half2Li32ELi14ELi4ELb1EEvPKT_PKfPKiPfiiiiiiiiiiiiiiii
; %bb.0:
	s_add_u32 s8, s0, 0x60
	s_addc_u32 s9, s1, 0
	s_getpc_b64 s[0:1]
	s_add_u32 s0, s0, __FUNCTION__._ZL9mul_mat_fIfLi32ELi14ELi1ELb1EEvPKT_PKfPKiPfiiiiiiiiiiiiiiii@rel32@lo+4
	s_addc_u32 s1, s1, __FUNCTION__._ZL9mul_mat_fIfLi32ELi14ELi1ELb1EEvPKT_PKfPKiPfiiiiiiiiiiiiiiii@rel32@hi+12
	v_mov_b32_e32 v0, 64
	v_mov_b32_e32 v1, s0
	;; [unrolled: 1-line block ×3, first 2 shown]
	s_mov_b32 s32, 0
	s_getpc_b64 s[2:3]
	s_add_u32 s2, s2, _ZL14no_device_codePKciS0_iS0_@rel32@lo+4
	s_addc_u32 s3, s3, _ZL14no_device_codePKciS0_iS0_@rel32@hi+12
	s_swappc_b64 s[30:31], s[2:3]
	.section	.rodata,"a",@progbits
	.p2align	6, 0x0
	.amdhsa_kernel _ZL9mul_mat_fI7__half2Li32ELi14ELi4ELb1EEvPKT_PKfPKiPfiiiiiiiiiiiiiiii
		.amdhsa_group_segment_fixed_size 0
		.amdhsa_private_segment_fixed_size 16
		.amdhsa_kernarg_size 352
		.amdhsa_user_sgpr_count 2
		.amdhsa_user_sgpr_dispatch_ptr 0
		.amdhsa_user_sgpr_queue_ptr 0
		.amdhsa_user_sgpr_kernarg_segment_ptr 1
		.amdhsa_user_sgpr_dispatch_id 0
		.amdhsa_user_sgpr_kernarg_preload_length 0
		.amdhsa_user_sgpr_kernarg_preload_offset 0
		.amdhsa_user_sgpr_private_segment_size 0
		.amdhsa_uses_dynamic_stack 0
		.amdhsa_enable_private_segment 1
		.amdhsa_system_sgpr_workgroup_id_x 1
		.amdhsa_system_sgpr_workgroup_id_y 0
		.amdhsa_system_sgpr_workgroup_id_z 0
		.amdhsa_system_sgpr_workgroup_info 0
		.amdhsa_system_vgpr_workitem_id 0
		.amdhsa_next_free_vgpr 41
		.amdhsa_next_free_sgpr 34
		.amdhsa_accum_offset 44
		.amdhsa_reserve_vcc 1
		.amdhsa_float_round_mode_32 0
		.amdhsa_float_round_mode_16_64 0
		.amdhsa_float_denorm_mode_32 3
		.amdhsa_float_denorm_mode_16_64 3
		.amdhsa_dx10_clamp 1
		.amdhsa_ieee_mode 1
		.amdhsa_fp16_overflow 0
		.amdhsa_tg_split 0
		.amdhsa_exception_fp_ieee_invalid_op 0
		.amdhsa_exception_fp_denorm_src 0
		.amdhsa_exception_fp_ieee_div_zero 0
		.amdhsa_exception_fp_ieee_overflow 0
		.amdhsa_exception_fp_ieee_underflow 0
		.amdhsa_exception_fp_ieee_inexact 0
		.amdhsa_exception_int_div_zero 0
	.end_amdhsa_kernel
	.section	.text._ZL9mul_mat_fI7__half2Li32ELi14ELi4ELb1EEvPKT_PKfPKiPfiiiiiiiiiiiiiiii,"axG",@progbits,_ZL9mul_mat_fI7__half2Li32ELi14ELi4ELb1EEvPKT_PKfPKiPfiiiiiiiiiiiiiiii,comdat
.Lfunc_end37:
	.size	_ZL9mul_mat_fI7__half2Li32ELi14ELi4ELb1EEvPKT_PKfPKiPfiiiiiiiiiiiiiiii, .Lfunc_end37-_ZL9mul_mat_fI7__half2Li32ELi14ELi4ELb1EEvPKT_PKfPKiPfiiiiiiiiiiiiiiii
                                        ; -- End function
	.section	.AMDGPU.csdata,"",@progbits
; Kernel info:
; codeLenInByte = 72
; NumSgprs: 40
; NumVgprs: 41
; NumAgprs: 0
; TotalNumVgprs: 41
; ScratchSize: 16
; MemoryBound: 0
; FloatMode: 240
; IeeeMode: 1
; LDSByteSize: 0 bytes/workgroup (compile time only)
; SGPRBlocks: 4
; VGPRBlocks: 5
; NumSGPRsForWavesPerEU: 40
; NumVGPRsForWavesPerEU: 41
; AccumOffset: 44
; Occupancy: 8
; WaveLimiterHint : 1
; COMPUTE_PGM_RSRC2:SCRATCH_EN: 1
; COMPUTE_PGM_RSRC2:USER_SGPR: 2
; COMPUTE_PGM_RSRC2:TRAP_HANDLER: 0
; COMPUTE_PGM_RSRC2:TGID_X_EN: 1
; COMPUTE_PGM_RSRC2:TGID_Y_EN: 0
; COMPUTE_PGM_RSRC2:TGID_Z_EN: 0
; COMPUTE_PGM_RSRC2:TIDIG_COMP_CNT: 0
; COMPUTE_PGM_RSRC3_GFX90A:ACCUM_OFFSET: 10
; COMPUTE_PGM_RSRC3_GFX90A:TG_SPLIT: 0
	.section	.text._ZL9mul_mat_fI7__half2Li32ELi14ELi4ELb0EEvPKT_PKfPKiPfiiiiiiiiiiiiiiii,"axG",@progbits,_ZL9mul_mat_fI7__half2Li32ELi14ELi4ELb0EEvPKT_PKfPKiPfiiiiiiiiiiiiiiii,comdat
	.globl	_ZL9mul_mat_fI7__half2Li32ELi14ELi4ELb0EEvPKT_PKfPKiPfiiiiiiiiiiiiiiii ; -- Begin function _ZL9mul_mat_fI7__half2Li32ELi14ELi4ELb0EEvPKT_PKfPKiPfiiiiiiiiiiiiiiii
	.p2align	8
	.type	_ZL9mul_mat_fI7__half2Li32ELi14ELi4ELb0EEvPKT_PKfPKiPfiiiiiiiiiiiiiiii,@function
_ZL9mul_mat_fI7__half2Li32ELi14ELi4ELb0EEvPKT_PKfPKiPfiiiiiiiiiiiiiiii: ; @_ZL9mul_mat_fI7__half2Li32ELi14ELi4ELb0EEvPKT_PKfPKiPfiiiiiiiiiiiiiiii
; %bb.0:
	s_add_u32 s8, s0, 0x60
	s_addc_u32 s9, s1, 0
	s_getpc_b64 s[0:1]
	s_add_u32 s0, s0, __FUNCTION__._ZL9mul_mat_fIfLi32ELi14ELi1ELb1EEvPKT_PKfPKiPfiiiiiiiiiiiiiiii@rel32@lo+4
	s_addc_u32 s1, s1, __FUNCTION__._ZL9mul_mat_fIfLi32ELi14ELi1ELb1EEvPKT_PKfPKiPfiiiiiiiiiiiiiiii@rel32@hi+12
	v_mov_b32_e32 v0, 64
	v_mov_b32_e32 v1, s0
	;; [unrolled: 1-line block ×3, first 2 shown]
	s_mov_b32 s32, 0
	s_getpc_b64 s[2:3]
	s_add_u32 s2, s2, _ZL14no_device_codePKciS0_iS0_@rel32@lo+4
	s_addc_u32 s3, s3, _ZL14no_device_codePKciS0_iS0_@rel32@hi+12
	s_swappc_b64 s[30:31], s[2:3]
	.section	.rodata,"a",@progbits
	.p2align	6, 0x0
	.amdhsa_kernel _ZL9mul_mat_fI7__half2Li32ELi14ELi4ELb0EEvPKT_PKfPKiPfiiiiiiiiiiiiiiii
		.amdhsa_group_segment_fixed_size 0
		.amdhsa_private_segment_fixed_size 16
		.amdhsa_kernarg_size 352
		.amdhsa_user_sgpr_count 2
		.amdhsa_user_sgpr_dispatch_ptr 0
		.amdhsa_user_sgpr_queue_ptr 0
		.amdhsa_user_sgpr_kernarg_segment_ptr 1
		.amdhsa_user_sgpr_dispatch_id 0
		.amdhsa_user_sgpr_kernarg_preload_length 0
		.amdhsa_user_sgpr_kernarg_preload_offset 0
		.amdhsa_user_sgpr_private_segment_size 0
		.amdhsa_uses_dynamic_stack 0
		.amdhsa_enable_private_segment 1
		.amdhsa_system_sgpr_workgroup_id_x 1
		.amdhsa_system_sgpr_workgroup_id_y 0
		.amdhsa_system_sgpr_workgroup_id_z 0
		.amdhsa_system_sgpr_workgroup_info 0
		.amdhsa_system_vgpr_workitem_id 0
		.amdhsa_next_free_vgpr 41
		.amdhsa_next_free_sgpr 34
		.amdhsa_accum_offset 44
		.amdhsa_reserve_vcc 1
		.amdhsa_float_round_mode_32 0
		.amdhsa_float_round_mode_16_64 0
		.amdhsa_float_denorm_mode_32 3
		.amdhsa_float_denorm_mode_16_64 3
		.amdhsa_dx10_clamp 1
		.amdhsa_ieee_mode 1
		.amdhsa_fp16_overflow 0
		.amdhsa_tg_split 0
		.amdhsa_exception_fp_ieee_invalid_op 0
		.amdhsa_exception_fp_denorm_src 0
		.amdhsa_exception_fp_ieee_div_zero 0
		.amdhsa_exception_fp_ieee_overflow 0
		.amdhsa_exception_fp_ieee_underflow 0
		.amdhsa_exception_fp_ieee_inexact 0
		.amdhsa_exception_int_div_zero 0
	.end_amdhsa_kernel
	.section	.text._ZL9mul_mat_fI7__half2Li32ELi14ELi4ELb0EEvPKT_PKfPKiPfiiiiiiiiiiiiiiii,"axG",@progbits,_ZL9mul_mat_fI7__half2Li32ELi14ELi4ELb0EEvPKT_PKfPKiPfiiiiiiiiiiiiiiii,comdat
.Lfunc_end38:
	.size	_ZL9mul_mat_fI7__half2Li32ELi14ELi4ELb0EEvPKT_PKfPKiPfiiiiiiiiiiiiiiii, .Lfunc_end38-_ZL9mul_mat_fI7__half2Li32ELi14ELi4ELb0EEvPKT_PKfPKiPfiiiiiiiiiiiiiiii
                                        ; -- End function
	.section	.AMDGPU.csdata,"",@progbits
; Kernel info:
; codeLenInByte = 72
; NumSgprs: 40
; NumVgprs: 41
; NumAgprs: 0
; TotalNumVgprs: 41
; ScratchSize: 16
; MemoryBound: 0
; FloatMode: 240
; IeeeMode: 1
; LDSByteSize: 0 bytes/workgroup (compile time only)
; SGPRBlocks: 4
; VGPRBlocks: 5
; NumSGPRsForWavesPerEU: 40
; NumVGPRsForWavesPerEU: 41
; AccumOffset: 44
; Occupancy: 8
; WaveLimiterHint : 1
; COMPUTE_PGM_RSRC2:SCRATCH_EN: 1
; COMPUTE_PGM_RSRC2:USER_SGPR: 2
; COMPUTE_PGM_RSRC2:TRAP_HANDLER: 0
; COMPUTE_PGM_RSRC2:TGID_X_EN: 1
; COMPUTE_PGM_RSRC2:TGID_Y_EN: 0
; COMPUTE_PGM_RSRC2:TGID_Z_EN: 0
; COMPUTE_PGM_RSRC2:TIDIG_COMP_CNT: 0
; COMPUTE_PGM_RSRC3_GFX90A:ACCUM_OFFSET: 10
; COMPUTE_PGM_RSRC3_GFX90A:TG_SPLIT: 0
	.section	.text._ZL13mul_mat_f_idsI7__half2Li32ELi14ELi5EEvPKT_PKfPKiS7_S7_Pfiiiiiiiiiiiiii15HIP_vector_typeIjLj3EESA_,"axG",@progbits,_ZL13mul_mat_f_idsI7__half2Li32ELi14ELi5EEvPKT_PKfPKiS7_S7_Pfiiiiiiiiiiiiii15HIP_vector_typeIjLj3EESA_,comdat
	.globl	_ZL13mul_mat_f_idsI7__half2Li32ELi14ELi5EEvPKT_PKfPKiS7_S7_Pfiiiiiiiiiiiiii15HIP_vector_typeIjLj3EESA_ ; -- Begin function _ZL13mul_mat_f_idsI7__half2Li32ELi14ELi5EEvPKT_PKfPKiS7_S7_Pfiiiiiiiiiiiiii15HIP_vector_typeIjLj3EESA_
	.p2align	8
	.type	_ZL13mul_mat_f_idsI7__half2Li32ELi14ELi5EEvPKT_PKfPKiS7_S7_Pfiiiiiiiiiiiiii15HIP_vector_typeIjLj3EESA_,@function
_ZL13mul_mat_f_idsI7__half2Li32ELi14ELi5EEvPKT_PKfPKiS7_S7_Pfiiiiiiiiiiiiii15HIP_vector_typeIjLj3EESA_: ; @_ZL13mul_mat_f_idsI7__half2Li32ELi14ELi5EEvPKT_PKfPKiS7_S7_Pfiiiiiiiiiiiiii15HIP_vector_typeIjLj3EESA_
; %bb.0:
	s_add_u32 s8, s0, 0x80
	s_addc_u32 s9, s1, 0
	s_getpc_b64 s[0:1]
	s_add_u32 s0, s0, __FUNCTION__._ZL13mul_mat_f_idsIfLi32ELi14ELi1EEvPKT_PKfPKiS6_S6_Pfiiiiiiiiiiiiii15HIP_vector_typeIjLj3EES9_@rel32@lo+4
	s_addc_u32 s1, s1, __FUNCTION__._ZL13mul_mat_f_idsIfLi32ELi14ELi1EEvPKT_PKfPKiS6_S6_Pfiiiiiiiiiiiiii15HIP_vector_typeIjLj3EES9_@rel32@hi+12
	v_mov_b32_e32 v0, 0x13b
	v_mov_b32_e32 v1, s0
	v_mov_b32_e32 v2, s1
	s_mov_b32 s32, 0
	s_getpc_b64 s[2:3]
	s_add_u32 s2, s2, _ZL14no_device_codePKciS0_iS0_@rel32@lo+4
	s_addc_u32 s3, s3, _ZL14no_device_codePKciS0_iS0_@rel32@hi+12
	s_swappc_b64 s[30:31], s[2:3]
	.section	.rodata,"a",@progbits
	.p2align	6, 0x0
	.amdhsa_kernel _ZL13mul_mat_f_idsI7__half2Li32ELi14ELi5EEvPKT_PKfPKiS7_S7_Pfiiiiiiiiiiiiii15HIP_vector_typeIjLj3EESA_
		.amdhsa_group_segment_fixed_size 0
		.amdhsa_private_segment_fixed_size 16
		.amdhsa_kernarg_size 384
		.amdhsa_user_sgpr_count 2
		.amdhsa_user_sgpr_dispatch_ptr 0
		.amdhsa_user_sgpr_queue_ptr 0
		.amdhsa_user_sgpr_kernarg_segment_ptr 1
		.amdhsa_user_sgpr_dispatch_id 0
		.amdhsa_user_sgpr_kernarg_preload_length 0
		.amdhsa_user_sgpr_kernarg_preload_offset 0
		.amdhsa_user_sgpr_private_segment_size 0
		.amdhsa_uses_dynamic_stack 0
		.amdhsa_enable_private_segment 1
		.amdhsa_system_sgpr_workgroup_id_x 1
		.amdhsa_system_sgpr_workgroup_id_y 0
		.amdhsa_system_sgpr_workgroup_id_z 0
		.amdhsa_system_sgpr_workgroup_info 0
		.amdhsa_system_vgpr_workitem_id 0
		.amdhsa_next_free_vgpr 41
		.amdhsa_next_free_sgpr 34
		.amdhsa_accum_offset 44
		.amdhsa_reserve_vcc 1
		.amdhsa_float_round_mode_32 0
		.amdhsa_float_round_mode_16_64 0
		.amdhsa_float_denorm_mode_32 3
		.amdhsa_float_denorm_mode_16_64 3
		.amdhsa_dx10_clamp 1
		.amdhsa_ieee_mode 1
		.amdhsa_fp16_overflow 0
		.amdhsa_tg_split 0
		.amdhsa_exception_fp_ieee_invalid_op 0
		.amdhsa_exception_fp_denorm_src 0
		.amdhsa_exception_fp_ieee_div_zero 0
		.amdhsa_exception_fp_ieee_overflow 0
		.amdhsa_exception_fp_ieee_underflow 0
		.amdhsa_exception_fp_ieee_inexact 0
		.amdhsa_exception_int_div_zero 0
	.end_amdhsa_kernel
	.section	.text._ZL13mul_mat_f_idsI7__half2Li32ELi14ELi5EEvPKT_PKfPKiS7_S7_Pfiiiiiiiiiiiiii15HIP_vector_typeIjLj3EESA_,"axG",@progbits,_ZL13mul_mat_f_idsI7__half2Li32ELi14ELi5EEvPKT_PKfPKiS7_S7_Pfiiiiiiiiiiiiii15HIP_vector_typeIjLj3EESA_,comdat
.Lfunc_end39:
	.size	_ZL13mul_mat_f_idsI7__half2Li32ELi14ELi5EEvPKT_PKfPKiS7_S7_Pfiiiiiiiiiiiiii15HIP_vector_typeIjLj3EESA_, .Lfunc_end39-_ZL13mul_mat_f_idsI7__half2Li32ELi14ELi5EEvPKT_PKfPKiS7_S7_Pfiiiiiiiiiiiiii15HIP_vector_typeIjLj3EESA_
                                        ; -- End function
	.section	.AMDGPU.csdata,"",@progbits
; Kernel info:
; codeLenInByte = 76
; NumSgprs: 40
; NumVgprs: 41
; NumAgprs: 0
; TotalNumVgprs: 41
; ScratchSize: 16
; MemoryBound: 0
; FloatMode: 240
; IeeeMode: 1
; LDSByteSize: 0 bytes/workgroup (compile time only)
; SGPRBlocks: 4
; VGPRBlocks: 5
; NumSGPRsForWavesPerEU: 40
; NumVGPRsForWavesPerEU: 41
; AccumOffset: 44
; Occupancy: 8
; WaveLimiterHint : 1
; COMPUTE_PGM_RSRC2:SCRATCH_EN: 1
; COMPUTE_PGM_RSRC2:USER_SGPR: 2
; COMPUTE_PGM_RSRC2:TRAP_HANDLER: 0
; COMPUTE_PGM_RSRC2:TGID_X_EN: 1
; COMPUTE_PGM_RSRC2:TGID_Y_EN: 0
; COMPUTE_PGM_RSRC2:TGID_Z_EN: 0
; COMPUTE_PGM_RSRC2:TIDIG_COMP_CNT: 0
; COMPUTE_PGM_RSRC3_GFX90A:ACCUM_OFFSET: 10
; COMPUTE_PGM_RSRC3_GFX90A:TG_SPLIT: 0
	.section	.text._ZL9mul_mat_fI7__half2Li32ELi14ELi5ELb1EEvPKT_PKfPKiPfiiiiiiiiiiiiiiii,"axG",@progbits,_ZL9mul_mat_fI7__half2Li32ELi14ELi5ELb1EEvPKT_PKfPKiPfiiiiiiiiiiiiiiii,comdat
	.globl	_ZL9mul_mat_fI7__half2Li32ELi14ELi5ELb1EEvPKT_PKfPKiPfiiiiiiiiiiiiiiii ; -- Begin function _ZL9mul_mat_fI7__half2Li32ELi14ELi5ELb1EEvPKT_PKfPKiPfiiiiiiiiiiiiiiii
	.p2align	8
	.type	_ZL9mul_mat_fI7__half2Li32ELi14ELi5ELb1EEvPKT_PKfPKiPfiiiiiiiiiiiiiiii,@function
_ZL9mul_mat_fI7__half2Li32ELi14ELi5ELb1EEvPKT_PKfPKiPfiiiiiiiiiiiiiiii: ; @_ZL9mul_mat_fI7__half2Li32ELi14ELi5ELb1EEvPKT_PKfPKiPfiiiiiiiiiiiiiiii
; %bb.0:
	s_add_u32 s8, s0, 0x60
	s_addc_u32 s9, s1, 0
	s_getpc_b64 s[0:1]
	s_add_u32 s0, s0, __FUNCTION__._ZL9mul_mat_fIfLi32ELi14ELi1ELb1EEvPKT_PKfPKiPfiiiiiiiiiiiiiiii@rel32@lo+4
	s_addc_u32 s1, s1, __FUNCTION__._ZL9mul_mat_fIfLi32ELi14ELi1ELb1EEvPKT_PKfPKiPfiiiiiiiiiiiiiiii@rel32@hi+12
	v_mov_b32_e32 v0, 64
	v_mov_b32_e32 v1, s0
	;; [unrolled: 1-line block ×3, first 2 shown]
	s_mov_b32 s32, 0
	s_getpc_b64 s[2:3]
	s_add_u32 s2, s2, _ZL14no_device_codePKciS0_iS0_@rel32@lo+4
	s_addc_u32 s3, s3, _ZL14no_device_codePKciS0_iS0_@rel32@hi+12
	s_swappc_b64 s[30:31], s[2:3]
	.section	.rodata,"a",@progbits
	.p2align	6, 0x0
	.amdhsa_kernel _ZL9mul_mat_fI7__half2Li32ELi14ELi5ELb1EEvPKT_PKfPKiPfiiiiiiiiiiiiiiii
		.amdhsa_group_segment_fixed_size 0
		.amdhsa_private_segment_fixed_size 16
		.amdhsa_kernarg_size 352
		.amdhsa_user_sgpr_count 2
		.amdhsa_user_sgpr_dispatch_ptr 0
		.amdhsa_user_sgpr_queue_ptr 0
		.amdhsa_user_sgpr_kernarg_segment_ptr 1
		.amdhsa_user_sgpr_dispatch_id 0
		.amdhsa_user_sgpr_kernarg_preload_length 0
		.amdhsa_user_sgpr_kernarg_preload_offset 0
		.amdhsa_user_sgpr_private_segment_size 0
		.amdhsa_uses_dynamic_stack 0
		.amdhsa_enable_private_segment 1
		.amdhsa_system_sgpr_workgroup_id_x 1
		.amdhsa_system_sgpr_workgroup_id_y 0
		.amdhsa_system_sgpr_workgroup_id_z 0
		.amdhsa_system_sgpr_workgroup_info 0
		.amdhsa_system_vgpr_workitem_id 0
		.amdhsa_next_free_vgpr 41
		.amdhsa_next_free_sgpr 34
		.amdhsa_accum_offset 44
		.amdhsa_reserve_vcc 1
		.amdhsa_float_round_mode_32 0
		.amdhsa_float_round_mode_16_64 0
		.amdhsa_float_denorm_mode_32 3
		.amdhsa_float_denorm_mode_16_64 3
		.amdhsa_dx10_clamp 1
		.amdhsa_ieee_mode 1
		.amdhsa_fp16_overflow 0
		.amdhsa_tg_split 0
		.amdhsa_exception_fp_ieee_invalid_op 0
		.amdhsa_exception_fp_denorm_src 0
		.amdhsa_exception_fp_ieee_div_zero 0
		.amdhsa_exception_fp_ieee_overflow 0
		.amdhsa_exception_fp_ieee_underflow 0
		.amdhsa_exception_fp_ieee_inexact 0
		.amdhsa_exception_int_div_zero 0
	.end_amdhsa_kernel
	.section	.text._ZL9mul_mat_fI7__half2Li32ELi14ELi5ELb1EEvPKT_PKfPKiPfiiiiiiiiiiiiiiii,"axG",@progbits,_ZL9mul_mat_fI7__half2Li32ELi14ELi5ELb1EEvPKT_PKfPKiPfiiiiiiiiiiiiiiii,comdat
.Lfunc_end40:
	.size	_ZL9mul_mat_fI7__half2Li32ELi14ELi5ELb1EEvPKT_PKfPKiPfiiiiiiiiiiiiiiii, .Lfunc_end40-_ZL9mul_mat_fI7__half2Li32ELi14ELi5ELb1EEvPKT_PKfPKiPfiiiiiiiiiiiiiiii
                                        ; -- End function
	.section	.AMDGPU.csdata,"",@progbits
; Kernel info:
; codeLenInByte = 72
; NumSgprs: 40
; NumVgprs: 41
; NumAgprs: 0
; TotalNumVgprs: 41
; ScratchSize: 16
; MemoryBound: 0
; FloatMode: 240
; IeeeMode: 1
; LDSByteSize: 0 bytes/workgroup (compile time only)
; SGPRBlocks: 4
; VGPRBlocks: 5
; NumSGPRsForWavesPerEU: 40
; NumVGPRsForWavesPerEU: 41
; AccumOffset: 44
; Occupancy: 8
; WaveLimiterHint : 1
; COMPUTE_PGM_RSRC2:SCRATCH_EN: 1
; COMPUTE_PGM_RSRC2:USER_SGPR: 2
; COMPUTE_PGM_RSRC2:TRAP_HANDLER: 0
; COMPUTE_PGM_RSRC2:TGID_X_EN: 1
; COMPUTE_PGM_RSRC2:TGID_Y_EN: 0
; COMPUTE_PGM_RSRC2:TGID_Z_EN: 0
; COMPUTE_PGM_RSRC2:TIDIG_COMP_CNT: 0
; COMPUTE_PGM_RSRC3_GFX90A:ACCUM_OFFSET: 10
; COMPUTE_PGM_RSRC3_GFX90A:TG_SPLIT: 0
	.section	.text._ZL9mul_mat_fI7__half2Li32ELi14ELi5ELb0EEvPKT_PKfPKiPfiiiiiiiiiiiiiiii,"axG",@progbits,_ZL9mul_mat_fI7__half2Li32ELi14ELi5ELb0EEvPKT_PKfPKiPfiiiiiiiiiiiiiiii,comdat
	.globl	_ZL9mul_mat_fI7__half2Li32ELi14ELi5ELb0EEvPKT_PKfPKiPfiiiiiiiiiiiiiiii ; -- Begin function _ZL9mul_mat_fI7__half2Li32ELi14ELi5ELb0EEvPKT_PKfPKiPfiiiiiiiiiiiiiiii
	.p2align	8
	.type	_ZL9mul_mat_fI7__half2Li32ELi14ELi5ELb0EEvPKT_PKfPKiPfiiiiiiiiiiiiiiii,@function
_ZL9mul_mat_fI7__half2Li32ELi14ELi5ELb0EEvPKT_PKfPKiPfiiiiiiiiiiiiiiii: ; @_ZL9mul_mat_fI7__half2Li32ELi14ELi5ELb0EEvPKT_PKfPKiPfiiiiiiiiiiiiiiii
; %bb.0:
	s_add_u32 s8, s0, 0x60
	s_addc_u32 s9, s1, 0
	s_getpc_b64 s[0:1]
	s_add_u32 s0, s0, __FUNCTION__._ZL9mul_mat_fIfLi32ELi14ELi1ELb1EEvPKT_PKfPKiPfiiiiiiiiiiiiiiii@rel32@lo+4
	s_addc_u32 s1, s1, __FUNCTION__._ZL9mul_mat_fIfLi32ELi14ELi1ELb1EEvPKT_PKfPKiPfiiiiiiiiiiiiiiii@rel32@hi+12
	v_mov_b32_e32 v0, 64
	v_mov_b32_e32 v1, s0
	;; [unrolled: 1-line block ×3, first 2 shown]
	s_mov_b32 s32, 0
	s_getpc_b64 s[2:3]
	s_add_u32 s2, s2, _ZL14no_device_codePKciS0_iS0_@rel32@lo+4
	s_addc_u32 s3, s3, _ZL14no_device_codePKciS0_iS0_@rel32@hi+12
	s_swappc_b64 s[30:31], s[2:3]
	.section	.rodata,"a",@progbits
	.p2align	6, 0x0
	.amdhsa_kernel _ZL9mul_mat_fI7__half2Li32ELi14ELi5ELb0EEvPKT_PKfPKiPfiiiiiiiiiiiiiiii
		.amdhsa_group_segment_fixed_size 0
		.amdhsa_private_segment_fixed_size 16
		.amdhsa_kernarg_size 352
		.amdhsa_user_sgpr_count 2
		.amdhsa_user_sgpr_dispatch_ptr 0
		.amdhsa_user_sgpr_queue_ptr 0
		.amdhsa_user_sgpr_kernarg_segment_ptr 1
		.amdhsa_user_sgpr_dispatch_id 0
		.amdhsa_user_sgpr_kernarg_preload_length 0
		.amdhsa_user_sgpr_kernarg_preload_offset 0
		.amdhsa_user_sgpr_private_segment_size 0
		.amdhsa_uses_dynamic_stack 0
		.amdhsa_enable_private_segment 1
		.amdhsa_system_sgpr_workgroup_id_x 1
		.amdhsa_system_sgpr_workgroup_id_y 0
		.amdhsa_system_sgpr_workgroup_id_z 0
		.amdhsa_system_sgpr_workgroup_info 0
		.amdhsa_system_vgpr_workitem_id 0
		.amdhsa_next_free_vgpr 41
		.amdhsa_next_free_sgpr 34
		.amdhsa_accum_offset 44
		.amdhsa_reserve_vcc 1
		.amdhsa_float_round_mode_32 0
		.amdhsa_float_round_mode_16_64 0
		.amdhsa_float_denorm_mode_32 3
		.amdhsa_float_denorm_mode_16_64 3
		.amdhsa_dx10_clamp 1
		.amdhsa_ieee_mode 1
		.amdhsa_fp16_overflow 0
		.amdhsa_tg_split 0
		.amdhsa_exception_fp_ieee_invalid_op 0
		.amdhsa_exception_fp_denorm_src 0
		.amdhsa_exception_fp_ieee_div_zero 0
		.amdhsa_exception_fp_ieee_overflow 0
		.amdhsa_exception_fp_ieee_underflow 0
		.amdhsa_exception_fp_ieee_inexact 0
		.amdhsa_exception_int_div_zero 0
	.end_amdhsa_kernel
	.section	.text._ZL9mul_mat_fI7__half2Li32ELi14ELi5ELb0EEvPKT_PKfPKiPfiiiiiiiiiiiiiiii,"axG",@progbits,_ZL9mul_mat_fI7__half2Li32ELi14ELi5ELb0EEvPKT_PKfPKiPfiiiiiiiiiiiiiiii,comdat
.Lfunc_end41:
	.size	_ZL9mul_mat_fI7__half2Li32ELi14ELi5ELb0EEvPKT_PKfPKiPfiiiiiiiiiiiiiiii, .Lfunc_end41-_ZL9mul_mat_fI7__half2Li32ELi14ELi5ELb0EEvPKT_PKfPKiPfiiiiiiiiiiiiiiii
                                        ; -- End function
	.section	.AMDGPU.csdata,"",@progbits
; Kernel info:
; codeLenInByte = 72
; NumSgprs: 40
; NumVgprs: 41
; NumAgprs: 0
; TotalNumVgprs: 41
; ScratchSize: 16
; MemoryBound: 0
; FloatMode: 240
; IeeeMode: 1
; LDSByteSize: 0 bytes/workgroup (compile time only)
; SGPRBlocks: 4
; VGPRBlocks: 5
; NumSGPRsForWavesPerEU: 40
; NumVGPRsForWavesPerEU: 41
; AccumOffset: 44
; Occupancy: 8
; WaveLimiterHint : 1
; COMPUTE_PGM_RSRC2:SCRATCH_EN: 1
; COMPUTE_PGM_RSRC2:USER_SGPR: 2
; COMPUTE_PGM_RSRC2:TRAP_HANDLER: 0
; COMPUTE_PGM_RSRC2:TGID_X_EN: 1
; COMPUTE_PGM_RSRC2:TGID_Y_EN: 0
; COMPUTE_PGM_RSRC2:TGID_Z_EN: 0
; COMPUTE_PGM_RSRC2:TIDIG_COMP_CNT: 0
; COMPUTE_PGM_RSRC3_GFX90A:ACCUM_OFFSET: 10
; COMPUTE_PGM_RSRC3_GFX90A:TG_SPLIT: 0
	.section	.text._ZL13mul_mat_f_idsI7__half2Li32ELi14ELi6EEvPKT_PKfPKiS7_S7_Pfiiiiiiiiiiiiii15HIP_vector_typeIjLj3EESA_,"axG",@progbits,_ZL13mul_mat_f_idsI7__half2Li32ELi14ELi6EEvPKT_PKfPKiS7_S7_Pfiiiiiiiiiiiiii15HIP_vector_typeIjLj3EESA_,comdat
	.globl	_ZL13mul_mat_f_idsI7__half2Li32ELi14ELi6EEvPKT_PKfPKiS7_S7_Pfiiiiiiiiiiiiii15HIP_vector_typeIjLj3EESA_ ; -- Begin function _ZL13mul_mat_f_idsI7__half2Li32ELi14ELi6EEvPKT_PKfPKiS7_S7_Pfiiiiiiiiiiiiii15HIP_vector_typeIjLj3EESA_
	.p2align	8
	.type	_ZL13mul_mat_f_idsI7__half2Li32ELi14ELi6EEvPKT_PKfPKiS7_S7_Pfiiiiiiiiiiiiii15HIP_vector_typeIjLj3EESA_,@function
_ZL13mul_mat_f_idsI7__half2Li32ELi14ELi6EEvPKT_PKfPKiS7_S7_Pfiiiiiiiiiiiiii15HIP_vector_typeIjLj3EESA_: ; @_ZL13mul_mat_f_idsI7__half2Li32ELi14ELi6EEvPKT_PKfPKiS7_S7_Pfiiiiiiiiiiiiii15HIP_vector_typeIjLj3EESA_
; %bb.0:
	s_add_u32 s8, s0, 0x80
	s_addc_u32 s9, s1, 0
	s_getpc_b64 s[0:1]
	s_add_u32 s0, s0, __FUNCTION__._ZL13mul_mat_f_idsIfLi32ELi14ELi1EEvPKT_PKfPKiS6_S6_Pfiiiiiiiiiiiiii15HIP_vector_typeIjLj3EES9_@rel32@lo+4
	s_addc_u32 s1, s1, __FUNCTION__._ZL13mul_mat_f_idsIfLi32ELi14ELi1EEvPKT_PKfPKiS6_S6_Pfiiiiiiiiiiiiii15HIP_vector_typeIjLj3EES9_@rel32@hi+12
	v_mov_b32_e32 v0, 0x13b
	v_mov_b32_e32 v1, s0
	;; [unrolled: 1-line block ×3, first 2 shown]
	s_mov_b32 s32, 0
	s_getpc_b64 s[2:3]
	s_add_u32 s2, s2, _ZL14no_device_codePKciS0_iS0_@rel32@lo+4
	s_addc_u32 s3, s3, _ZL14no_device_codePKciS0_iS0_@rel32@hi+12
	s_swappc_b64 s[30:31], s[2:3]
	.section	.rodata,"a",@progbits
	.p2align	6, 0x0
	.amdhsa_kernel _ZL13mul_mat_f_idsI7__half2Li32ELi14ELi6EEvPKT_PKfPKiS7_S7_Pfiiiiiiiiiiiiii15HIP_vector_typeIjLj3EESA_
		.amdhsa_group_segment_fixed_size 0
		.amdhsa_private_segment_fixed_size 16
		.amdhsa_kernarg_size 384
		.amdhsa_user_sgpr_count 2
		.amdhsa_user_sgpr_dispatch_ptr 0
		.amdhsa_user_sgpr_queue_ptr 0
		.amdhsa_user_sgpr_kernarg_segment_ptr 1
		.amdhsa_user_sgpr_dispatch_id 0
		.amdhsa_user_sgpr_kernarg_preload_length 0
		.amdhsa_user_sgpr_kernarg_preload_offset 0
		.amdhsa_user_sgpr_private_segment_size 0
		.amdhsa_uses_dynamic_stack 0
		.amdhsa_enable_private_segment 1
		.amdhsa_system_sgpr_workgroup_id_x 1
		.amdhsa_system_sgpr_workgroup_id_y 0
		.amdhsa_system_sgpr_workgroup_id_z 0
		.amdhsa_system_sgpr_workgroup_info 0
		.amdhsa_system_vgpr_workitem_id 0
		.amdhsa_next_free_vgpr 41
		.amdhsa_next_free_sgpr 34
		.amdhsa_accum_offset 44
		.amdhsa_reserve_vcc 1
		.amdhsa_float_round_mode_32 0
		.amdhsa_float_round_mode_16_64 0
		.amdhsa_float_denorm_mode_32 3
		.amdhsa_float_denorm_mode_16_64 3
		.amdhsa_dx10_clamp 1
		.amdhsa_ieee_mode 1
		.amdhsa_fp16_overflow 0
		.amdhsa_tg_split 0
		.amdhsa_exception_fp_ieee_invalid_op 0
		.amdhsa_exception_fp_denorm_src 0
		.amdhsa_exception_fp_ieee_div_zero 0
		.amdhsa_exception_fp_ieee_overflow 0
		.amdhsa_exception_fp_ieee_underflow 0
		.amdhsa_exception_fp_ieee_inexact 0
		.amdhsa_exception_int_div_zero 0
	.end_amdhsa_kernel
	.section	.text._ZL13mul_mat_f_idsI7__half2Li32ELi14ELi6EEvPKT_PKfPKiS7_S7_Pfiiiiiiiiiiiiii15HIP_vector_typeIjLj3EESA_,"axG",@progbits,_ZL13mul_mat_f_idsI7__half2Li32ELi14ELi6EEvPKT_PKfPKiS7_S7_Pfiiiiiiiiiiiiii15HIP_vector_typeIjLj3EESA_,comdat
.Lfunc_end42:
	.size	_ZL13mul_mat_f_idsI7__half2Li32ELi14ELi6EEvPKT_PKfPKiS7_S7_Pfiiiiiiiiiiiiii15HIP_vector_typeIjLj3EESA_, .Lfunc_end42-_ZL13mul_mat_f_idsI7__half2Li32ELi14ELi6EEvPKT_PKfPKiS7_S7_Pfiiiiiiiiiiiiii15HIP_vector_typeIjLj3EESA_
                                        ; -- End function
	.section	.AMDGPU.csdata,"",@progbits
; Kernel info:
; codeLenInByte = 76
; NumSgprs: 40
; NumVgprs: 41
; NumAgprs: 0
; TotalNumVgprs: 41
; ScratchSize: 16
; MemoryBound: 0
; FloatMode: 240
; IeeeMode: 1
; LDSByteSize: 0 bytes/workgroup (compile time only)
; SGPRBlocks: 4
; VGPRBlocks: 5
; NumSGPRsForWavesPerEU: 40
; NumVGPRsForWavesPerEU: 41
; AccumOffset: 44
; Occupancy: 8
; WaveLimiterHint : 1
; COMPUTE_PGM_RSRC2:SCRATCH_EN: 1
; COMPUTE_PGM_RSRC2:USER_SGPR: 2
; COMPUTE_PGM_RSRC2:TRAP_HANDLER: 0
; COMPUTE_PGM_RSRC2:TGID_X_EN: 1
; COMPUTE_PGM_RSRC2:TGID_Y_EN: 0
; COMPUTE_PGM_RSRC2:TGID_Z_EN: 0
; COMPUTE_PGM_RSRC2:TIDIG_COMP_CNT: 0
; COMPUTE_PGM_RSRC3_GFX90A:ACCUM_OFFSET: 10
; COMPUTE_PGM_RSRC3_GFX90A:TG_SPLIT: 0
	.section	.text._ZL9mul_mat_fI7__half2Li32ELi14ELi6ELb1EEvPKT_PKfPKiPfiiiiiiiiiiiiiiii,"axG",@progbits,_ZL9mul_mat_fI7__half2Li32ELi14ELi6ELb1EEvPKT_PKfPKiPfiiiiiiiiiiiiiiii,comdat
	.globl	_ZL9mul_mat_fI7__half2Li32ELi14ELi6ELb1EEvPKT_PKfPKiPfiiiiiiiiiiiiiiii ; -- Begin function _ZL9mul_mat_fI7__half2Li32ELi14ELi6ELb1EEvPKT_PKfPKiPfiiiiiiiiiiiiiiii
	.p2align	8
	.type	_ZL9mul_mat_fI7__half2Li32ELi14ELi6ELb1EEvPKT_PKfPKiPfiiiiiiiiiiiiiiii,@function
_ZL9mul_mat_fI7__half2Li32ELi14ELi6ELb1EEvPKT_PKfPKiPfiiiiiiiiiiiiiiii: ; @_ZL9mul_mat_fI7__half2Li32ELi14ELi6ELb1EEvPKT_PKfPKiPfiiiiiiiiiiiiiiii
; %bb.0:
	s_add_u32 s8, s0, 0x60
	s_addc_u32 s9, s1, 0
	s_getpc_b64 s[0:1]
	s_add_u32 s0, s0, __FUNCTION__._ZL9mul_mat_fIfLi32ELi14ELi1ELb1EEvPKT_PKfPKiPfiiiiiiiiiiiiiiii@rel32@lo+4
	s_addc_u32 s1, s1, __FUNCTION__._ZL9mul_mat_fIfLi32ELi14ELi1ELb1EEvPKT_PKfPKiPfiiiiiiiiiiiiiiii@rel32@hi+12
	v_mov_b32_e32 v0, 64
	v_mov_b32_e32 v1, s0
	;; [unrolled: 1-line block ×3, first 2 shown]
	s_mov_b32 s32, 0
	s_getpc_b64 s[2:3]
	s_add_u32 s2, s2, _ZL14no_device_codePKciS0_iS0_@rel32@lo+4
	s_addc_u32 s3, s3, _ZL14no_device_codePKciS0_iS0_@rel32@hi+12
	s_swappc_b64 s[30:31], s[2:3]
	.section	.rodata,"a",@progbits
	.p2align	6, 0x0
	.amdhsa_kernel _ZL9mul_mat_fI7__half2Li32ELi14ELi6ELb1EEvPKT_PKfPKiPfiiiiiiiiiiiiiiii
		.amdhsa_group_segment_fixed_size 0
		.amdhsa_private_segment_fixed_size 16
		.amdhsa_kernarg_size 352
		.amdhsa_user_sgpr_count 2
		.amdhsa_user_sgpr_dispatch_ptr 0
		.amdhsa_user_sgpr_queue_ptr 0
		.amdhsa_user_sgpr_kernarg_segment_ptr 1
		.amdhsa_user_sgpr_dispatch_id 0
		.amdhsa_user_sgpr_kernarg_preload_length 0
		.amdhsa_user_sgpr_kernarg_preload_offset 0
		.amdhsa_user_sgpr_private_segment_size 0
		.amdhsa_uses_dynamic_stack 0
		.amdhsa_enable_private_segment 1
		.amdhsa_system_sgpr_workgroup_id_x 1
		.amdhsa_system_sgpr_workgroup_id_y 0
		.amdhsa_system_sgpr_workgroup_id_z 0
		.amdhsa_system_sgpr_workgroup_info 0
		.amdhsa_system_vgpr_workitem_id 0
		.amdhsa_next_free_vgpr 41
		.amdhsa_next_free_sgpr 34
		.amdhsa_accum_offset 44
		.amdhsa_reserve_vcc 1
		.amdhsa_float_round_mode_32 0
		.amdhsa_float_round_mode_16_64 0
		.amdhsa_float_denorm_mode_32 3
		.amdhsa_float_denorm_mode_16_64 3
		.amdhsa_dx10_clamp 1
		.amdhsa_ieee_mode 1
		.amdhsa_fp16_overflow 0
		.amdhsa_tg_split 0
		.amdhsa_exception_fp_ieee_invalid_op 0
		.amdhsa_exception_fp_denorm_src 0
		.amdhsa_exception_fp_ieee_div_zero 0
		.amdhsa_exception_fp_ieee_overflow 0
		.amdhsa_exception_fp_ieee_underflow 0
		.amdhsa_exception_fp_ieee_inexact 0
		.amdhsa_exception_int_div_zero 0
	.end_amdhsa_kernel
	.section	.text._ZL9mul_mat_fI7__half2Li32ELi14ELi6ELb1EEvPKT_PKfPKiPfiiiiiiiiiiiiiiii,"axG",@progbits,_ZL9mul_mat_fI7__half2Li32ELi14ELi6ELb1EEvPKT_PKfPKiPfiiiiiiiiiiiiiiii,comdat
.Lfunc_end43:
	.size	_ZL9mul_mat_fI7__half2Li32ELi14ELi6ELb1EEvPKT_PKfPKiPfiiiiiiiiiiiiiiii, .Lfunc_end43-_ZL9mul_mat_fI7__half2Li32ELi14ELi6ELb1EEvPKT_PKfPKiPfiiiiiiiiiiiiiiii
                                        ; -- End function
	.section	.AMDGPU.csdata,"",@progbits
; Kernel info:
; codeLenInByte = 72
; NumSgprs: 40
; NumVgprs: 41
; NumAgprs: 0
; TotalNumVgprs: 41
; ScratchSize: 16
; MemoryBound: 0
; FloatMode: 240
; IeeeMode: 1
; LDSByteSize: 0 bytes/workgroup (compile time only)
; SGPRBlocks: 4
; VGPRBlocks: 5
; NumSGPRsForWavesPerEU: 40
; NumVGPRsForWavesPerEU: 41
; AccumOffset: 44
; Occupancy: 8
; WaveLimiterHint : 1
; COMPUTE_PGM_RSRC2:SCRATCH_EN: 1
; COMPUTE_PGM_RSRC2:USER_SGPR: 2
; COMPUTE_PGM_RSRC2:TRAP_HANDLER: 0
; COMPUTE_PGM_RSRC2:TGID_X_EN: 1
; COMPUTE_PGM_RSRC2:TGID_Y_EN: 0
; COMPUTE_PGM_RSRC2:TGID_Z_EN: 0
; COMPUTE_PGM_RSRC2:TIDIG_COMP_CNT: 0
; COMPUTE_PGM_RSRC3_GFX90A:ACCUM_OFFSET: 10
; COMPUTE_PGM_RSRC3_GFX90A:TG_SPLIT: 0
	.section	.text._ZL9mul_mat_fI7__half2Li32ELi14ELi6ELb0EEvPKT_PKfPKiPfiiiiiiiiiiiiiiii,"axG",@progbits,_ZL9mul_mat_fI7__half2Li32ELi14ELi6ELb0EEvPKT_PKfPKiPfiiiiiiiiiiiiiiii,comdat
	.globl	_ZL9mul_mat_fI7__half2Li32ELi14ELi6ELb0EEvPKT_PKfPKiPfiiiiiiiiiiiiiiii ; -- Begin function _ZL9mul_mat_fI7__half2Li32ELi14ELi6ELb0EEvPKT_PKfPKiPfiiiiiiiiiiiiiiii
	.p2align	8
	.type	_ZL9mul_mat_fI7__half2Li32ELi14ELi6ELb0EEvPKT_PKfPKiPfiiiiiiiiiiiiiiii,@function
_ZL9mul_mat_fI7__half2Li32ELi14ELi6ELb0EEvPKT_PKfPKiPfiiiiiiiiiiiiiiii: ; @_ZL9mul_mat_fI7__half2Li32ELi14ELi6ELb0EEvPKT_PKfPKiPfiiiiiiiiiiiiiiii
; %bb.0:
	s_add_u32 s8, s0, 0x60
	s_addc_u32 s9, s1, 0
	s_getpc_b64 s[0:1]
	s_add_u32 s0, s0, __FUNCTION__._ZL9mul_mat_fIfLi32ELi14ELi1ELb1EEvPKT_PKfPKiPfiiiiiiiiiiiiiiii@rel32@lo+4
	s_addc_u32 s1, s1, __FUNCTION__._ZL9mul_mat_fIfLi32ELi14ELi1ELb1EEvPKT_PKfPKiPfiiiiiiiiiiiiiiii@rel32@hi+12
	v_mov_b32_e32 v0, 64
	v_mov_b32_e32 v1, s0
	;; [unrolled: 1-line block ×3, first 2 shown]
	s_mov_b32 s32, 0
	s_getpc_b64 s[2:3]
	s_add_u32 s2, s2, _ZL14no_device_codePKciS0_iS0_@rel32@lo+4
	s_addc_u32 s3, s3, _ZL14no_device_codePKciS0_iS0_@rel32@hi+12
	s_swappc_b64 s[30:31], s[2:3]
	.section	.rodata,"a",@progbits
	.p2align	6, 0x0
	.amdhsa_kernel _ZL9mul_mat_fI7__half2Li32ELi14ELi6ELb0EEvPKT_PKfPKiPfiiiiiiiiiiiiiiii
		.amdhsa_group_segment_fixed_size 0
		.amdhsa_private_segment_fixed_size 16
		.amdhsa_kernarg_size 352
		.amdhsa_user_sgpr_count 2
		.amdhsa_user_sgpr_dispatch_ptr 0
		.amdhsa_user_sgpr_queue_ptr 0
		.amdhsa_user_sgpr_kernarg_segment_ptr 1
		.amdhsa_user_sgpr_dispatch_id 0
		.amdhsa_user_sgpr_kernarg_preload_length 0
		.amdhsa_user_sgpr_kernarg_preload_offset 0
		.amdhsa_user_sgpr_private_segment_size 0
		.amdhsa_uses_dynamic_stack 0
		.amdhsa_enable_private_segment 1
		.amdhsa_system_sgpr_workgroup_id_x 1
		.amdhsa_system_sgpr_workgroup_id_y 0
		.amdhsa_system_sgpr_workgroup_id_z 0
		.amdhsa_system_sgpr_workgroup_info 0
		.amdhsa_system_vgpr_workitem_id 0
		.amdhsa_next_free_vgpr 41
		.amdhsa_next_free_sgpr 34
		.amdhsa_accum_offset 44
		.amdhsa_reserve_vcc 1
		.amdhsa_float_round_mode_32 0
		.amdhsa_float_round_mode_16_64 0
		.amdhsa_float_denorm_mode_32 3
		.amdhsa_float_denorm_mode_16_64 3
		.amdhsa_dx10_clamp 1
		.amdhsa_ieee_mode 1
		.amdhsa_fp16_overflow 0
		.amdhsa_tg_split 0
		.amdhsa_exception_fp_ieee_invalid_op 0
		.amdhsa_exception_fp_denorm_src 0
		.amdhsa_exception_fp_ieee_div_zero 0
		.amdhsa_exception_fp_ieee_overflow 0
		.amdhsa_exception_fp_ieee_underflow 0
		.amdhsa_exception_fp_ieee_inexact 0
		.amdhsa_exception_int_div_zero 0
	.end_amdhsa_kernel
	.section	.text._ZL9mul_mat_fI7__half2Li32ELi14ELi6ELb0EEvPKT_PKfPKiPfiiiiiiiiiiiiiiii,"axG",@progbits,_ZL9mul_mat_fI7__half2Li32ELi14ELi6ELb0EEvPKT_PKfPKiPfiiiiiiiiiiiiiiii,comdat
.Lfunc_end44:
	.size	_ZL9mul_mat_fI7__half2Li32ELi14ELi6ELb0EEvPKT_PKfPKiPfiiiiiiiiiiiiiiii, .Lfunc_end44-_ZL9mul_mat_fI7__half2Li32ELi14ELi6ELb0EEvPKT_PKfPKiPfiiiiiiiiiiiiiiii
                                        ; -- End function
	.section	.AMDGPU.csdata,"",@progbits
; Kernel info:
; codeLenInByte = 72
; NumSgprs: 40
; NumVgprs: 41
; NumAgprs: 0
; TotalNumVgprs: 41
; ScratchSize: 16
; MemoryBound: 0
; FloatMode: 240
; IeeeMode: 1
; LDSByteSize: 0 bytes/workgroup (compile time only)
; SGPRBlocks: 4
; VGPRBlocks: 5
; NumSGPRsForWavesPerEU: 40
; NumVGPRsForWavesPerEU: 41
; AccumOffset: 44
; Occupancy: 8
; WaveLimiterHint : 1
; COMPUTE_PGM_RSRC2:SCRATCH_EN: 1
; COMPUTE_PGM_RSRC2:USER_SGPR: 2
; COMPUTE_PGM_RSRC2:TRAP_HANDLER: 0
; COMPUTE_PGM_RSRC2:TGID_X_EN: 1
; COMPUTE_PGM_RSRC2:TGID_Y_EN: 0
; COMPUTE_PGM_RSRC2:TGID_Z_EN: 0
; COMPUTE_PGM_RSRC2:TIDIG_COMP_CNT: 0
; COMPUTE_PGM_RSRC3_GFX90A:ACCUM_OFFSET: 10
; COMPUTE_PGM_RSRC3_GFX90A:TG_SPLIT: 0
	.section	.text._ZL13mul_mat_f_idsI7__half2Li32ELi14ELi7EEvPKT_PKfPKiS7_S7_Pfiiiiiiiiiiiiii15HIP_vector_typeIjLj3EESA_,"axG",@progbits,_ZL13mul_mat_f_idsI7__half2Li32ELi14ELi7EEvPKT_PKfPKiS7_S7_Pfiiiiiiiiiiiiii15HIP_vector_typeIjLj3EESA_,comdat
	.globl	_ZL13mul_mat_f_idsI7__half2Li32ELi14ELi7EEvPKT_PKfPKiS7_S7_Pfiiiiiiiiiiiiii15HIP_vector_typeIjLj3EESA_ ; -- Begin function _ZL13mul_mat_f_idsI7__half2Li32ELi14ELi7EEvPKT_PKfPKiS7_S7_Pfiiiiiiiiiiiiii15HIP_vector_typeIjLj3EESA_
	.p2align	8
	.type	_ZL13mul_mat_f_idsI7__half2Li32ELi14ELi7EEvPKT_PKfPKiS7_S7_Pfiiiiiiiiiiiiii15HIP_vector_typeIjLj3EESA_,@function
_ZL13mul_mat_f_idsI7__half2Li32ELi14ELi7EEvPKT_PKfPKiS7_S7_Pfiiiiiiiiiiiiii15HIP_vector_typeIjLj3EESA_: ; @_ZL13mul_mat_f_idsI7__half2Li32ELi14ELi7EEvPKT_PKfPKiS7_S7_Pfiiiiiiiiiiiiii15HIP_vector_typeIjLj3EESA_
; %bb.0:
	s_add_u32 s8, s0, 0x80
	s_addc_u32 s9, s1, 0
	s_getpc_b64 s[0:1]
	s_add_u32 s0, s0, __FUNCTION__._ZL13mul_mat_f_idsIfLi32ELi14ELi1EEvPKT_PKfPKiS6_S6_Pfiiiiiiiiiiiiii15HIP_vector_typeIjLj3EES9_@rel32@lo+4
	s_addc_u32 s1, s1, __FUNCTION__._ZL13mul_mat_f_idsIfLi32ELi14ELi1EEvPKT_PKfPKiS6_S6_Pfiiiiiiiiiiiiii15HIP_vector_typeIjLj3EES9_@rel32@hi+12
	v_mov_b32_e32 v0, 0x13b
	v_mov_b32_e32 v1, s0
	v_mov_b32_e32 v2, s1
	s_mov_b32 s32, 0
	s_getpc_b64 s[2:3]
	s_add_u32 s2, s2, _ZL14no_device_codePKciS0_iS0_@rel32@lo+4
	s_addc_u32 s3, s3, _ZL14no_device_codePKciS0_iS0_@rel32@hi+12
	s_swappc_b64 s[30:31], s[2:3]
	.section	.rodata,"a",@progbits
	.p2align	6, 0x0
	.amdhsa_kernel _ZL13mul_mat_f_idsI7__half2Li32ELi14ELi7EEvPKT_PKfPKiS7_S7_Pfiiiiiiiiiiiiii15HIP_vector_typeIjLj3EESA_
		.amdhsa_group_segment_fixed_size 0
		.amdhsa_private_segment_fixed_size 16
		.amdhsa_kernarg_size 384
		.amdhsa_user_sgpr_count 2
		.amdhsa_user_sgpr_dispatch_ptr 0
		.amdhsa_user_sgpr_queue_ptr 0
		.amdhsa_user_sgpr_kernarg_segment_ptr 1
		.amdhsa_user_sgpr_dispatch_id 0
		.amdhsa_user_sgpr_kernarg_preload_length 0
		.amdhsa_user_sgpr_kernarg_preload_offset 0
		.amdhsa_user_sgpr_private_segment_size 0
		.amdhsa_uses_dynamic_stack 0
		.amdhsa_enable_private_segment 1
		.amdhsa_system_sgpr_workgroup_id_x 1
		.amdhsa_system_sgpr_workgroup_id_y 0
		.amdhsa_system_sgpr_workgroup_id_z 0
		.amdhsa_system_sgpr_workgroup_info 0
		.amdhsa_system_vgpr_workitem_id 0
		.amdhsa_next_free_vgpr 41
		.amdhsa_next_free_sgpr 34
		.amdhsa_accum_offset 44
		.amdhsa_reserve_vcc 1
		.amdhsa_float_round_mode_32 0
		.amdhsa_float_round_mode_16_64 0
		.amdhsa_float_denorm_mode_32 3
		.amdhsa_float_denorm_mode_16_64 3
		.amdhsa_dx10_clamp 1
		.amdhsa_ieee_mode 1
		.amdhsa_fp16_overflow 0
		.amdhsa_tg_split 0
		.amdhsa_exception_fp_ieee_invalid_op 0
		.amdhsa_exception_fp_denorm_src 0
		.amdhsa_exception_fp_ieee_div_zero 0
		.amdhsa_exception_fp_ieee_overflow 0
		.amdhsa_exception_fp_ieee_underflow 0
		.amdhsa_exception_fp_ieee_inexact 0
		.amdhsa_exception_int_div_zero 0
	.end_amdhsa_kernel
	.section	.text._ZL13mul_mat_f_idsI7__half2Li32ELi14ELi7EEvPKT_PKfPKiS7_S7_Pfiiiiiiiiiiiiii15HIP_vector_typeIjLj3EESA_,"axG",@progbits,_ZL13mul_mat_f_idsI7__half2Li32ELi14ELi7EEvPKT_PKfPKiS7_S7_Pfiiiiiiiiiiiiii15HIP_vector_typeIjLj3EESA_,comdat
.Lfunc_end45:
	.size	_ZL13mul_mat_f_idsI7__half2Li32ELi14ELi7EEvPKT_PKfPKiS7_S7_Pfiiiiiiiiiiiiii15HIP_vector_typeIjLj3EESA_, .Lfunc_end45-_ZL13mul_mat_f_idsI7__half2Li32ELi14ELi7EEvPKT_PKfPKiS7_S7_Pfiiiiiiiiiiiiii15HIP_vector_typeIjLj3EESA_
                                        ; -- End function
	.section	.AMDGPU.csdata,"",@progbits
; Kernel info:
; codeLenInByte = 76
; NumSgprs: 40
; NumVgprs: 41
; NumAgprs: 0
; TotalNumVgprs: 41
; ScratchSize: 16
; MemoryBound: 0
; FloatMode: 240
; IeeeMode: 1
; LDSByteSize: 0 bytes/workgroup (compile time only)
; SGPRBlocks: 4
; VGPRBlocks: 5
; NumSGPRsForWavesPerEU: 40
; NumVGPRsForWavesPerEU: 41
; AccumOffset: 44
; Occupancy: 7
; WaveLimiterHint : 1
; COMPUTE_PGM_RSRC2:SCRATCH_EN: 1
; COMPUTE_PGM_RSRC2:USER_SGPR: 2
; COMPUTE_PGM_RSRC2:TRAP_HANDLER: 0
; COMPUTE_PGM_RSRC2:TGID_X_EN: 1
; COMPUTE_PGM_RSRC2:TGID_Y_EN: 0
; COMPUTE_PGM_RSRC2:TGID_Z_EN: 0
; COMPUTE_PGM_RSRC2:TIDIG_COMP_CNT: 0
; COMPUTE_PGM_RSRC3_GFX90A:ACCUM_OFFSET: 10
; COMPUTE_PGM_RSRC3_GFX90A:TG_SPLIT: 0
	.section	.text._ZL9mul_mat_fI7__half2Li32ELi14ELi7ELb1EEvPKT_PKfPKiPfiiiiiiiiiiiiiiii,"axG",@progbits,_ZL9mul_mat_fI7__half2Li32ELi14ELi7ELb1EEvPKT_PKfPKiPfiiiiiiiiiiiiiiii,comdat
	.globl	_ZL9mul_mat_fI7__half2Li32ELi14ELi7ELb1EEvPKT_PKfPKiPfiiiiiiiiiiiiiiii ; -- Begin function _ZL9mul_mat_fI7__half2Li32ELi14ELi7ELb1EEvPKT_PKfPKiPfiiiiiiiiiiiiiiii
	.p2align	8
	.type	_ZL9mul_mat_fI7__half2Li32ELi14ELi7ELb1EEvPKT_PKfPKiPfiiiiiiiiiiiiiiii,@function
_ZL9mul_mat_fI7__half2Li32ELi14ELi7ELb1EEvPKT_PKfPKiPfiiiiiiiiiiiiiiii: ; @_ZL9mul_mat_fI7__half2Li32ELi14ELi7ELb1EEvPKT_PKfPKiPfiiiiiiiiiiiiiiii
; %bb.0:
	s_add_u32 s8, s0, 0x60
	s_addc_u32 s9, s1, 0
	s_getpc_b64 s[0:1]
	s_add_u32 s0, s0, __FUNCTION__._ZL9mul_mat_fIfLi32ELi14ELi1ELb1EEvPKT_PKfPKiPfiiiiiiiiiiiiiiii@rel32@lo+4
	s_addc_u32 s1, s1, __FUNCTION__._ZL9mul_mat_fIfLi32ELi14ELi1ELb1EEvPKT_PKfPKiPfiiiiiiiiiiiiiiii@rel32@hi+12
	v_mov_b32_e32 v0, 64
	v_mov_b32_e32 v1, s0
	;; [unrolled: 1-line block ×3, first 2 shown]
	s_mov_b32 s32, 0
	s_getpc_b64 s[2:3]
	s_add_u32 s2, s2, _ZL14no_device_codePKciS0_iS0_@rel32@lo+4
	s_addc_u32 s3, s3, _ZL14no_device_codePKciS0_iS0_@rel32@hi+12
	s_swappc_b64 s[30:31], s[2:3]
	.section	.rodata,"a",@progbits
	.p2align	6, 0x0
	.amdhsa_kernel _ZL9mul_mat_fI7__half2Li32ELi14ELi7ELb1EEvPKT_PKfPKiPfiiiiiiiiiiiiiiii
		.amdhsa_group_segment_fixed_size 0
		.amdhsa_private_segment_fixed_size 16
		.amdhsa_kernarg_size 352
		.amdhsa_user_sgpr_count 2
		.amdhsa_user_sgpr_dispatch_ptr 0
		.amdhsa_user_sgpr_queue_ptr 0
		.amdhsa_user_sgpr_kernarg_segment_ptr 1
		.amdhsa_user_sgpr_dispatch_id 0
		.amdhsa_user_sgpr_kernarg_preload_length 0
		.amdhsa_user_sgpr_kernarg_preload_offset 0
		.amdhsa_user_sgpr_private_segment_size 0
		.amdhsa_uses_dynamic_stack 0
		.amdhsa_enable_private_segment 1
		.amdhsa_system_sgpr_workgroup_id_x 1
		.amdhsa_system_sgpr_workgroup_id_y 0
		.amdhsa_system_sgpr_workgroup_id_z 0
		.amdhsa_system_sgpr_workgroup_info 0
		.amdhsa_system_vgpr_workitem_id 0
		.amdhsa_next_free_vgpr 41
		.amdhsa_next_free_sgpr 34
		.amdhsa_accum_offset 44
		.amdhsa_reserve_vcc 1
		.amdhsa_float_round_mode_32 0
		.amdhsa_float_round_mode_16_64 0
		.amdhsa_float_denorm_mode_32 3
		.amdhsa_float_denorm_mode_16_64 3
		.amdhsa_dx10_clamp 1
		.amdhsa_ieee_mode 1
		.amdhsa_fp16_overflow 0
		.amdhsa_tg_split 0
		.amdhsa_exception_fp_ieee_invalid_op 0
		.amdhsa_exception_fp_denorm_src 0
		.amdhsa_exception_fp_ieee_div_zero 0
		.amdhsa_exception_fp_ieee_overflow 0
		.amdhsa_exception_fp_ieee_underflow 0
		.amdhsa_exception_fp_ieee_inexact 0
		.amdhsa_exception_int_div_zero 0
	.end_amdhsa_kernel
	.section	.text._ZL9mul_mat_fI7__half2Li32ELi14ELi7ELb1EEvPKT_PKfPKiPfiiiiiiiiiiiiiiii,"axG",@progbits,_ZL9mul_mat_fI7__half2Li32ELi14ELi7ELb1EEvPKT_PKfPKiPfiiiiiiiiiiiiiiii,comdat
.Lfunc_end46:
	.size	_ZL9mul_mat_fI7__half2Li32ELi14ELi7ELb1EEvPKT_PKfPKiPfiiiiiiiiiiiiiiii, .Lfunc_end46-_ZL9mul_mat_fI7__half2Li32ELi14ELi7ELb1EEvPKT_PKfPKiPfiiiiiiiiiiiiiiii
                                        ; -- End function
	.section	.AMDGPU.csdata,"",@progbits
; Kernel info:
; codeLenInByte = 72
; NumSgprs: 40
; NumVgprs: 41
; NumAgprs: 0
; TotalNumVgprs: 41
; ScratchSize: 16
; MemoryBound: 0
; FloatMode: 240
; IeeeMode: 1
; LDSByteSize: 0 bytes/workgroup (compile time only)
; SGPRBlocks: 4
; VGPRBlocks: 5
; NumSGPRsForWavesPerEU: 40
; NumVGPRsForWavesPerEU: 41
; AccumOffset: 44
; Occupancy: 7
; WaveLimiterHint : 1
; COMPUTE_PGM_RSRC2:SCRATCH_EN: 1
; COMPUTE_PGM_RSRC2:USER_SGPR: 2
; COMPUTE_PGM_RSRC2:TRAP_HANDLER: 0
; COMPUTE_PGM_RSRC2:TGID_X_EN: 1
; COMPUTE_PGM_RSRC2:TGID_Y_EN: 0
; COMPUTE_PGM_RSRC2:TGID_Z_EN: 0
; COMPUTE_PGM_RSRC2:TIDIG_COMP_CNT: 0
; COMPUTE_PGM_RSRC3_GFX90A:ACCUM_OFFSET: 10
; COMPUTE_PGM_RSRC3_GFX90A:TG_SPLIT: 0
	.section	.text._ZL9mul_mat_fI7__half2Li32ELi14ELi7ELb0EEvPKT_PKfPKiPfiiiiiiiiiiiiiiii,"axG",@progbits,_ZL9mul_mat_fI7__half2Li32ELi14ELi7ELb0EEvPKT_PKfPKiPfiiiiiiiiiiiiiiii,comdat
	.globl	_ZL9mul_mat_fI7__half2Li32ELi14ELi7ELb0EEvPKT_PKfPKiPfiiiiiiiiiiiiiiii ; -- Begin function _ZL9mul_mat_fI7__half2Li32ELi14ELi7ELb0EEvPKT_PKfPKiPfiiiiiiiiiiiiiiii
	.p2align	8
	.type	_ZL9mul_mat_fI7__half2Li32ELi14ELi7ELb0EEvPKT_PKfPKiPfiiiiiiiiiiiiiiii,@function
_ZL9mul_mat_fI7__half2Li32ELi14ELi7ELb0EEvPKT_PKfPKiPfiiiiiiiiiiiiiiii: ; @_ZL9mul_mat_fI7__half2Li32ELi14ELi7ELb0EEvPKT_PKfPKiPfiiiiiiiiiiiiiiii
; %bb.0:
	s_add_u32 s8, s0, 0x60
	s_addc_u32 s9, s1, 0
	s_getpc_b64 s[0:1]
	s_add_u32 s0, s0, __FUNCTION__._ZL9mul_mat_fIfLi32ELi14ELi1ELb1EEvPKT_PKfPKiPfiiiiiiiiiiiiiiii@rel32@lo+4
	s_addc_u32 s1, s1, __FUNCTION__._ZL9mul_mat_fIfLi32ELi14ELi1ELb1EEvPKT_PKfPKiPfiiiiiiiiiiiiiiii@rel32@hi+12
	v_mov_b32_e32 v0, 64
	v_mov_b32_e32 v1, s0
	;; [unrolled: 1-line block ×3, first 2 shown]
	s_mov_b32 s32, 0
	s_getpc_b64 s[2:3]
	s_add_u32 s2, s2, _ZL14no_device_codePKciS0_iS0_@rel32@lo+4
	s_addc_u32 s3, s3, _ZL14no_device_codePKciS0_iS0_@rel32@hi+12
	s_swappc_b64 s[30:31], s[2:3]
	.section	.rodata,"a",@progbits
	.p2align	6, 0x0
	.amdhsa_kernel _ZL9mul_mat_fI7__half2Li32ELi14ELi7ELb0EEvPKT_PKfPKiPfiiiiiiiiiiiiiiii
		.amdhsa_group_segment_fixed_size 0
		.amdhsa_private_segment_fixed_size 16
		.amdhsa_kernarg_size 352
		.amdhsa_user_sgpr_count 2
		.amdhsa_user_sgpr_dispatch_ptr 0
		.amdhsa_user_sgpr_queue_ptr 0
		.amdhsa_user_sgpr_kernarg_segment_ptr 1
		.amdhsa_user_sgpr_dispatch_id 0
		.amdhsa_user_sgpr_kernarg_preload_length 0
		.amdhsa_user_sgpr_kernarg_preload_offset 0
		.amdhsa_user_sgpr_private_segment_size 0
		.amdhsa_uses_dynamic_stack 0
		.amdhsa_enable_private_segment 1
		.amdhsa_system_sgpr_workgroup_id_x 1
		.amdhsa_system_sgpr_workgroup_id_y 0
		.amdhsa_system_sgpr_workgroup_id_z 0
		.amdhsa_system_sgpr_workgroup_info 0
		.amdhsa_system_vgpr_workitem_id 0
		.amdhsa_next_free_vgpr 41
		.amdhsa_next_free_sgpr 34
		.amdhsa_accum_offset 44
		.amdhsa_reserve_vcc 1
		.amdhsa_float_round_mode_32 0
		.amdhsa_float_round_mode_16_64 0
		.amdhsa_float_denorm_mode_32 3
		.amdhsa_float_denorm_mode_16_64 3
		.amdhsa_dx10_clamp 1
		.amdhsa_ieee_mode 1
		.amdhsa_fp16_overflow 0
		.amdhsa_tg_split 0
		.amdhsa_exception_fp_ieee_invalid_op 0
		.amdhsa_exception_fp_denorm_src 0
		.amdhsa_exception_fp_ieee_div_zero 0
		.amdhsa_exception_fp_ieee_overflow 0
		.amdhsa_exception_fp_ieee_underflow 0
		.amdhsa_exception_fp_ieee_inexact 0
		.amdhsa_exception_int_div_zero 0
	.end_amdhsa_kernel
	.section	.text._ZL9mul_mat_fI7__half2Li32ELi14ELi7ELb0EEvPKT_PKfPKiPfiiiiiiiiiiiiiiii,"axG",@progbits,_ZL9mul_mat_fI7__half2Li32ELi14ELi7ELb0EEvPKT_PKfPKiPfiiiiiiiiiiiiiiii,comdat
.Lfunc_end47:
	.size	_ZL9mul_mat_fI7__half2Li32ELi14ELi7ELb0EEvPKT_PKfPKiPfiiiiiiiiiiiiiiii, .Lfunc_end47-_ZL9mul_mat_fI7__half2Li32ELi14ELi7ELb0EEvPKT_PKfPKiPfiiiiiiiiiiiiiiii
                                        ; -- End function
	.section	.AMDGPU.csdata,"",@progbits
; Kernel info:
; codeLenInByte = 72
; NumSgprs: 40
; NumVgprs: 41
; NumAgprs: 0
; TotalNumVgprs: 41
; ScratchSize: 16
; MemoryBound: 0
; FloatMode: 240
; IeeeMode: 1
; LDSByteSize: 0 bytes/workgroup (compile time only)
; SGPRBlocks: 4
; VGPRBlocks: 5
; NumSGPRsForWavesPerEU: 40
; NumVGPRsForWavesPerEU: 41
; AccumOffset: 44
; Occupancy: 7
; WaveLimiterHint : 1
; COMPUTE_PGM_RSRC2:SCRATCH_EN: 1
; COMPUTE_PGM_RSRC2:USER_SGPR: 2
; COMPUTE_PGM_RSRC2:TRAP_HANDLER: 0
; COMPUTE_PGM_RSRC2:TGID_X_EN: 1
; COMPUTE_PGM_RSRC2:TGID_Y_EN: 0
; COMPUTE_PGM_RSRC2:TGID_Z_EN: 0
; COMPUTE_PGM_RSRC2:TIDIG_COMP_CNT: 0
; COMPUTE_PGM_RSRC3_GFX90A:ACCUM_OFFSET: 10
; COMPUTE_PGM_RSRC3_GFX90A:TG_SPLIT: 0
	.section	.text._ZL13mul_mat_f_idsI7__half2Li32ELi14ELi8EEvPKT_PKfPKiS7_S7_Pfiiiiiiiiiiiiii15HIP_vector_typeIjLj3EESA_,"axG",@progbits,_ZL13mul_mat_f_idsI7__half2Li32ELi14ELi8EEvPKT_PKfPKiS7_S7_Pfiiiiiiiiiiiiii15HIP_vector_typeIjLj3EESA_,comdat
	.globl	_ZL13mul_mat_f_idsI7__half2Li32ELi14ELi8EEvPKT_PKfPKiS7_S7_Pfiiiiiiiiiiiiii15HIP_vector_typeIjLj3EESA_ ; -- Begin function _ZL13mul_mat_f_idsI7__half2Li32ELi14ELi8EEvPKT_PKfPKiS7_S7_Pfiiiiiiiiiiiiii15HIP_vector_typeIjLj3EESA_
	.p2align	8
	.type	_ZL13mul_mat_f_idsI7__half2Li32ELi14ELi8EEvPKT_PKfPKiS7_S7_Pfiiiiiiiiiiiiii15HIP_vector_typeIjLj3EESA_,@function
_ZL13mul_mat_f_idsI7__half2Li32ELi14ELi8EEvPKT_PKfPKiS7_S7_Pfiiiiiiiiiiiiii15HIP_vector_typeIjLj3EESA_: ; @_ZL13mul_mat_f_idsI7__half2Li32ELi14ELi8EEvPKT_PKfPKiS7_S7_Pfiiiiiiiiiiiiii15HIP_vector_typeIjLj3EESA_
; %bb.0:
	s_add_u32 s8, s0, 0x80
	s_addc_u32 s9, s1, 0
	s_getpc_b64 s[0:1]
	s_add_u32 s0, s0, __FUNCTION__._ZL13mul_mat_f_idsIfLi32ELi14ELi1EEvPKT_PKfPKiS6_S6_Pfiiiiiiiiiiiiii15HIP_vector_typeIjLj3EES9_@rel32@lo+4
	s_addc_u32 s1, s1, __FUNCTION__._ZL13mul_mat_f_idsIfLi32ELi14ELi1EEvPKT_PKfPKiS6_S6_Pfiiiiiiiiiiiiii15HIP_vector_typeIjLj3EES9_@rel32@hi+12
	v_mov_b32_e32 v0, 0x13b
	v_mov_b32_e32 v1, s0
	;; [unrolled: 1-line block ×3, first 2 shown]
	s_mov_b32 s32, 0
	s_getpc_b64 s[2:3]
	s_add_u32 s2, s2, _ZL14no_device_codePKciS0_iS0_@rel32@lo+4
	s_addc_u32 s3, s3, _ZL14no_device_codePKciS0_iS0_@rel32@hi+12
	s_swappc_b64 s[30:31], s[2:3]
	.section	.rodata,"a",@progbits
	.p2align	6, 0x0
	.amdhsa_kernel _ZL13mul_mat_f_idsI7__half2Li32ELi14ELi8EEvPKT_PKfPKiS7_S7_Pfiiiiiiiiiiiiii15HIP_vector_typeIjLj3EESA_
		.amdhsa_group_segment_fixed_size 0
		.amdhsa_private_segment_fixed_size 16
		.amdhsa_kernarg_size 384
		.amdhsa_user_sgpr_count 2
		.amdhsa_user_sgpr_dispatch_ptr 0
		.amdhsa_user_sgpr_queue_ptr 0
		.amdhsa_user_sgpr_kernarg_segment_ptr 1
		.amdhsa_user_sgpr_dispatch_id 0
		.amdhsa_user_sgpr_kernarg_preload_length 0
		.amdhsa_user_sgpr_kernarg_preload_offset 0
		.amdhsa_user_sgpr_private_segment_size 0
		.amdhsa_uses_dynamic_stack 0
		.amdhsa_enable_private_segment 1
		.amdhsa_system_sgpr_workgroup_id_x 1
		.amdhsa_system_sgpr_workgroup_id_y 0
		.amdhsa_system_sgpr_workgroup_id_z 0
		.amdhsa_system_sgpr_workgroup_info 0
		.amdhsa_system_vgpr_workitem_id 0
		.amdhsa_next_free_vgpr 41
		.amdhsa_next_free_sgpr 34
		.amdhsa_accum_offset 44
		.amdhsa_reserve_vcc 1
		.amdhsa_float_round_mode_32 0
		.amdhsa_float_round_mode_16_64 0
		.amdhsa_float_denorm_mode_32 3
		.amdhsa_float_denorm_mode_16_64 3
		.amdhsa_dx10_clamp 1
		.amdhsa_ieee_mode 1
		.amdhsa_fp16_overflow 0
		.amdhsa_tg_split 0
		.amdhsa_exception_fp_ieee_invalid_op 0
		.amdhsa_exception_fp_denorm_src 0
		.amdhsa_exception_fp_ieee_div_zero 0
		.amdhsa_exception_fp_ieee_overflow 0
		.amdhsa_exception_fp_ieee_underflow 0
		.amdhsa_exception_fp_ieee_inexact 0
		.amdhsa_exception_int_div_zero 0
	.end_amdhsa_kernel
	.section	.text._ZL13mul_mat_f_idsI7__half2Li32ELi14ELi8EEvPKT_PKfPKiS7_S7_Pfiiiiiiiiiiiiii15HIP_vector_typeIjLj3EESA_,"axG",@progbits,_ZL13mul_mat_f_idsI7__half2Li32ELi14ELi8EEvPKT_PKfPKiS7_S7_Pfiiiiiiiiiiiiii15HIP_vector_typeIjLj3EESA_,comdat
.Lfunc_end48:
	.size	_ZL13mul_mat_f_idsI7__half2Li32ELi14ELi8EEvPKT_PKfPKiS7_S7_Pfiiiiiiiiiiiiii15HIP_vector_typeIjLj3EESA_, .Lfunc_end48-_ZL13mul_mat_f_idsI7__half2Li32ELi14ELi8EEvPKT_PKfPKiS7_S7_Pfiiiiiiiiiiiiii15HIP_vector_typeIjLj3EESA_
                                        ; -- End function
	.section	.AMDGPU.csdata,"",@progbits
; Kernel info:
; codeLenInByte = 76
; NumSgprs: 40
; NumVgprs: 41
; NumAgprs: 0
; TotalNumVgprs: 41
; ScratchSize: 16
; MemoryBound: 0
; FloatMode: 240
; IeeeMode: 1
; LDSByteSize: 0 bytes/workgroup (compile time only)
; SGPRBlocks: 4
; VGPRBlocks: 5
; NumSGPRsForWavesPerEU: 40
; NumVGPRsForWavesPerEU: 41
; AccumOffset: 44
; Occupancy: 8
; WaveLimiterHint : 1
; COMPUTE_PGM_RSRC2:SCRATCH_EN: 1
; COMPUTE_PGM_RSRC2:USER_SGPR: 2
; COMPUTE_PGM_RSRC2:TRAP_HANDLER: 0
; COMPUTE_PGM_RSRC2:TGID_X_EN: 1
; COMPUTE_PGM_RSRC2:TGID_Y_EN: 0
; COMPUTE_PGM_RSRC2:TGID_Z_EN: 0
; COMPUTE_PGM_RSRC2:TIDIG_COMP_CNT: 0
; COMPUTE_PGM_RSRC3_GFX90A:ACCUM_OFFSET: 10
; COMPUTE_PGM_RSRC3_GFX90A:TG_SPLIT: 0
	.section	.text._ZL9mul_mat_fI7__half2Li32ELi14ELi8ELb1EEvPKT_PKfPKiPfiiiiiiiiiiiiiiii,"axG",@progbits,_ZL9mul_mat_fI7__half2Li32ELi14ELi8ELb1EEvPKT_PKfPKiPfiiiiiiiiiiiiiiii,comdat
	.globl	_ZL9mul_mat_fI7__half2Li32ELi14ELi8ELb1EEvPKT_PKfPKiPfiiiiiiiiiiiiiiii ; -- Begin function _ZL9mul_mat_fI7__half2Li32ELi14ELi8ELb1EEvPKT_PKfPKiPfiiiiiiiiiiiiiiii
	.p2align	8
	.type	_ZL9mul_mat_fI7__half2Li32ELi14ELi8ELb1EEvPKT_PKfPKiPfiiiiiiiiiiiiiiii,@function
_ZL9mul_mat_fI7__half2Li32ELi14ELi8ELb1EEvPKT_PKfPKiPfiiiiiiiiiiiiiiii: ; @_ZL9mul_mat_fI7__half2Li32ELi14ELi8ELb1EEvPKT_PKfPKiPfiiiiiiiiiiiiiiii
; %bb.0:
	s_add_u32 s8, s0, 0x60
	s_addc_u32 s9, s1, 0
	s_getpc_b64 s[0:1]
	s_add_u32 s0, s0, __FUNCTION__._ZL9mul_mat_fIfLi32ELi14ELi1ELb1EEvPKT_PKfPKiPfiiiiiiiiiiiiiiii@rel32@lo+4
	s_addc_u32 s1, s1, __FUNCTION__._ZL9mul_mat_fIfLi32ELi14ELi1ELb1EEvPKT_PKfPKiPfiiiiiiiiiiiiiiii@rel32@hi+12
	v_mov_b32_e32 v0, 64
	v_mov_b32_e32 v1, s0
	;; [unrolled: 1-line block ×3, first 2 shown]
	s_mov_b32 s32, 0
	s_getpc_b64 s[2:3]
	s_add_u32 s2, s2, _ZL14no_device_codePKciS0_iS0_@rel32@lo+4
	s_addc_u32 s3, s3, _ZL14no_device_codePKciS0_iS0_@rel32@hi+12
	s_swappc_b64 s[30:31], s[2:3]
	.section	.rodata,"a",@progbits
	.p2align	6, 0x0
	.amdhsa_kernel _ZL9mul_mat_fI7__half2Li32ELi14ELi8ELb1EEvPKT_PKfPKiPfiiiiiiiiiiiiiiii
		.amdhsa_group_segment_fixed_size 0
		.amdhsa_private_segment_fixed_size 16
		.amdhsa_kernarg_size 352
		.amdhsa_user_sgpr_count 2
		.amdhsa_user_sgpr_dispatch_ptr 0
		.amdhsa_user_sgpr_queue_ptr 0
		.amdhsa_user_sgpr_kernarg_segment_ptr 1
		.amdhsa_user_sgpr_dispatch_id 0
		.amdhsa_user_sgpr_kernarg_preload_length 0
		.amdhsa_user_sgpr_kernarg_preload_offset 0
		.amdhsa_user_sgpr_private_segment_size 0
		.amdhsa_uses_dynamic_stack 0
		.amdhsa_enable_private_segment 1
		.amdhsa_system_sgpr_workgroup_id_x 1
		.amdhsa_system_sgpr_workgroup_id_y 0
		.amdhsa_system_sgpr_workgroup_id_z 0
		.amdhsa_system_sgpr_workgroup_info 0
		.amdhsa_system_vgpr_workitem_id 0
		.amdhsa_next_free_vgpr 41
		.amdhsa_next_free_sgpr 34
		.amdhsa_accum_offset 44
		.amdhsa_reserve_vcc 1
		.amdhsa_float_round_mode_32 0
		.amdhsa_float_round_mode_16_64 0
		.amdhsa_float_denorm_mode_32 3
		.amdhsa_float_denorm_mode_16_64 3
		.amdhsa_dx10_clamp 1
		.amdhsa_ieee_mode 1
		.amdhsa_fp16_overflow 0
		.amdhsa_tg_split 0
		.amdhsa_exception_fp_ieee_invalid_op 0
		.amdhsa_exception_fp_denorm_src 0
		.amdhsa_exception_fp_ieee_div_zero 0
		.amdhsa_exception_fp_ieee_overflow 0
		.amdhsa_exception_fp_ieee_underflow 0
		.amdhsa_exception_fp_ieee_inexact 0
		.amdhsa_exception_int_div_zero 0
	.end_amdhsa_kernel
	.section	.text._ZL9mul_mat_fI7__half2Li32ELi14ELi8ELb1EEvPKT_PKfPKiPfiiiiiiiiiiiiiiii,"axG",@progbits,_ZL9mul_mat_fI7__half2Li32ELi14ELi8ELb1EEvPKT_PKfPKiPfiiiiiiiiiiiiiiii,comdat
.Lfunc_end49:
	.size	_ZL9mul_mat_fI7__half2Li32ELi14ELi8ELb1EEvPKT_PKfPKiPfiiiiiiiiiiiiiiii, .Lfunc_end49-_ZL9mul_mat_fI7__half2Li32ELi14ELi8ELb1EEvPKT_PKfPKiPfiiiiiiiiiiiiiiii
                                        ; -- End function
	.section	.AMDGPU.csdata,"",@progbits
; Kernel info:
; codeLenInByte = 72
; NumSgprs: 40
; NumVgprs: 41
; NumAgprs: 0
; TotalNumVgprs: 41
; ScratchSize: 16
; MemoryBound: 0
; FloatMode: 240
; IeeeMode: 1
; LDSByteSize: 0 bytes/workgroup (compile time only)
; SGPRBlocks: 4
; VGPRBlocks: 5
; NumSGPRsForWavesPerEU: 40
; NumVGPRsForWavesPerEU: 41
; AccumOffset: 44
; Occupancy: 8
; WaveLimiterHint : 1
; COMPUTE_PGM_RSRC2:SCRATCH_EN: 1
; COMPUTE_PGM_RSRC2:USER_SGPR: 2
; COMPUTE_PGM_RSRC2:TRAP_HANDLER: 0
; COMPUTE_PGM_RSRC2:TGID_X_EN: 1
; COMPUTE_PGM_RSRC2:TGID_Y_EN: 0
; COMPUTE_PGM_RSRC2:TGID_Z_EN: 0
; COMPUTE_PGM_RSRC2:TIDIG_COMP_CNT: 0
; COMPUTE_PGM_RSRC3_GFX90A:ACCUM_OFFSET: 10
; COMPUTE_PGM_RSRC3_GFX90A:TG_SPLIT: 0
	.section	.text._ZL9mul_mat_fI7__half2Li32ELi14ELi8ELb0EEvPKT_PKfPKiPfiiiiiiiiiiiiiiii,"axG",@progbits,_ZL9mul_mat_fI7__half2Li32ELi14ELi8ELb0EEvPKT_PKfPKiPfiiiiiiiiiiiiiiii,comdat
	.globl	_ZL9mul_mat_fI7__half2Li32ELi14ELi8ELb0EEvPKT_PKfPKiPfiiiiiiiiiiiiiiii ; -- Begin function _ZL9mul_mat_fI7__half2Li32ELi14ELi8ELb0EEvPKT_PKfPKiPfiiiiiiiiiiiiiiii
	.p2align	8
	.type	_ZL9mul_mat_fI7__half2Li32ELi14ELi8ELb0EEvPKT_PKfPKiPfiiiiiiiiiiiiiiii,@function
_ZL9mul_mat_fI7__half2Li32ELi14ELi8ELb0EEvPKT_PKfPKiPfiiiiiiiiiiiiiiii: ; @_ZL9mul_mat_fI7__half2Li32ELi14ELi8ELb0EEvPKT_PKfPKiPfiiiiiiiiiiiiiiii
; %bb.0:
	s_add_u32 s8, s0, 0x60
	s_addc_u32 s9, s1, 0
	s_getpc_b64 s[0:1]
	s_add_u32 s0, s0, __FUNCTION__._ZL9mul_mat_fIfLi32ELi14ELi1ELb1EEvPKT_PKfPKiPfiiiiiiiiiiiiiiii@rel32@lo+4
	s_addc_u32 s1, s1, __FUNCTION__._ZL9mul_mat_fIfLi32ELi14ELi1ELb1EEvPKT_PKfPKiPfiiiiiiiiiiiiiiii@rel32@hi+12
	v_mov_b32_e32 v0, 64
	v_mov_b32_e32 v1, s0
	;; [unrolled: 1-line block ×3, first 2 shown]
	s_mov_b32 s32, 0
	s_getpc_b64 s[2:3]
	s_add_u32 s2, s2, _ZL14no_device_codePKciS0_iS0_@rel32@lo+4
	s_addc_u32 s3, s3, _ZL14no_device_codePKciS0_iS0_@rel32@hi+12
	s_swappc_b64 s[30:31], s[2:3]
	.section	.rodata,"a",@progbits
	.p2align	6, 0x0
	.amdhsa_kernel _ZL9mul_mat_fI7__half2Li32ELi14ELi8ELb0EEvPKT_PKfPKiPfiiiiiiiiiiiiiiii
		.amdhsa_group_segment_fixed_size 0
		.amdhsa_private_segment_fixed_size 16
		.amdhsa_kernarg_size 352
		.amdhsa_user_sgpr_count 2
		.amdhsa_user_sgpr_dispatch_ptr 0
		.amdhsa_user_sgpr_queue_ptr 0
		.amdhsa_user_sgpr_kernarg_segment_ptr 1
		.amdhsa_user_sgpr_dispatch_id 0
		.amdhsa_user_sgpr_kernarg_preload_length 0
		.amdhsa_user_sgpr_kernarg_preload_offset 0
		.amdhsa_user_sgpr_private_segment_size 0
		.amdhsa_uses_dynamic_stack 0
		.amdhsa_enable_private_segment 1
		.amdhsa_system_sgpr_workgroup_id_x 1
		.amdhsa_system_sgpr_workgroup_id_y 0
		.amdhsa_system_sgpr_workgroup_id_z 0
		.amdhsa_system_sgpr_workgroup_info 0
		.amdhsa_system_vgpr_workitem_id 0
		.amdhsa_next_free_vgpr 41
		.amdhsa_next_free_sgpr 34
		.amdhsa_accum_offset 44
		.amdhsa_reserve_vcc 1
		.amdhsa_float_round_mode_32 0
		.amdhsa_float_round_mode_16_64 0
		.amdhsa_float_denorm_mode_32 3
		.amdhsa_float_denorm_mode_16_64 3
		.amdhsa_dx10_clamp 1
		.amdhsa_ieee_mode 1
		.amdhsa_fp16_overflow 0
		.amdhsa_tg_split 0
		.amdhsa_exception_fp_ieee_invalid_op 0
		.amdhsa_exception_fp_denorm_src 0
		.amdhsa_exception_fp_ieee_div_zero 0
		.amdhsa_exception_fp_ieee_overflow 0
		.amdhsa_exception_fp_ieee_underflow 0
		.amdhsa_exception_fp_ieee_inexact 0
		.amdhsa_exception_int_div_zero 0
	.end_amdhsa_kernel
	.section	.text._ZL9mul_mat_fI7__half2Li32ELi14ELi8ELb0EEvPKT_PKfPKiPfiiiiiiiiiiiiiiii,"axG",@progbits,_ZL9mul_mat_fI7__half2Li32ELi14ELi8ELb0EEvPKT_PKfPKiPfiiiiiiiiiiiiiiii,comdat
.Lfunc_end50:
	.size	_ZL9mul_mat_fI7__half2Li32ELi14ELi8ELb0EEvPKT_PKfPKiPfiiiiiiiiiiiiiiii, .Lfunc_end50-_ZL9mul_mat_fI7__half2Li32ELi14ELi8ELb0EEvPKT_PKfPKiPfiiiiiiiiiiiiiiii
                                        ; -- End function
	.section	.AMDGPU.csdata,"",@progbits
; Kernel info:
; codeLenInByte = 72
; NumSgprs: 40
; NumVgprs: 41
; NumAgprs: 0
; TotalNumVgprs: 41
; ScratchSize: 16
; MemoryBound: 0
; FloatMode: 240
; IeeeMode: 1
; LDSByteSize: 0 bytes/workgroup (compile time only)
; SGPRBlocks: 4
; VGPRBlocks: 5
; NumSGPRsForWavesPerEU: 40
; NumVGPRsForWavesPerEU: 41
; AccumOffset: 44
; Occupancy: 8
; WaveLimiterHint : 1
; COMPUTE_PGM_RSRC2:SCRATCH_EN: 1
; COMPUTE_PGM_RSRC2:USER_SGPR: 2
; COMPUTE_PGM_RSRC2:TRAP_HANDLER: 0
; COMPUTE_PGM_RSRC2:TGID_X_EN: 1
; COMPUTE_PGM_RSRC2:TGID_Y_EN: 0
; COMPUTE_PGM_RSRC2:TGID_Z_EN: 0
; COMPUTE_PGM_RSRC2:TIDIG_COMP_CNT: 0
; COMPUTE_PGM_RSRC3_GFX90A:ACCUM_OFFSET: 10
; COMPUTE_PGM_RSRC3_GFX90A:TG_SPLIT: 0
	.section	.text._ZL13mul_mat_f_idsI15__hip_bfloat162Li32ELi14ELi1EEvPKT_PKfPKiS7_S7_Pfiiiiiiiiiiiiii15HIP_vector_typeIjLj3EESA_,"axG",@progbits,_ZL13mul_mat_f_idsI15__hip_bfloat162Li32ELi14ELi1EEvPKT_PKfPKiS7_S7_Pfiiiiiiiiiiiiii15HIP_vector_typeIjLj3EESA_,comdat
	.globl	_ZL13mul_mat_f_idsI15__hip_bfloat162Li32ELi14ELi1EEvPKT_PKfPKiS7_S7_Pfiiiiiiiiiiiiii15HIP_vector_typeIjLj3EESA_ ; -- Begin function _ZL13mul_mat_f_idsI15__hip_bfloat162Li32ELi14ELi1EEvPKT_PKfPKiS7_S7_Pfiiiiiiiiiiiiii15HIP_vector_typeIjLj3EESA_
	.p2align	8
	.type	_ZL13mul_mat_f_idsI15__hip_bfloat162Li32ELi14ELi1EEvPKT_PKfPKiS7_S7_Pfiiiiiiiiiiiiii15HIP_vector_typeIjLj3EESA_,@function
_ZL13mul_mat_f_idsI15__hip_bfloat162Li32ELi14ELi1EEvPKT_PKfPKiS7_S7_Pfiiiiiiiiiiiiii15HIP_vector_typeIjLj3EESA_: ; @_ZL13mul_mat_f_idsI15__hip_bfloat162Li32ELi14ELi1EEvPKT_PKfPKiS7_S7_Pfiiiiiiiiiiiiii15HIP_vector_typeIjLj3EESA_
; %bb.0:
	s_add_u32 s8, s0, 0x80
	s_addc_u32 s9, s1, 0
	s_getpc_b64 s[0:1]
	s_add_u32 s0, s0, __FUNCTION__._ZL13mul_mat_f_idsIfLi32ELi14ELi1EEvPKT_PKfPKiS6_S6_Pfiiiiiiiiiiiiii15HIP_vector_typeIjLj3EES9_@rel32@lo+4
	s_addc_u32 s1, s1, __FUNCTION__._ZL13mul_mat_f_idsIfLi32ELi14ELi1EEvPKT_PKfPKiS6_S6_Pfiiiiiiiiiiiiii15HIP_vector_typeIjLj3EES9_@rel32@hi+12
	v_mov_b32_e32 v0, 0x13b
	v_mov_b32_e32 v1, s0
	;; [unrolled: 1-line block ×3, first 2 shown]
	s_mov_b32 s32, 0
	s_getpc_b64 s[2:3]
	s_add_u32 s2, s2, _ZL14no_device_codePKciS0_iS0_@rel32@lo+4
	s_addc_u32 s3, s3, _ZL14no_device_codePKciS0_iS0_@rel32@hi+12
	s_swappc_b64 s[30:31], s[2:3]
	.section	.rodata,"a",@progbits
	.p2align	6, 0x0
	.amdhsa_kernel _ZL13mul_mat_f_idsI15__hip_bfloat162Li32ELi14ELi1EEvPKT_PKfPKiS7_S7_Pfiiiiiiiiiiiiii15HIP_vector_typeIjLj3EESA_
		.amdhsa_group_segment_fixed_size 0
		.amdhsa_private_segment_fixed_size 16
		.amdhsa_kernarg_size 384
		.amdhsa_user_sgpr_count 2
		.amdhsa_user_sgpr_dispatch_ptr 0
		.amdhsa_user_sgpr_queue_ptr 0
		.amdhsa_user_sgpr_kernarg_segment_ptr 1
		.amdhsa_user_sgpr_dispatch_id 0
		.amdhsa_user_sgpr_kernarg_preload_length 0
		.amdhsa_user_sgpr_kernarg_preload_offset 0
		.amdhsa_user_sgpr_private_segment_size 0
		.amdhsa_uses_dynamic_stack 0
		.amdhsa_enable_private_segment 1
		.amdhsa_system_sgpr_workgroup_id_x 1
		.amdhsa_system_sgpr_workgroup_id_y 0
		.amdhsa_system_sgpr_workgroup_id_z 0
		.amdhsa_system_sgpr_workgroup_info 0
		.amdhsa_system_vgpr_workitem_id 0
		.amdhsa_next_free_vgpr 41
		.amdhsa_next_free_sgpr 34
		.amdhsa_accum_offset 44
		.amdhsa_reserve_vcc 1
		.amdhsa_float_round_mode_32 0
		.amdhsa_float_round_mode_16_64 0
		.amdhsa_float_denorm_mode_32 3
		.amdhsa_float_denorm_mode_16_64 3
		.amdhsa_dx10_clamp 1
		.amdhsa_ieee_mode 1
		.amdhsa_fp16_overflow 0
		.amdhsa_tg_split 0
		.amdhsa_exception_fp_ieee_invalid_op 0
		.amdhsa_exception_fp_denorm_src 0
		.amdhsa_exception_fp_ieee_div_zero 0
		.amdhsa_exception_fp_ieee_overflow 0
		.amdhsa_exception_fp_ieee_underflow 0
		.amdhsa_exception_fp_ieee_inexact 0
		.amdhsa_exception_int_div_zero 0
	.end_amdhsa_kernel
	.section	.text._ZL13mul_mat_f_idsI15__hip_bfloat162Li32ELi14ELi1EEvPKT_PKfPKiS7_S7_Pfiiiiiiiiiiiiii15HIP_vector_typeIjLj3EESA_,"axG",@progbits,_ZL13mul_mat_f_idsI15__hip_bfloat162Li32ELi14ELi1EEvPKT_PKfPKiS7_S7_Pfiiiiiiiiiiiiii15HIP_vector_typeIjLj3EESA_,comdat
.Lfunc_end51:
	.size	_ZL13mul_mat_f_idsI15__hip_bfloat162Li32ELi14ELi1EEvPKT_PKfPKiS7_S7_Pfiiiiiiiiiiiiii15HIP_vector_typeIjLj3EESA_, .Lfunc_end51-_ZL13mul_mat_f_idsI15__hip_bfloat162Li32ELi14ELi1EEvPKT_PKfPKiS7_S7_Pfiiiiiiiiiiiiii15HIP_vector_typeIjLj3EESA_
                                        ; -- End function
	.section	.AMDGPU.csdata,"",@progbits
; Kernel info:
; codeLenInByte = 76
; NumSgprs: 40
; NumVgprs: 41
; NumAgprs: 0
; TotalNumVgprs: 41
; ScratchSize: 16
; MemoryBound: 0
; FloatMode: 240
; IeeeMode: 1
; LDSByteSize: 0 bytes/workgroup (compile time only)
; SGPRBlocks: 4
; VGPRBlocks: 5
; NumSGPRsForWavesPerEU: 40
; NumVGPRsForWavesPerEU: 41
; AccumOffset: 44
; Occupancy: 8
; WaveLimiterHint : 1
; COMPUTE_PGM_RSRC2:SCRATCH_EN: 1
; COMPUTE_PGM_RSRC2:USER_SGPR: 2
; COMPUTE_PGM_RSRC2:TRAP_HANDLER: 0
; COMPUTE_PGM_RSRC2:TGID_X_EN: 1
; COMPUTE_PGM_RSRC2:TGID_Y_EN: 0
; COMPUTE_PGM_RSRC2:TGID_Z_EN: 0
; COMPUTE_PGM_RSRC2:TIDIG_COMP_CNT: 0
; COMPUTE_PGM_RSRC3_GFX90A:ACCUM_OFFSET: 10
; COMPUTE_PGM_RSRC3_GFX90A:TG_SPLIT: 0
	.section	.text._ZL9mul_mat_fI15__hip_bfloat162Li32ELi14ELi1ELb1EEvPKT_PKfPKiPfiiiiiiiiiiiiiiii,"axG",@progbits,_ZL9mul_mat_fI15__hip_bfloat162Li32ELi14ELi1ELb1EEvPKT_PKfPKiPfiiiiiiiiiiiiiiii,comdat
	.globl	_ZL9mul_mat_fI15__hip_bfloat162Li32ELi14ELi1ELb1EEvPKT_PKfPKiPfiiiiiiiiiiiiiiii ; -- Begin function _ZL9mul_mat_fI15__hip_bfloat162Li32ELi14ELi1ELb1EEvPKT_PKfPKiPfiiiiiiiiiiiiiiii
	.p2align	8
	.type	_ZL9mul_mat_fI15__hip_bfloat162Li32ELi14ELi1ELb1EEvPKT_PKfPKiPfiiiiiiiiiiiiiiii,@function
_ZL9mul_mat_fI15__hip_bfloat162Li32ELi14ELi1ELb1EEvPKT_PKfPKiPfiiiiiiiiiiiiiiii: ; @_ZL9mul_mat_fI15__hip_bfloat162Li32ELi14ELi1ELb1EEvPKT_PKfPKiPfiiiiiiiiiiiiiiii
; %bb.0:
	s_add_u32 s8, s0, 0x60
	s_addc_u32 s9, s1, 0
	s_getpc_b64 s[0:1]
	s_add_u32 s0, s0, __FUNCTION__._ZL9mul_mat_fIfLi32ELi14ELi1ELb1EEvPKT_PKfPKiPfiiiiiiiiiiiiiiii@rel32@lo+4
	s_addc_u32 s1, s1, __FUNCTION__._ZL9mul_mat_fIfLi32ELi14ELi1ELb1EEvPKT_PKfPKiPfiiiiiiiiiiiiiiii@rel32@hi+12
	v_mov_b32_e32 v0, 64
	v_mov_b32_e32 v1, s0
	;; [unrolled: 1-line block ×3, first 2 shown]
	s_mov_b32 s32, 0
	s_getpc_b64 s[2:3]
	s_add_u32 s2, s2, _ZL14no_device_codePKciS0_iS0_@rel32@lo+4
	s_addc_u32 s3, s3, _ZL14no_device_codePKciS0_iS0_@rel32@hi+12
	s_swappc_b64 s[30:31], s[2:3]
	.section	.rodata,"a",@progbits
	.p2align	6, 0x0
	.amdhsa_kernel _ZL9mul_mat_fI15__hip_bfloat162Li32ELi14ELi1ELb1EEvPKT_PKfPKiPfiiiiiiiiiiiiiiii
		.amdhsa_group_segment_fixed_size 0
		.amdhsa_private_segment_fixed_size 16
		.amdhsa_kernarg_size 352
		.amdhsa_user_sgpr_count 2
		.amdhsa_user_sgpr_dispatch_ptr 0
		.amdhsa_user_sgpr_queue_ptr 0
		.amdhsa_user_sgpr_kernarg_segment_ptr 1
		.amdhsa_user_sgpr_dispatch_id 0
		.amdhsa_user_sgpr_kernarg_preload_length 0
		.amdhsa_user_sgpr_kernarg_preload_offset 0
		.amdhsa_user_sgpr_private_segment_size 0
		.amdhsa_uses_dynamic_stack 0
		.amdhsa_enable_private_segment 1
		.amdhsa_system_sgpr_workgroup_id_x 1
		.amdhsa_system_sgpr_workgroup_id_y 0
		.amdhsa_system_sgpr_workgroup_id_z 0
		.amdhsa_system_sgpr_workgroup_info 0
		.amdhsa_system_vgpr_workitem_id 0
		.amdhsa_next_free_vgpr 41
		.amdhsa_next_free_sgpr 34
		.amdhsa_accum_offset 44
		.amdhsa_reserve_vcc 1
		.amdhsa_float_round_mode_32 0
		.amdhsa_float_round_mode_16_64 0
		.amdhsa_float_denorm_mode_32 3
		.amdhsa_float_denorm_mode_16_64 3
		.amdhsa_dx10_clamp 1
		.amdhsa_ieee_mode 1
		.amdhsa_fp16_overflow 0
		.amdhsa_tg_split 0
		.amdhsa_exception_fp_ieee_invalid_op 0
		.amdhsa_exception_fp_denorm_src 0
		.amdhsa_exception_fp_ieee_div_zero 0
		.amdhsa_exception_fp_ieee_overflow 0
		.amdhsa_exception_fp_ieee_underflow 0
		.amdhsa_exception_fp_ieee_inexact 0
		.amdhsa_exception_int_div_zero 0
	.end_amdhsa_kernel
	.section	.text._ZL9mul_mat_fI15__hip_bfloat162Li32ELi14ELi1ELb1EEvPKT_PKfPKiPfiiiiiiiiiiiiiiii,"axG",@progbits,_ZL9mul_mat_fI15__hip_bfloat162Li32ELi14ELi1ELb1EEvPKT_PKfPKiPfiiiiiiiiiiiiiiii,comdat
.Lfunc_end52:
	.size	_ZL9mul_mat_fI15__hip_bfloat162Li32ELi14ELi1ELb1EEvPKT_PKfPKiPfiiiiiiiiiiiiiiii, .Lfunc_end52-_ZL9mul_mat_fI15__hip_bfloat162Li32ELi14ELi1ELb1EEvPKT_PKfPKiPfiiiiiiiiiiiiiiii
                                        ; -- End function
	.section	.AMDGPU.csdata,"",@progbits
; Kernel info:
; codeLenInByte = 72
; NumSgprs: 40
; NumVgprs: 41
; NumAgprs: 0
; TotalNumVgprs: 41
; ScratchSize: 16
; MemoryBound: 0
; FloatMode: 240
; IeeeMode: 1
; LDSByteSize: 0 bytes/workgroup (compile time only)
; SGPRBlocks: 4
; VGPRBlocks: 5
; NumSGPRsForWavesPerEU: 40
; NumVGPRsForWavesPerEU: 41
; AccumOffset: 44
; Occupancy: 8
; WaveLimiterHint : 1
; COMPUTE_PGM_RSRC2:SCRATCH_EN: 1
; COMPUTE_PGM_RSRC2:USER_SGPR: 2
; COMPUTE_PGM_RSRC2:TRAP_HANDLER: 0
; COMPUTE_PGM_RSRC2:TGID_X_EN: 1
; COMPUTE_PGM_RSRC2:TGID_Y_EN: 0
; COMPUTE_PGM_RSRC2:TGID_Z_EN: 0
; COMPUTE_PGM_RSRC2:TIDIG_COMP_CNT: 0
; COMPUTE_PGM_RSRC3_GFX90A:ACCUM_OFFSET: 10
; COMPUTE_PGM_RSRC3_GFX90A:TG_SPLIT: 0
	.section	.text._ZL9mul_mat_fI15__hip_bfloat162Li32ELi14ELi1ELb0EEvPKT_PKfPKiPfiiiiiiiiiiiiiiii,"axG",@progbits,_ZL9mul_mat_fI15__hip_bfloat162Li32ELi14ELi1ELb0EEvPKT_PKfPKiPfiiiiiiiiiiiiiiii,comdat
	.globl	_ZL9mul_mat_fI15__hip_bfloat162Li32ELi14ELi1ELb0EEvPKT_PKfPKiPfiiiiiiiiiiiiiiii ; -- Begin function _ZL9mul_mat_fI15__hip_bfloat162Li32ELi14ELi1ELb0EEvPKT_PKfPKiPfiiiiiiiiiiiiiiii
	.p2align	8
	.type	_ZL9mul_mat_fI15__hip_bfloat162Li32ELi14ELi1ELb0EEvPKT_PKfPKiPfiiiiiiiiiiiiiiii,@function
_ZL9mul_mat_fI15__hip_bfloat162Li32ELi14ELi1ELb0EEvPKT_PKfPKiPfiiiiiiiiiiiiiiii: ; @_ZL9mul_mat_fI15__hip_bfloat162Li32ELi14ELi1ELb0EEvPKT_PKfPKiPfiiiiiiiiiiiiiiii
; %bb.0:
	s_add_u32 s8, s0, 0x60
	s_addc_u32 s9, s1, 0
	s_getpc_b64 s[0:1]
	s_add_u32 s0, s0, __FUNCTION__._ZL9mul_mat_fIfLi32ELi14ELi1ELb1EEvPKT_PKfPKiPfiiiiiiiiiiiiiiii@rel32@lo+4
	s_addc_u32 s1, s1, __FUNCTION__._ZL9mul_mat_fIfLi32ELi14ELi1ELb1EEvPKT_PKfPKiPfiiiiiiiiiiiiiiii@rel32@hi+12
	v_mov_b32_e32 v0, 64
	v_mov_b32_e32 v1, s0
	v_mov_b32_e32 v2, s1
	s_mov_b32 s32, 0
	s_getpc_b64 s[2:3]
	s_add_u32 s2, s2, _ZL14no_device_codePKciS0_iS0_@rel32@lo+4
	s_addc_u32 s3, s3, _ZL14no_device_codePKciS0_iS0_@rel32@hi+12
	s_swappc_b64 s[30:31], s[2:3]
	.section	.rodata,"a",@progbits
	.p2align	6, 0x0
	.amdhsa_kernel _ZL9mul_mat_fI15__hip_bfloat162Li32ELi14ELi1ELb0EEvPKT_PKfPKiPfiiiiiiiiiiiiiiii
		.amdhsa_group_segment_fixed_size 0
		.amdhsa_private_segment_fixed_size 16
		.amdhsa_kernarg_size 352
		.amdhsa_user_sgpr_count 2
		.amdhsa_user_sgpr_dispatch_ptr 0
		.amdhsa_user_sgpr_queue_ptr 0
		.amdhsa_user_sgpr_kernarg_segment_ptr 1
		.amdhsa_user_sgpr_dispatch_id 0
		.amdhsa_user_sgpr_kernarg_preload_length 0
		.amdhsa_user_sgpr_kernarg_preload_offset 0
		.amdhsa_user_sgpr_private_segment_size 0
		.amdhsa_uses_dynamic_stack 0
		.amdhsa_enable_private_segment 1
		.amdhsa_system_sgpr_workgroup_id_x 1
		.amdhsa_system_sgpr_workgroup_id_y 0
		.amdhsa_system_sgpr_workgroup_id_z 0
		.amdhsa_system_sgpr_workgroup_info 0
		.amdhsa_system_vgpr_workitem_id 0
		.amdhsa_next_free_vgpr 41
		.amdhsa_next_free_sgpr 34
		.amdhsa_accum_offset 44
		.amdhsa_reserve_vcc 1
		.amdhsa_float_round_mode_32 0
		.amdhsa_float_round_mode_16_64 0
		.amdhsa_float_denorm_mode_32 3
		.amdhsa_float_denorm_mode_16_64 3
		.amdhsa_dx10_clamp 1
		.amdhsa_ieee_mode 1
		.amdhsa_fp16_overflow 0
		.amdhsa_tg_split 0
		.amdhsa_exception_fp_ieee_invalid_op 0
		.amdhsa_exception_fp_denorm_src 0
		.amdhsa_exception_fp_ieee_div_zero 0
		.amdhsa_exception_fp_ieee_overflow 0
		.amdhsa_exception_fp_ieee_underflow 0
		.amdhsa_exception_fp_ieee_inexact 0
		.amdhsa_exception_int_div_zero 0
	.end_amdhsa_kernel
	.section	.text._ZL9mul_mat_fI15__hip_bfloat162Li32ELi14ELi1ELb0EEvPKT_PKfPKiPfiiiiiiiiiiiiiiii,"axG",@progbits,_ZL9mul_mat_fI15__hip_bfloat162Li32ELi14ELi1ELb0EEvPKT_PKfPKiPfiiiiiiiiiiiiiiii,comdat
.Lfunc_end53:
	.size	_ZL9mul_mat_fI15__hip_bfloat162Li32ELi14ELi1ELb0EEvPKT_PKfPKiPfiiiiiiiiiiiiiiii, .Lfunc_end53-_ZL9mul_mat_fI15__hip_bfloat162Li32ELi14ELi1ELb0EEvPKT_PKfPKiPfiiiiiiiiiiiiiiii
                                        ; -- End function
	.section	.AMDGPU.csdata,"",@progbits
; Kernel info:
; codeLenInByte = 72
; NumSgprs: 40
; NumVgprs: 41
; NumAgprs: 0
; TotalNumVgprs: 41
; ScratchSize: 16
; MemoryBound: 0
; FloatMode: 240
; IeeeMode: 1
; LDSByteSize: 0 bytes/workgroup (compile time only)
; SGPRBlocks: 4
; VGPRBlocks: 5
; NumSGPRsForWavesPerEU: 40
; NumVGPRsForWavesPerEU: 41
; AccumOffset: 44
; Occupancy: 8
; WaveLimiterHint : 1
; COMPUTE_PGM_RSRC2:SCRATCH_EN: 1
; COMPUTE_PGM_RSRC2:USER_SGPR: 2
; COMPUTE_PGM_RSRC2:TRAP_HANDLER: 0
; COMPUTE_PGM_RSRC2:TGID_X_EN: 1
; COMPUTE_PGM_RSRC2:TGID_Y_EN: 0
; COMPUTE_PGM_RSRC2:TGID_Z_EN: 0
; COMPUTE_PGM_RSRC2:TIDIG_COMP_CNT: 0
; COMPUTE_PGM_RSRC3_GFX90A:ACCUM_OFFSET: 10
; COMPUTE_PGM_RSRC3_GFX90A:TG_SPLIT: 0
	.section	.text._ZL13mul_mat_f_idsI15__hip_bfloat162Li32ELi14ELi2EEvPKT_PKfPKiS7_S7_Pfiiiiiiiiiiiiii15HIP_vector_typeIjLj3EESA_,"axG",@progbits,_ZL13mul_mat_f_idsI15__hip_bfloat162Li32ELi14ELi2EEvPKT_PKfPKiS7_S7_Pfiiiiiiiiiiiiii15HIP_vector_typeIjLj3EESA_,comdat
	.globl	_ZL13mul_mat_f_idsI15__hip_bfloat162Li32ELi14ELi2EEvPKT_PKfPKiS7_S7_Pfiiiiiiiiiiiiii15HIP_vector_typeIjLj3EESA_ ; -- Begin function _ZL13mul_mat_f_idsI15__hip_bfloat162Li32ELi14ELi2EEvPKT_PKfPKiS7_S7_Pfiiiiiiiiiiiiii15HIP_vector_typeIjLj3EESA_
	.p2align	8
	.type	_ZL13mul_mat_f_idsI15__hip_bfloat162Li32ELi14ELi2EEvPKT_PKfPKiS7_S7_Pfiiiiiiiiiiiiii15HIP_vector_typeIjLj3EESA_,@function
_ZL13mul_mat_f_idsI15__hip_bfloat162Li32ELi14ELi2EEvPKT_PKfPKiS7_S7_Pfiiiiiiiiiiiiii15HIP_vector_typeIjLj3EESA_: ; @_ZL13mul_mat_f_idsI15__hip_bfloat162Li32ELi14ELi2EEvPKT_PKfPKiS7_S7_Pfiiiiiiiiiiiiii15HIP_vector_typeIjLj3EESA_
; %bb.0:
	s_add_u32 s8, s0, 0x80
	s_addc_u32 s9, s1, 0
	s_getpc_b64 s[0:1]
	s_add_u32 s0, s0, __FUNCTION__._ZL13mul_mat_f_idsIfLi32ELi14ELi1EEvPKT_PKfPKiS6_S6_Pfiiiiiiiiiiiiii15HIP_vector_typeIjLj3EES9_@rel32@lo+4
	s_addc_u32 s1, s1, __FUNCTION__._ZL13mul_mat_f_idsIfLi32ELi14ELi1EEvPKT_PKfPKiS6_S6_Pfiiiiiiiiiiiiii15HIP_vector_typeIjLj3EES9_@rel32@hi+12
	v_mov_b32_e32 v0, 0x13b
	v_mov_b32_e32 v1, s0
	;; [unrolled: 1-line block ×3, first 2 shown]
	s_mov_b32 s32, 0
	s_getpc_b64 s[2:3]
	s_add_u32 s2, s2, _ZL14no_device_codePKciS0_iS0_@rel32@lo+4
	s_addc_u32 s3, s3, _ZL14no_device_codePKciS0_iS0_@rel32@hi+12
	s_swappc_b64 s[30:31], s[2:3]
	.section	.rodata,"a",@progbits
	.p2align	6, 0x0
	.amdhsa_kernel _ZL13mul_mat_f_idsI15__hip_bfloat162Li32ELi14ELi2EEvPKT_PKfPKiS7_S7_Pfiiiiiiiiiiiiii15HIP_vector_typeIjLj3EESA_
		.amdhsa_group_segment_fixed_size 0
		.amdhsa_private_segment_fixed_size 16
		.amdhsa_kernarg_size 384
		.amdhsa_user_sgpr_count 2
		.amdhsa_user_sgpr_dispatch_ptr 0
		.amdhsa_user_sgpr_queue_ptr 0
		.amdhsa_user_sgpr_kernarg_segment_ptr 1
		.amdhsa_user_sgpr_dispatch_id 0
		.amdhsa_user_sgpr_kernarg_preload_length 0
		.amdhsa_user_sgpr_kernarg_preload_offset 0
		.amdhsa_user_sgpr_private_segment_size 0
		.amdhsa_uses_dynamic_stack 0
		.amdhsa_enable_private_segment 1
		.amdhsa_system_sgpr_workgroup_id_x 1
		.amdhsa_system_sgpr_workgroup_id_y 0
		.amdhsa_system_sgpr_workgroup_id_z 0
		.amdhsa_system_sgpr_workgroup_info 0
		.amdhsa_system_vgpr_workitem_id 0
		.amdhsa_next_free_vgpr 41
		.amdhsa_next_free_sgpr 34
		.amdhsa_accum_offset 44
		.amdhsa_reserve_vcc 1
		.amdhsa_float_round_mode_32 0
		.amdhsa_float_round_mode_16_64 0
		.amdhsa_float_denorm_mode_32 3
		.amdhsa_float_denorm_mode_16_64 3
		.amdhsa_dx10_clamp 1
		.amdhsa_ieee_mode 1
		.amdhsa_fp16_overflow 0
		.amdhsa_tg_split 0
		.amdhsa_exception_fp_ieee_invalid_op 0
		.amdhsa_exception_fp_denorm_src 0
		.amdhsa_exception_fp_ieee_div_zero 0
		.amdhsa_exception_fp_ieee_overflow 0
		.amdhsa_exception_fp_ieee_underflow 0
		.amdhsa_exception_fp_ieee_inexact 0
		.amdhsa_exception_int_div_zero 0
	.end_amdhsa_kernel
	.section	.text._ZL13mul_mat_f_idsI15__hip_bfloat162Li32ELi14ELi2EEvPKT_PKfPKiS7_S7_Pfiiiiiiiiiiiiii15HIP_vector_typeIjLj3EESA_,"axG",@progbits,_ZL13mul_mat_f_idsI15__hip_bfloat162Li32ELi14ELi2EEvPKT_PKfPKiS7_S7_Pfiiiiiiiiiiiiii15HIP_vector_typeIjLj3EESA_,comdat
.Lfunc_end54:
	.size	_ZL13mul_mat_f_idsI15__hip_bfloat162Li32ELi14ELi2EEvPKT_PKfPKiS7_S7_Pfiiiiiiiiiiiiii15HIP_vector_typeIjLj3EESA_, .Lfunc_end54-_ZL13mul_mat_f_idsI15__hip_bfloat162Li32ELi14ELi2EEvPKT_PKfPKiS7_S7_Pfiiiiiiiiiiiiii15HIP_vector_typeIjLj3EESA_
                                        ; -- End function
	.section	.AMDGPU.csdata,"",@progbits
; Kernel info:
; codeLenInByte = 76
; NumSgprs: 40
; NumVgprs: 41
; NumAgprs: 0
; TotalNumVgprs: 41
; ScratchSize: 16
; MemoryBound: 0
; FloatMode: 240
; IeeeMode: 1
; LDSByteSize: 0 bytes/workgroup (compile time only)
; SGPRBlocks: 4
; VGPRBlocks: 5
; NumSGPRsForWavesPerEU: 40
; NumVGPRsForWavesPerEU: 41
; AccumOffset: 44
; Occupancy: 8
; WaveLimiterHint : 1
; COMPUTE_PGM_RSRC2:SCRATCH_EN: 1
; COMPUTE_PGM_RSRC2:USER_SGPR: 2
; COMPUTE_PGM_RSRC2:TRAP_HANDLER: 0
; COMPUTE_PGM_RSRC2:TGID_X_EN: 1
; COMPUTE_PGM_RSRC2:TGID_Y_EN: 0
; COMPUTE_PGM_RSRC2:TGID_Z_EN: 0
; COMPUTE_PGM_RSRC2:TIDIG_COMP_CNT: 0
; COMPUTE_PGM_RSRC3_GFX90A:ACCUM_OFFSET: 10
; COMPUTE_PGM_RSRC3_GFX90A:TG_SPLIT: 0
	.section	.text._ZL9mul_mat_fI15__hip_bfloat162Li32ELi14ELi2ELb1EEvPKT_PKfPKiPfiiiiiiiiiiiiiiii,"axG",@progbits,_ZL9mul_mat_fI15__hip_bfloat162Li32ELi14ELi2ELb1EEvPKT_PKfPKiPfiiiiiiiiiiiiiiii,comdat
	.globl	_ZL9mul_mat_fI15__hip_bfloat162Li32ELi14ELi2ELb1EEvPKT_PKfPKiPfiiiiiiiiiiiiiiii ; -- Begin function _ZL9mul_mat_fI15__hip_bfloat162Li32ELi14ELi2ELb1EEvPKT_PKfPKiPfiiiiiiiiiiiiiiii
	.p2align	8
	.type	_ZL9mul_mat_fI15__hip_bfloat162Li32ELi14ELi2ELb1EEvPKT_PKfPKiPfiiiiiiiiiiiiiiii,@function
_ZL9mul_mat_fI15__hip_bfloat162Li32ELi14ELi2ELb1EEvPKT_PKfPKiPfiiiiiiiiiiiiiiii: ; @_ZL9mul_mat_fI15__hip_bfloat162Li32ELi14ELi2ELb1EEvPKT_PKfPKiPfiiiiiiiiiiiiiiii
; %bb.0:
	s_add_u32 s8, s0, 0x60
	s_addc_u32 s9, s1, 0
	s_getpc_b64 s[0:1]
	s_add_u32 s0, s0, __FUNCTION__._ZL9mul_mat_fIfLi32ELi14ELi1ELb1EEvPKT_PKfPKiPfiiiiiiiiiiiiiiii@rel32@lo+4
	s_addc_u32 s1, s1, __FUNCTION__._ZL9mul_mat_fIfLi32ELi14ELi1ELb1EEvPKT_PKfPKiPfiiiiiiiiiiiiiiii@rel32@hi+12
	v_mov_b32_e32 v0, 64
	v_mov_b32_e32 v1, s0
	;; [unrolled: 1-line block ×3, first 2 shown]
	s_mov_b32 s32, 0
	s_getpc_b64 s[2:3]
	s_add_u32 s2, s2, _ZL14no_device_codePKciS0_iS0_@rel32@lo+4
	s_addc_u32 s3, s3, _ZL14no_device_codePKciS0_iS0_@rel32@hi+12
	s_swappc_b64 s[30:31], s[2:3]
	.section	.rodata,"a",@progbits
	.p2align	6, 0x0
	.amdhsa_kernel _ZL9mul_mat_fI15__hip_bfloat162Li32ELi14ELi2ELb1EEvPKT_PKfPKiPfiiiiiiiiiiiiiiii
		.amdhsa_group_segment_fixed_size 0
		.amdhsa_private_segment_fixed_size 16
		.amdhsa_kernarg_size 352
		.amdhsa_user_sgpr_count 2
		.amdhsa_user_sgpr_dispatch_ptr 0
		.amdhsa_user_sgpr_queue_ptr 0
		.amdhsa_user_sgpr_kernarg_segment_ptr 1
		.amdhsa_user_sgpr_dispatch_id 0
		.amdhsa_user_sgpr_kernarg_preload_length 0
		.amdhsa_user_sgpr_kernarg_preload_offset 0
		.amdhsa_user_sgpr_private_segment_size 0
		.amdhsa_uses_dynamic_stack 0
		.amdhsa_enable_private_segment 1
		.amdhsa_system_sgpr_workgroup_id_x 1
		.amdhsa_system_sgpr_workgroup_id_y 0
		.amdhsa_system_sgpr_workgroup_id_z 0
		.amdhsa_system_sgpr_workgroup_info 0
		.amdhsa_system_vgpr_workitem_id 0
		.amdhsa_next_free_vgpr 41
		.amdhsa_next_free_sgpr 34
		.amdhsa_accum_offset 44
		.amdhsa_reserve_vcc 1
		.amdhsa_float_round_mode_32 0
		.amdhsa_float_round_mode_16_64 0
		.amdhsa_float_denorm_mode_32 3
		.amdhsa_float_denorm_mode_16_64 3
		.amdhsa_dx10_clamp 1
		.amdhsa_ieee_mode 1
		.amdhsa_fp16_overflow 0
		.amdhsa_tg_split 0
		.amdhsa_exception_fp_ieee_invalid_op 0
		.amdhsa_exception_fp_denorm_src 0
		.amdhsa_exception_fp_ieee_div_zero 0
		.amdhsa_exception_fp_ieee_overflow 0
		.amdhsa_exception_fp_ieee_underflow 0
		.amdhsa_exception_fp_ieee_inexact 0
		.amdhsa_exception_int_div_zero 0
	.end_amdhsa_kernel
	.section	.text._ZL9mul_mat_fI15__hip_bfloat162Li32ELi14ELi2ELb1EEvPKT_PKfPKiPfiiiiiiiiiiiiiiii,"axG",@progbits,_ZL9mul_mat_fI15__hip_bfloat162Li32ELi14ELi2ELb1EEvPKT_PKfPKiPfiiiiiiiiiiiiiiii,comdat
.Lfunc_end55:
	.size	_ZL9mul_mat_fI15__hip_bfloat162Li32ELi14ELi2ELb1EEvPKT_PKfPKiPfiiiiiiiiiiiiiiii, .Lfunc_end55-_ZL9mul_mat_fI15__hip_bfloat162Li32ELi14ELi2ELb1EEvPKT_PKfPKiPfiiiiiiiiiiiiiiii
                                        ; -- End function
	.section	.AMDGPU.csdata,"",@progbits
; Kernel info:
; codeLenInByte = 72
; NumSgprs: 40
; NumVgprs: 41
; NumAgprs: 0
; TotalNumVgprs: 41
; ScratchSize: 16
; MemoryBound: 0
; FloatMode: 240
; IeeeMode: 1
; LDSByteSize: 0 bytes/workgroup (compile time only)
; SGPRBlocks: 4
; VGPRBlocks: 5
; NumSGPRsForWavesPerEU: 40
; NumVGPRsForWavesPerEU: 41
; AccumOffset: 44
; Occupancy: 8
; WaveLimiterHint : 1
; COMPUTE_PGM_RSRC2:SCRATCH_EN: 1
; COMPUTE_PGM_RSRC2:USER_SGPR: 2
; COMPUTE_PGM_RSRC2:TRAP_HANDLER: 0
; COMPUTE_PGM_RSRC2:TGID_X_EN: 1
; COMPUTE_PGM_RSRC2:TGID_Y_EN: 0
; COMPUTE_PGM_RSRC2:TGID_Z_EN: 0
; COMPUTE_PGM_RSRC2:TIDIG_COMP_CNT: 0
; COMPUTE_PGM_RSRC3_GFX90A:ACCUM_OFFSET: 10
; COMPUTE_PGM_RSRC3_GFX90A:TG_SPLIT: 0
	.section	.text._ZL9mul_mat_fI15__hip_bfloat162Li32ELi14ELi2ELb0EEvPKT_PKfPKiPfiiiiiiiiiiiiiiii,"axG",@progbits,_ZL9mul_mat_fI15__hip_bfloat162Li32ELi14ELi2ELb0EEvPKT_PKfPKiPfiiiiiiiiiiiiiiii,comdat
	.globl	_ZL9mul_mat_fI15__hip_bfloat162Li32ELi14ELi2ELb0EEvPKT_PKfPKiPfiiiiiiiiiiiiiiii ; -- Begin function _ZL9mul_mat_fI15__hip_bfloat162Li32ELi14ELi2ELb0EEvPKT_PKfPKiPfiiiiiiiiiiiiiiii
	.p2align	8
	.type	_ZL9mul_mat_fI15__hip_bfloat162Li32ELi14ELi2ELb0EEvPKT_PKfPKiPfiiiiiiiiiiiiiiii,@function
_ZL9mul_mat_fI15__hip_bfloat162Li32ELi14ELi2ELb0EEvPKT_PKfPKiPfiiiiiiiiiiiiiiii: ; @_ZL9mul_mat_fI15__hip_bfloat162Li32ELi14ELi2ELb0EEvPKT_PKfPKiPfiiiiiiiiiiiiiiii
; %bb.0:
	s_add_u32 s8, s0, 0x60
	s_addc_u32 s9, s1, 0
	s_getpc_b64 s[0:1]
	s_add_u32 s0, s0, __FUNCTION__._ZL9mul_mat_fIfLi32ELi14ELi1ELb1EEvPKT_PKfPKiPfiiiiiiiiiiiiiiii@rel32@lo+4
	s_addc_u32 s1, s1, __FUNCTION__._ZL9mul_mat_fIfLi32ELi14ELi1ELb1EEvPKT_PKfPKiPfiiiiiiiiiiiiiiii@rel32@hi+12
	v_mov_b32_e32 v0, 64
	v_mov_b32_e32 v1, s0
	;; [unrolled: 1-line block ×3, first 2 shown]
	s_mov_b32 s32, 0
	s_getpc_b64 s[2:3]
	s_add_u32 s2, s2, _ZL14no_device_codePKciS0_iS0_@rel32@lo+4
	s_addc_u32 s3, s3, _ZL14no_device_codePKciS0_iS0_@rel32@hi+12
	s_swappc_b64 s[30:31], s[2:3]
	.section	.rodata,"a",@progbits
	.p2align	6, 0x0
	.amdhsa_kernel _ZL9mul_mat_fI15__hip_bfloat162Li32ELi14ELi2ELb0EEvPKT_PKfPKiPfiiiiiiiiiiiiiiii
		.amdhsa_group_segment_fixed_size 0
		.amdhsa_private_segment_fixed_size 16
		.amdhsa_kernarg_size 352
		.amdhsa_user_sgpr_count 2
		.amdhsa_user_sgpr_dispatch_ptr 0
		.amdhsa_user_sgpr_queue_ptr 0
		.amdhsa_user_sgpr_kernarg_segment_ptr 1
		.amdhsa_user_sgpr_dispatch_id 0
		.amdhsa_user_sgpr_kernarg_preload_length 0
		.amdhsa_user_sgpr_kernarg_preload_offset 0
		.amdhsa_user_sgpr_private_segment_size 0
		.amdhsa_uses_dynamic_stack 0
		.amdhsa_enable_private_segment 1
		.amdhsa_system_sgpr_workgroup_id_x 1
		.amdhsa_system_sgpr_workgroup_id_y 0
		.amdhsa_system_sgpr_workgroup_id_z 0
		.amdhsa_system_sgpr_workgroup_info 0
		.amdhsa_system_vgpr_workitem_id 0
		.amdhsa_next_free_vgpr 41
		.amdhsa_next_free_sgpr 34
		.amdhsa_accum_offset 44
		.amdhsa_reserve_vcc 1
		.amdhsa_float_round_mode_32 0
		.amdhsa_float_round_mode_16_64 0
		.amdhsa_float_denorm_mode_32 3
		.amdhsa_float_denorm_mode_16_64 3
		.amdhsa_dx10_clamp 1
		.amdhsa_ieee_mode 1
		.amdhsa_fp16_overflow 0
		.amdhsa_tg_split 0
		.amdhsa_exception_fp_ieee_invalid_op 0
		.amdhsa_exception_fp_denorm_src 0
		.amdhsa_exception_fp_ieee_div_zero 0
		.amdhsa_exception_fp_ieee_overflow 0
		.amdhsa_exception_fp_ieee_underflow 0
		.amdhsa_exception_fp_ieee_inexact 0
		.amdhsa_exception_int_div_zero 0
	.end_amdhsa_kernel
	.section	.text._ZL9mul_mat_fI15__hip_bfloat162Li32ELi14ELi2ELb0EEvPKT_PKfPKiPfiiiiiiiiiiiiiiii,"axG",@progbits,_ZL9mul_mat_fI15__hip_bfloat162Li32ELi14ELi2ELb0EEvPKT_PKfPKiPfiiiiiiiiiiiiiiii,comdat
.Lfunc_end56:
	.size	_ZL9mul_mat_fI15__hip_bfloat162Li32ELi14ELi2ELb0EEvPKT_PKfPKiPfiiiiiiiiiiiiiiii, .Lfunc_end56-_ZL9mul_mat_fI15__hip_bfloat162Li32ELi14ELi2ELb0EEvPKT_PKfPKiPfiiiiiiiiiiiiiiii
                                        ; -- End function
	.section	.AMDGPU.csdata,"",@progbits
; Kernel info:
; codeLenInByte = 72
; NumSgprs: 40
; NumVgprs: 41
; NumAgprs: 0
; TotalNumVgprs: 41
; ScratchSize: 16
; MemoryBound: 0
; FloatMode: 240
; IeeeMode: 1
; LDSByteSize: 0 bytes/workgroup (compile time only)
; SGPRBlocks: 4
; VGPRBlocks: 5
; NumSGPRsForWavesPerEU: 40
; NumVGPRsForWavesPerEU: 41
; AccumOffset: 44
; Occupancy: 8
; WaveLimiterHint : 1
; COMPUTE_PGM_RSRC2:SCRATCH_EN: 1
; COMPUTE_PGM_RSRC2:USER_SGPR: 2
; COMPUTE_PGM_RSRC2:TRAP_HANDLER: 0
; COMPUTE_PGM_RSRC2:TGID_X_EN: 1
; COMPUTE_PGM_RSRC2:TGID_Y_EN: 0
; COMPUTE_PGM_RSRC2:TGID_Z_EN: 0
; COMPUTE_PGM_RSRC2:TIDIG_COMP_CNT: 0
; COMPUTE_PGM_RSRC3_GFX90A:ACCUM_OFFSET: 10
; COMPUTE_PGM_RSRC3_GFX90A:TG_SPLIT: 0
	.section	.text._ZL13mul_mat_f_idsI15__hip_bfloat162Li32ELi14ELi3EEvPKT_PKfPKiS7_S7_Pfiiiiiiiiiiiiii15HIP_vector_typeIjLj3EESA_,"axG",@progbits,_ZL13mul_mat_f_idsI15__hip_bfloat162Li32ELi14ELi3EEvPKT_PKfPKiS7_S7_Pfiiiiiiiiiiiiii15HIP_vector_typeIjLj3EESA_,comdat
	.globl	_ZL13mul_mat_f_idsI15__hip_bfloat162Li32ELi14ELi3EEvPKT_PKfPKiS7_S7_Pfiiiiiiiiiiiiii15HIP_vector_typeIjLj3EESA_ ; -- Begin function _ZL13mul_mat_f_idsI15__hip_bfloat162Li32ELi14ELi3EEvPKT_PKfPKiS7_S7_Pfiiiiiiiiiiiiii15HIP_vector_typeIjLj3EESA_
	.p2align	8
	.type	_ZL13mul_mat_f_idsI15__hip_bfloat162Li32ELi14ELi3EEvPKT_PKfPKiS7_S7_Pfiiiiiiiiiiiiii15HIP_vector_typeIjLj3EESA_,@function
_ZL13mul_mat_f_idsI15__hip_bfloat162Li32ELi14ELi3EEvPKT_PKfPKiS7_S7_Pfiiiiiiiiiiiiii15HIP_vector_typeIjLj3EESA_: ; @_ZL13mul_mat_f_idsI15__hip_bfloat162Li32ELi14ELi3EEvPKT_PKfPKiS7_S7_Pfiiiiiiiiiiiiii15HIP_vector_typeIjLj3EESA_
; %bb.0:
	s_add_u32 s8, s0, 0x80
	s_addc_u32 s9, s1, 0
	s_getpc_b64 s[0:1]
	s_add_u32 s0, s0, __FUNCTION__._ZL13mul_mat_f_idsIfLi32ELi14ELi1EEvPKT_PKfPKiS6_S6_Pfiiiiiiiiiiiiii15HIP_vector_typeIjLj3EES9_@rel32@lo+4
	s_addc_u32 s1, s1, __FUNCTION__._ZL13mul_mat_f_idsIfLi32ELi14ELi1EEvPKT_PKfPKiS6_S6_Pfiiiiiiiiiiiiii15HIP_vector_typeIjLj3EES9_@rel32@hi+12
	v_mov_b32_e32 v0, 0x13b
	v_mov_b32_e32 v1, s0
	;; [unrolled: 1-line block ×3, first 2 shown]
	s_mov_b32 s32, 0
	s_getpc_b64 s[2:3]
	s_add_u32 s2, s2, _ZL14no_device_codePKciS0_iS0_@rel32@lo+4
	s_addc_u32 s3, s3, _ZL14no_device_codePKciS0_iS0_@rel32@hi+12
	s_swappc_b64 s[30:31], s[2:3]
	.section	.rodata,"a",@progbits
	.p2align	6, 0x0
	.amdhsa_kernel _ZL13mul_mat_f_idsI15__hip_bfloat162Li32ELi14ELi3EEvPKT_PKfPKiS7_S7_Pfiiiiiiiiiiiiii15HIP_vector_typeIjLj3EESA_
		.amdhsa_group_segment_fixed_size 0
		.amdhsa_private_segment_fixed_size 16
		.amdhsa_kernarg_size 384
		.amdhsa_user_sgpr_count 2
		.amdhsa_user_sgpr_dispatch_ptr 0
		.amdhsa_user_sgpr_queue_ptr 0
		.amdhsa_user_sgpr_kernarg_segment_ptr 1
		.amdhsa_user_sgpr_dispatch_id 0
		.amdhsa_user_sgpr_kernarg_preload_length 0
		.amdhsa_user_sgpr_kernarg_preload_offset 0
		.amdhsa_user_sgpr_private_segment_size 0
		.amdhsa_uses_dynamic_stack 0
		.amdhsa_enable_private_segment 1
		.amdhsa_system_sgpr_workgroup_id_x 1
		.amdhsa_system_sgpr_workgroup_id_y 0
		.amdhsa_system_sgpr_workgroup_id_z 0
		.amdhsa_system_sgpr_workgroup_info 0
		.amdhsa_system_vgpr_workitem_id 0
		.amdhsa_next_free_vgpr 41
		.amdhsa_next_free_sgpr 34
		.amdhsa_accum_offset 44
		.amdhsa_reserve_vcc 1
		.amdhsa_float_round_mode_32 0
		.amdhsa_float_round_mode_16_64 0
		.amdhsa_float_denorm_mode_32 3
		.amdhsa_float_denorm_mode_16_64 3
		.amdhsa_dx10_clamp 1
		.amdhsa_ieee_mode 1
		.amdhsa_fp16_overflow 0
		.amdhsa_tg_split 0
		.amdhsa_exception_fp_ieee_invalid_op 0
		.amdhsa_exception_fp_denorm_src 0
		.amdhsa_exception_fp_ieee_div_zero 0
		.amdhsa_exception_fp_ieee_overflow 0
		.amdhsa_exception_fp_ieee_underflow 0
		.amdhsa_exception_fp_ieee_inexact 0
		.amdhsa_exception_int_div_zero 0
	.end_amdhsa_kernel
	.section	.text._ZL13mul_mat_f_idsI15__hip_bfloat162Li32ELi14ELi3EEvPKT_PKfPKiS7_S7_Pfiiiiiiiiiiiiii15HIP_vector_typeIjLj3EESA_,"axG",@progbits,_ZL13mul_mat_f_idsI15__hip_bfloat162Li32ELi14ELi3EEvPKT_PKfPKiS7_S7_Pfiiiiiiiiiiiiii15HIP_vector_typeIjLj3EESA_,comdat
.Lfunc_end57:
	.size	_ZL13mul_mat_f_idsI15__hip_bfloat162Li32ELi14ELi3EEvPKT_PKfPKiS7_S7_Pfiiiiiiiiiiiiii15HIP_vector_typeIjLj3EESA_, .Lfunc_end57-_ZL13mul_mat_f_idsI15__hip_bfloat162Li32ELi14ELi3EEvPKT_PKfPKiS7_S7_Pfiiiiiiiiiiiiii15HIP_vector_typeIjLj3EESA_
                                        ; -- End function
	.section	.AMDGPU.csdata,"",@progbits
; Kernel info:
; codeLenInByte = 76
; NumSgprs: 40
; NumVgprs: 41
; NumAgprs: 0
; TotalNumVgprs: 41
; ScratchSize: 16
; MemoryBound: 0
; FloatMode: 240
; IeeeMode: 1
; LDSByteSize: 0 bytes/workgroup (compile time only)
; SGPRBlocks: 4
; VGPRBlocks: 5
; NumSGPRsForWavesPerEU: 40
; NumVGPRsForWavesPerEU: 41
; AccumOffset: 44
; Occupancy: 8
; WaveLimiterHint : 1
; COMPUTE_PGM_RSRC2:SCRATCH_EN: 1
; COMPUTE_PGM_RSRC2:USER_SGPR: 2
; COMPUTE_PGM_RSRC2:TRAP_HANDLER: 0
; COMPUTE_PGM_RSRC2:TGID_X_EN: 1
; COMPUTE_PGM_RSRC2:TGID_Y_EN: 0
; COMPUTE_PGM_RSRC2:TGID_Z_EN: 0
; COMPUTE_PGM_RSRC2:TIDIG_COMP_CNT: 0
; COMPUTE_PGM_RSRC3_GFX90A:ACCUM_OFFSET: 10
; COMPUTE_PGM_RSRC3_GFX90A:TG_SPLIT: 0
	.section	.text._ZL9mul_mat_fI15__hip_bfloat162Li32ELi14ELi3ELb1EEvPKT_PKfPKiPfiiiiiiiiiiiiiiii,"axG",@progbits,_ZL9mul_mat_fI15__hip_bfloat162Li32ELi14ELi3ELb1EEvPKT_PKfPKiPfiiiiiiiiiiiiiiii,comdat
	.globl	_ZL9mul_mat_fI15__hip_bfloat162Li32ELi14ELi3ELb1EEvPKT_PKfPKiPfiiiiiiiiiiiiiiii ; -- Begin function _ZL9mul_mat_fI15__hip_bfloat162Li32ELi14ELi3ELb1EEvPKT_PKfPKiPfiiiiiiiiiiiiiiii
	.p2align	8
	.type	_ZL9mul_mat_fI15__hip_bfloat162Li32ELi14ELi3ELb1EEvPKT_PKfPKiPfiiiiiiiiiiiiiiii,@function
_ZL9mul_mat_fI15__hip_bfloat162Li32ELi14ELi3ELb1EEvPKT_PKfPKiPfiiiiiiiiiiiiiiii: ; @_ZL9mul_mat_fI15__hip_bfloat162Li32ELi14ELi3ELb1EEvPKT_PKfPKiPfiiiiiiiiiiiiiiii
; %bb.0:
	s_add_u32 s8, s0, 0x60
	s_addc_u32 s9, s1, 0
	s_getpc_b64 s[0:1]
	s_add_u32 s0, s0, __FUNCTION__._ZL9mul_mat_fIfLi32ELi14ELi1ELb1EEvPKT_PKfPKiPfiiiiiiiiiiiiiiii@rel32@lo+4
	s_addc_u32 s1, s1, __FUNCTION__._ZL9mul_mat_fIfLi32ELi14ELi1ELb1EEvPKT_PKfPKiPfiiiiiiiiiiiiiiii@rel32@hi+12
	v_mov_b32_e32 v0, 64
	v_mov_b32_e32 v1, s0
	v_mov_b32_e32 v2, s1
	s_mov_b32 s32, 0
	s_getpc_b64 s[2:3]
	s_add_u32 s2, s2, _ZL14no_device_codePKciS0_iS0_@rel32@lo+4
	s_addc_u32 s3, s3, _ZL14no_device_codePKciS0_iS0_@rel32@hi+12
	s_swappc_b64 s[30:31], s[2:3]
	.section	.rodata,"a",@progbits
	.p2align	6, 0x0
	.amdhsa_kernel _ZL9mul_mat_fI15__hip_bfloat162Li32ELi14ELi3ELb1EEvPKT_PKfPKiPfiiiiiiiiiiiiiiii
		.amdhsa_group_segment_fixed_size 0
		.amdhsa_private_segment_fixed_size 16
		.amdhsa_kernarg_size 352
		.amdhsa_user_sgpr_count 2
		.amdhsa_user_sgpr_dispatch_ptr 0
		.amdhsa_user_sgpr_queue_ptr 0
		.amdhsa_user_sgpr_kernarg_segment_ptr 1
		.amdhsa_user_sgpr_dispatch_id 0
		.amdhsa_user_sgpr_kernarg_preload_length 0
		.amdhsa_user_sgpr_kernarg_preload_offset 0
		.amdhsa_user_sgpr_private_segment_size 0
		.amdhsa_uses_dynamic_stack 0
		.amdhsa_enable_private_segment 1
		.amdhsa_system_sgpr_workgroup_id_x 1
		.amdhsa_system_sgpr_workgroup_id_y 0
		.amdhsa_system_sgpr_workgroup_id_z 0
		.amdhsa_system_sgpr_workgroup_info 0
		.amdhsa_system_vgpr_workitem_id 0
		.amdhsa_next_free_vgpr 41
		.amdhsa_next_free_sgpr 34
		.amdhsa_accum_offset 44
		.amdhsa_reserve_vcc 1
		.amdhsa_float_round_mode_32 0
		.amdhsa_float_round_mode_16_64 0
		.amdhsa_float_denorm_mode_32 3
		.amdhsa_float_denorm_mode_16_64 3
		.amdhsa_dx10_clamp 1
		.amdhsa_ieee_mode 1
		.amdhsa_fp16_overflow 0
		.amdhsa_tg_split 0
		.amdhsa_exception_fp_ieee_invalid_op 0
		.amdhsa_exception_fp_denorm_src 0
		.amdhsa_exception_fp_ieee_div_zero 0
		.amdhsa_exception_fp_ieee_overflow 0
		.amdhsa_exception_fp_ieee_underflow 0
		.amdhsa_exception_fp_ieee_inexact 0
		.amdhsa_exception_int_div_zero 0
	.end_amdhsa_kernel
	.section	.text._ZL9mul_mat_fI15__hip_bfloat162Li32ELi14ELi3ELb1EEvPKT_PKfPKiPfiiiiiiiiiiiiiiii,"axG",@progbits,_ZL9mul_mat_fI15__hip_bfloat162Li32ELi14ELi3ELb1EEvPKT_PKfPKiPfiiiiiiiiiiiiiiii,comdat
.Lfunc_end58:
	.size	_ZL9mul_mat_fI15__hip_bfloat162Li32ELi14ELi3ELb1EEvPKT_PKfPKiPfiiiiiiiiiiiiiiii, .Lfunc_end58-_ZL9mul_mat_fI15__hip_bfloat162Li32ELi14ELi3ELb1EEvPKT_PKfPKiPfiiiiiiiiiiiiiiii
                                        ; -- End function
	.section	.AMDGPU.csdata,"",@progbits
; Kernel info:
; codeLenInByte = 72
; NumSgprs: 40
; NumVgprs: 41
; NumAgprs: 0
; TotalNumVgprs: 41
; ScratchSize: 16
; MemoryBound: 0
; FloatMode: 240
; IeeeMode: 1
; LDSByteSize: 0 bytes/workgroup (compile time only)
; SGPRBlocks: 4
; VGPRBlocks: 5
; NumSGPRsForWavesPerEU: 40
; NumVGPRsForWavesPerEU: 41
; AccumOffset: 44
; Occupancy: 8
; WaveLimiterHint : 1
; COMPUTE_PGM_RSRC2:SCRATCH_EN: 1
; COMPUTE_PGM_RSRC2:USER_SGPR: 2
; COMPUTE_PGM_RSRC2:TRAP_HANDLER: 0
; COMPUTE_PGM_RSRC2:TGID_X_EN: 1
; COMPUTE_PGM_RSRC2:TGID_Y_EN: 0
; COMPUTE_PGM_RSRC2:TGID_Z_EN: 0
; COMPUTE_PGM_RSRC2:TIDIG_COMP_CNT: 0
; COMPUTE_PGM_RSRC3_GFX90A:ACCUM_OFFSET: 10
; COMPUTE_PGM_RSRC3_GFX90A:TG_SPLIT: 0
	.section	.text._ZL9mul_mat_fI15__hip_bfloat162Li32ELi14ELi3ELb0EEvPKT_PKfPKiPfiiiiiiiiiiiiiiii,"axG",@progbits,_ZL9mul_mat_fI15__hip_bfloat162Li32ELi14ELi3ELb0EEvPKT_PKfPKiPfiiiiiiiiiiiiiiii,comdat
	.globl	_ZL9mul_mat_fI15__hip_bfloat162Li32ELi14ELi3ELb0EEvPKT_PKfPKiPfiiiiiiiiiiiiiiii ; -- Begin function _ZL9mul_mat_fI15__hip_bfloat162Li32ELi14ELi3ELb0EEvPKT_PKfPKiPfiiiiiiiiiiiiiiii
	.p2align	8
	.type	_ZL9mul_mat_fI15__hip_bfloat162Li32ELi14ELi3ELb0EEvPKT_PKfPKiPfiiiiiiiiiiiiiiii,@function
_ZL9mul_mat_fI15__hip_bfloat162Li32ELi14ELi3ELb0EEvPKT_PKfPKiPfiiiiiiiiiiiiiiii: ; @_ZL9mul_mat_fI15__hip_bfloat162Li32ELi14ELi3ELb0EEvPKT_PKfPKiPfiiiiiiiiiiiiiiii
; %bb.0:
	s_add_u32 s8, s0, 0x60
	s_addc_u32 s9, s1, 0
	s_getpc_b64 s[0:1]
	s_add_u32 s0, s0, __FUNCTION__._ZL9mul_mat_fIfLi32ELi14ELi1ELb1EEvPKT_PKfPKiPfiiiiiiiiiiiiiiii@rel32@lo+4
	s_addc_u32 s1, s1, __FUNCTION__._ZL9mul_mat_fIfLi32ELi14ELi1ELb1EEvPKT_PKfPKiPfiiiiiiiiiiiiiiii@rel32@hi+12
	v_mov_b32_e32 v0, 64
	v_mov_b32_e32 v1, s0
	;; [unrolled: 1-line block ×3, first 2 shown]
	s_mov_b32 s32, 0
	s_getpc_b64 s[2:3]
	s_add_u32 s2, s2, _ZL14no_device_codePKciS0_iS0_@rel32@lo+4
	s_addc_u32 s3, s3, _ZL14no_device_codePKciS0_iS0_@rel32@hi+12
	s_swappc_b64 s[30:31], s[2:3]
	.section	.rodata,"a",@progbits
	.p2align	6, 0x0
	.amdhsa_kernel _ZL9mul_mat_fI15__hip_bfloat162Li32ELi14ELi3ELb0EEvPKT_PKfPKiPfiiiiiiiiiiiiiiii
		.amdhsa_group_segment_fixed_size 0
		.amdhsa_private_segment_fixed_size 16
		.amdhsa_kernarg_size 352
		.amdhsa_user_sgpr_count 2
		.amdhsa_user_sgpr_dispatch_ptr 0
		.amdhsa_user_sgpr_queue_ptr 0
		.amdhsa_user_sgpr_kernarg_segment_ptr 1
		.amdhsa_user_sgpr_dispatch_id 0
		.amdhsa_user_sgpr_kernarg_preload_length 0
		.amdhsa_user_sgpr_kernarg_preload_offset 0
		.amdhsa_user_sgpr_private_segment_size 0
		.amdhsa_uses_dynamic_stack 0
		.amdhsa_enable_private_segment 1
		.amdhsa_system_sgpr_workgroup_id_x 1
		.amdhsa_system_sgpr_workgroup_id_y 0
		.amdhsa_system_sgpr_workgroup_id_z 0
		.amdhsa_system_sgpr_workgroup_info 0
		.amdhsa_system_vgpr_workitem_id 0
		.amdhsa_next_free_vgpr 41
		.amdhsa_next_free_sgpr 34
		.amdhsa_accum_offset 44
		.amdhsa_reserve_vcc 1
		.amdhsa_float_round_mode_32 0
		.amdhsa_float_round_mode_16_64 0
		.amdhsa_float_denorm_mode_32 3
		.amdhsa_float_denorm_mode_16_64 3
		.amdhsa_dx10_clamp 1
		.amdhsa_ieee_mode 1
		.amdhsa_fp16_overflow 0
		.amdhsa_tg_split 0
		.amdhsa_exception_fp_ieee_invalid_op 0
		.amdhsa_exception_fp_denorm_src 0
		.amdhsa_exception_fp_ieee_div_zero 0
		.amdhsa_exception_fp_ieee_overflow 0
		.amdhsa_exception_fp_ieee_underflow 0
		.amdhsa_exception_fp_ieee_inexact 0
		.amdhsa_exception_int_div_zero 0
	.end_amdhsa_kernel
	.section	.text._ZL9mul_mat_fI15__hip_bfloat162Li32ELi14ELi3ELb0EEvPKT_PKfPKiPfiiiiiiiiiiiiiiii,"axG",@progbits,_ZL9mul_mat_fI15__hip_bfloat162Li32ELi14ELi3ELb0EEvPKT_PKfPKiPfiiiiiiiiiiiiiiii,comdat
.Lfunc_end59:
	.size	_ZL9mul_mat_fI15__hip_bfloat162Li32ELi14ELi3ELb0EEvPKT_PKfPKiPfiiiiiiiiiiiiiiii, .Lfunc_end59-_ZL9mul_mat_fI15__hip_bfloat162Li32ELi14ELi3ELb0EEvPKT_PKfPKiPfiiiiiiiiiiiiiiii
                                        ; -- End function
	.section	.AMDGPU.csdata,"",@progbits
; Kernel info:
; codeLenInByte = 72
; NumSgprs: 40
; NumVgprs: 41
; NumAgprs: 0
; TotalNumVgprs: 41
; ScratchSize: 16
; MemoryBound: 0
; FloatMode: 240
; IeeeMode: 1
; LDSByteSize: 0 bytes/workgroup (compile time only)
; SGPRBlocks: 4
; VGPRBlocks: 5
; NumSGPRsForWavesPerEU: 40
; NumVGPRsForWavesPerEU: 41
; AccumOffset: 44
; Occupancy: 8
; WaveLimiterHint : 1
; COMPUTE_PGM_RSRC2:SCRATCH_EN: 1
; COMPUTE_PGM_RSRC2:USER_SGPR: 2
; COMPUTE_PGM_RSRC2:TRAP_HANDLER: 0
; COMPUTE_PGM_RSRC2:TGID_X_EN: 1
; COMPUTE_PGM_RSRC2:TGID_Y_EN: 0
; COMPUTE_PGM_RSRC2:TGID_Z_EN: 0
; COMPUTE_PGM_RSRC2:TIDIG_COMP_CNT: 0
; COMPUTE_PGM_RSRC3_GFX90A:ACCUM_OFFSET: 10
; COMPUTE_PGM_RSRC3_GFX90A:TG_SPLIT: 0
	.section	.text._ZL13mul_mat_f_idsI15__hip_bfloat162Li32ELi14ELi4EEvPKT_PKfPKiS7_S7_Pfiiiiiiiiiiiiii15HIP_vector_typeIjLj3EESA_,"axG",@progbits,_ZL13mul_mat_f_idsI15__hip_bfloat162Li32ELi14ELi4EEvPKT_PKfPKiS7_S7_Pfiiiiiiiiiiiiii15HIP_vector_typeIjLj3EESA_,comdat
	.globl	_ZL13mul_mat_f_idsI15__hip_bfloat162Li32ELi14ELi4EEvPKT_PKfPKiS7_S7_Pfiiiiiiiiiiiiii15HIP_vector_typeIjLj3EESA_ ; -- Begin function _ZL13mul_mat_f_idsI15__hip_bfloat162Li32ELi14ELi4EEvPKT_PKfPKiS7_S7_Pfiiiiiiiiiiiiii15HIP_vector_typeIjLj3EESA_
	.p2align	8
	.type	_ZL13mul_mat_f_idsI15__hip_bfloat162Li32ELi14ELi4EEvPKT_PKfPKiS7_S7_Pfiiiiiiiiiiiiii15HIP_vector_typeIjLj3EESA_,@function
_ZL13mul_mat_f_idsI15__hip_bfloat162Li32ELi14ELi4EEvPKT_PKfPKiS7_S7_Pfiiiiiiiiiiiiii15HIP_vector_typeIjLj3EESA_: ; @_ZL13mul_mat_f_idsI15__hip_bfloat162Li32ELi14ELi4EEvPKT_PKfPKiS7_S7_Pfiiiiiiiiiiiiii15HIP_vector_typeIjLj3EESA_
; %bb.0:
	s_add_u32 s8, s0, 0x80
	s_addc_u32 s9, s1, 0
	s_getpc_b64 s[0:1]
	s_add_u32 s0, s0, __FUNCTION__._ZL13mul_mat_f_idsIfLi32ELi14ELi1EEvPKT_PKfPKiS6_S6_Pfiiiiiiiiiiiiii15HIP_vector_typeIjLj3EES9_@rel32@lo+4
	s_addc_u32 s1, s1, __FUNCTION__._ZL13mul_mat_f_idsIfLi32ELi14ELi1EEvPKT_PKfPKiS6_S6_Pfiiiiiiiiiiiiii15HIP_vector_typeIjLj3EES9_@rel32@hi+12
	v_mov_b32_e32 v0, 0x13b
	v_mov_b32_e32 v1, s0
	;; [unrolled: 1-line block ×3, first 2 shown]
	s_mov_b32 s32, 0
	s_getpc_b64 s[2:3]
	s_add_u32 s2, s2, _ZL14no_device_codePKciS0_iS0_@rel32@lo+4
	s_addc_u32 s3, s3, _ZL14no_device_codePKciS0_iS0_@rel32@hi+12
	s_swappc_b64 s[30:31], s[2:3]
	.section	.rodata,"a",@progbits
	.p2align	6, 0x0
	.amdhsa_kernel _ZL13mul_mat_f_idsI15__hip_bfloat162Li32ELi14ELi4EEvPKT_PKfPKiS7_S7_Pfiiiiiiiiiiiiii15HIP_vector_typeIjLj3EESA_
		.amdhsa_group_segment_fixed_size 0
		.amdhsa_private_segment_fixed_size 16
		.amdhsa_kernarg_size 384
		.amdhsa_user_sgpr_count 2
		.amdhsa_user_sgpr_dispatch_ptr 0
		.amdhsa_user_sgpr_queue_ptr 0
		.amdhsa_user_sgpr_kernarg_segment_ptr 1
		.amdhsa_user_sgpr_dispatch_id 0
		.amdhsa_user_sgpr_kernarg_preload_length 0
		.amdhsa_user_sgpr_kernarg_preload_offset 0
		.amdhsa_user_sgpr_private_segment_size 0
		.amdhsa_uses_dynamic_stack 0
		.amdhsa_enable_private_segment 1
		.amdhsa_system_sgpr_workgroup_id_x 1
		.amdhsa_system_sgpr_workgroup_id_y 0
		.amdhsa_system_sgpr_workgroup_id_z 0
		.amdhsa_system_sgpr_workgroup_info 0
		.amdhsa_system_vgpr_workitem_id 0
		.amdhsa_next_free_vgpr 41
		.amdhsa_next_free_sgpr 34
		.amdhsa_accum_offset 44
		.amdhsa_reserve_vcc 1
		.amdhsa_float_round_mode_32 0
		.amdhsa_float_round_mode_16_64 0
		.amdhsa_float_denorm_mode_32 3
		.amdhsa_float_denorm_mode_16_64 3
		.amdhsa_dx10_clamp 1
		.amdhsa_ieee_mode 1
		.amdhsa_fp16_overflow 0
		.amdhsa_tg_split 0
		.amdhsa_exception_fp_ieee_invalid_op 0
		.amdhsa_exception_fp_denorm_src 0
		.amdhsa_exception_fp_ieee_div_zero 0
		.amdhsa_exception_fp_ieee_overflow 0
		.amdhsa_exception_fp_ieee_underflow 0
		.amdhsa_exception_fp_ieee_inexact 0
		.amdhsa_exception_int_div_zero 0
	.end_amdhsa_kernel
	.section	.text._ZL13mul_mat_f_idsI15__hip_bfloat162Li32ELi14ELi4EEvPKT_PKfPKiS7_S7_Pfiiiiiiiiiiiiii15HIP_vector_typeIjLj3EESA_,"axG",@progbits,_ZL13mul_mat_f_idsI15__hip_bfloat162Li32ELi14ELi4EEvPKT_PKfPKiS7_S7_Pfiiiiiiiiiiiiii15HIP_vector_typeIjLj3EESA_,comdat
.Lfunc_end60:
	.size	_ZL13mul_mat_f_idsI15__hip_bfloat162Li32ELi14ELi4EEvPKT_PKfPKiS7_S7_Pfiiiiiiiiiiiiii15HIP_vector_typeIjLj3EESA_, .Lfunc_end60-_ZL13mul_mat_f_idsI15__hip_bfloat162Li32ELi14ELi4EEvPKT_PKfPKiS7_S7_Pfiiiiiiiiiiiiii15HIP_vector_typeIjLj3EESA_
                                        ; -- End function
	.section	.AMDGPU.csdata,"",@progbits
; Kernel info:
; codeLenInByte = 76
; NumSgprs: 40
; NumVgprs: 41
; NumAgprs: 0
; TotalNumVgprs: 41
; ScratchSize: 16
; MemoryBound: 0
; FloatMode: 240
; IeeeMode: 1
; LDSByteSize: 0 bytes/workgroup (compile time only)
; SGPRBlocks: 4
; VGPRBlocks: 5
; NumSGPRsForWavesPerEU: 40
; NumVGPRsForWavesPerEU: 41
; AccumOffset: 44
; Occupancy: 8
; WaveLimiterHint : 1
; COMPUTE_PGM_RSRC2:SCRATCH_EN: 1
; COMPUTE_PGM_RSRC2:USER_SGPR: 2
; COMPUTE_PGM_RSRC2:TRAP_HANDLER: 0
; COMPUTE_PGM_RSRC2:TGID_X_EN: 1
; COMPUTE_PGM_RSRC2:TGID_Y_EN: 0
; COMPUTE_PGM_RSRC2:TGID_Z_EN: 0
; COMPUTE_PGM_RSRC2:TIDIG_COMP_CNT: 0
; COMPUTE_PGM_RSRC3_GFX90A:ACCUM_OFFSET: 10
; COMPUTE_PGM_RSRC3_GFX90A:TG_SPLIT: 0
	.section	.text._ZL9mul_mat_fI15__hip_bfloat162Li32ELi14ELi4ELb1EEvPKT_PKfPKiPfiiiiiiiiiiiiiiii,"axG",@progbits,_ZL9mul_mat_fI15__hip_bfloat162Li32ELi14ELi4ELb1EEvPKT_PKfPKiPfiiiiiiiiiiiiiiii,comdat
	.globl	_ZL9mul_mat_fI15__hip_bfloat162Li32ELi14ELi4ELb1EEvPKT_PKfPKiPfiiiiiiiiiiiiiiii ; -- Begin function _ZL9mul_mat_fI15__hip_bfloat162Li32ELi14ELi4ELb1EEvPKT_PKfPKiPfiiiiiiiiiiiiiiii
	.p2align	8
	.type	_ZL9mul_mat_fI15__hip_bfloat162Li32ELi14ELi4ELb1EEvPKT_PKfPKiPfiiiiiiiiiiiiiiii,@function
_ZL9mul_mat_fI15__hip_bfloat162Li32ELi14ELi4ELb1EEvPKT_PKfPKiPfiiiiiiiiiiiiiiii: ; @_ZL9mul_mat_fI15__hip_bfloat162Li32ELi14ELi4ELb1EEvPKT_PKfPKiPfiiiiiiiiiiiiiiii
; %bb.0:
	s_add_u32 s8, s0, 0x60
	s_addc_u32 s9, s1, 0
	s_getpc_b64 s[0:1]
	s_add_u32 s0, s0, __FUNCTION__._ZL9mul_mat_fIfLi32ELi14ELi1ELb1EEvPKT_PKfPKiPfiiiiiiiiiiiiiiii@rel32@lo+4
	s_addc_u32 s1, s1, __FUNCTION__._ZL9mul_mat_fIfLi32ELi14ELi1ELb1EEvPKT_PKfPKiPfiiiiiiiiiiiiiiii@rel32@hi+12
	v_mov_b32_e32 v0, 64
	v_mov_b32_e32 v1, s0
	;; [unrolled: 1-line block ×3, first 2 shown]
	s_mov_b32 s32, 0
	s_getpc_b64 s[2:3]
	s_add_u32 s2, s2, _ZL14no_device_codePKciS0_iS0_@rel32@lo+4
	s_addc_u32 s3, s3, _ZL14no_device_codePKciS0_iS0_@rel32@hi+12
	s_swappc_b64 s[30:31], s[2:3]
	.section	.rodata,"a",@progbits
	.p2align	6, 0x0
	.amdhsa_kernel _ZL9mul_mat_fI15__hip_bfloat162Li32ELi14ELi4ELb1EEvPKT_PKfPKiPfiiiiiiiiiiiiiiii
		.amdhsa_group_segment_fixed_size 0
		.amdhsa_private_segment_fixed_size 16
		.amdhsa_kernarg_size 352
		.amdhsa_user_sgpr_count 2
		.amdhsa_user_sgpr_dispatch_ptr 0
		.amdhsa_user_sgpr_queue_ptr 0
		.amdhsa_user_sgpr_kernarg_segment_ptr 1
		.amdhsa_user_sgpr_dispatch_id 0
		.amdhsa_user_sgpr_kernarg_preload_length 0
		.amdhsa_user_sgpr_kernarg_preload_offset 0
		.amdhsa_user_sgpr_private_segment_size 0
		.amdhsa_uses_dynamic_stack 0
		.amdhsa_enable_private_segment 1
		.amdhsa_system_sgpr_workgroup_id_x 1
		.amdhsa_system_sgpr_workgroup_id_y 0
		.amdhsa_system_sgpr_workgroup_id_z 0
		.amdhsa_system_sgpr_workgroup_info 0
		.amdhsa_system_vgpr_workitem_id 0
		.amdhsa_next_free_vgpr 41
		.amdhsa_next_free_sgpr 34
		.amdhsa_accum_offset 44
		.amdhsa_reserve_vcc 1
		.amdhsa_float_round_mode_32 0
		.amdhsa_float_round_mode_16_64 0
		.amdhsa_float_denorm_mode_32 3
		.amdhsa_float_denorm_mode_16_64 3
		.amdhsa_dx10_clamp 1
		.amdhsa_ieee_mode 1
		.amdhsa_fp16_overflow 0
		.amdhsa_tg_split 0
		.amdhsa_exception_fp_ieee_invalid_op 0
		.amdhsa_exception_fp_denorm_src 0
		.amdhsa_exception_fp_ieee_div_zero 0
		.amdhsa_exception_fp_ieee_overflow 0
		.amdhsa_exception_fp_ieee_underflow 0
		.amdhsa_exception_fp_ieee_inexact 0
		.amdhsa_exception_int_div_zero 0
	.end_amdhsa_kernel
	.section	.text._ZL9mul_mat_fI15__hip_bfloat162Li32ELi14ELi4ELb1EEvPKT_PKfPKiPfiiiiiiiiiiiiiiii,"axG",@progbits,_ZL9mul_mat_fI15__hip_bfloat162Li32ELi14ELi4ELb1EEvPKT_PKfPKiPfiiiiiiiiiiiiiiii,comdat
.Lfunc_end61:
	.size	_ZL9mul_mat_fI15__hip_bfloat162Li32ELi14ELi4ELb1EEvPKT_PKfPKiPfiiiiiiiiiiiiiiii, .Lfunc_end61-_ZL9mul_mat_fI15__hip_bfloat162Li32ELi14ELi4ELb1EEvPKT_PKfPKiPfiiiiiiiiiiiiiiii
                                        ; -- End function
	.section	.AMDGPU.csdata,"",@progbits
; Kernel info:
; codeLenInByte = 72
; NumSgprs: 40
; NumVgprs: 41
; NumAgprs: 0
; TotalNumVgprs: 41
; ScratchSize: 16
; MemoryBound: 0
; FloatMode: 240
; IeeeMode: 1
; LDSByteSize: 0 bytes/workgroup (compile time only)
; SGPRBlocks: 4
; VGPRBlocks: 5
; NumSGPRsForWavesPerEU: 40
; NumVGPRsForWavesPerEU: 41
; AccumOffset: 44
; Occupancy: 8
; WaveLimiterHint : 1
; COMPUTE_PGM_RSRC2:SCRATCH_EN: 1
; COMPUTE_PGM_RSRC2:USER_SGPR: 2
; COMPUTE_PGM_RSRC2:TRAP_HANDLER: 0
; COMPUTE_PGM_RSRC2:TGID_X_EN: 1
; COMPUTE_PGM_RSRC2:TGID_Y_EN: 0
; COMPUTE_PGM_RSRC2:TGID_Z_EN: 0
; COMPUTE_PGM_RSRC2:TIDIG_COMP_CNT: 0
; COMPUTE_PGM_RSRC3_GFX90A:ACCUM_OFFSET: 10
; COMPUTE_PGM_RSRC3_GFX90A:TG_SPLIT: 0
	.section	.text._ZL9mul_mat_fI15__hip_bfloat162Li32ELi14ELi4ELb0EEvPKT_PKfPKiPfiiiiiiiiiiiiiiii,"axG",@progbits,_ZL9mul_mat_fI15__hip_bfloat162Li32ELi14ELi4ELb0EEvPKT_PKfPKiPfiiiiiiiiiiiiiiii,comdat
	.globl	_ZL9mul_mat_fI15__hip_bfloat162Li32ELi14ELi4ELb0EEvPKT_PKfPKiPfiiiiiiiiiiiiiiii ; -- Begin function _ZL9mul_mat_fI15__hip_bfloat162Li32ELi14ELi4ELb0EEvPKT_PKfPKiPfiiiiiiiiiiiiiiii
	.p2align	8
	.type	_ZL9mul_mat_fI15__hip_bfloat162Li32ELi14ELi4ELb0EEvPKT_PKfPKiPfiiiiiiiiiiiiiiii,@function
_ZL9mul_mat_fI15__hip_bfloat162Li32ELi14ELi4ELb0EEvPKT_PKfPKiPfiiiiiiiiiiiiiiii: ; @_ZL9mul_mat_fI15__hip_bfloat162Li32ELi14ELi4ELb0EEvPKT_PKfPKiPfiiiiiiiiiiiiiiii
; %bb.0:
	s_add_u32 s8, s0, 0x60
	s_addc_u32 s9, s1, 0
	s_getpc_b64 s[0:1]
	s_add_u32 s0, s0, __FUNCTION__._ZL9mul_mat_fIfLi32ELi14ELi1ELb1EEvPKT_PKfPKiPfiiiiiiiiiiiiiiii@rel32@lo+4
	s_addc_u32 s1, s1, __FUNCTION__._ZL9mul_mat_fIfLi32ELi14ELi1ELb1EEvPKT_PKfPKiPfiiiiiiiiiiiiiiii@rel32@hi+12
	v_mov_b32_e32 v0, 64
	v_mov_b32_e32 v1, s0
	;; [unrolled: 1-line block ×3, first 2 shown]
	s_mov_b32 s32, 0
	s_getpc_b64 s[2:3]
	s_add_u32 s2, s2, _ZL14no_device_codePKciS0_iS0_@rel32@lo+4
	s_addc_u32 s3, s3, _ZL14no_device_codePKciS0_iS0_@rel32@hi+12
	s_swappc_b64 s[30:31], s[2:3]
	.section	.rodata,"a",@progbits
	.p2align	6, 0x0
	.amdhsa_kernel _ZL9mul_mat_fI15__hip_bfloat162Li32ELi14ELi4ELb0EEvPKT_PKfPKiPfiiiiiiiiiiiiiiii
		.amdhsa_group_segment_fixed_size 0
		.amdhsa_private_segment_fixed_size 16
		.amdhsa_kernarg_size 352
		.amdhsa_user_sgpr_count 2
		.amdhsa_user_sgpr_dispatch_ptr 0
		.amdhsa_user_sgpr_queue_ptr 0
		.amdhsa_user_sgpr_kernarg_segment_ptr 1
		.amdhsa_user_sgpr_dispatch_id 0
		.amdhsa_user_sgpr_kernarg_preload_length 0
		.amdhsa_user_sgpr_kernarg_preload_offset 0
		.amdhsa_user_sgpr_private_segment_size 0
		.amdhsa_uses_dynamic_stack 0
		.amdhsa_enable_private_segment 1
		.amdhsa_system_sgpr_workgroup_id_x 1
		.amdhsa_system_sgpr_workgroup_id_y 0
		.amdhsa_system_sgpr_workgroup_id_z 0
		.amdhsa_system_sgpr_workgroup_info 0
		.amdhsa_system_vgpr_workitem_id 0
		.amdhsa_next_free_vgpr 41
		.amdhsa_next_free_sgpr 34
		.amdhsa_accum_offset 44
		.amdhsa_reserve_vcc 1
		.amdhsa_float_round_mode_32 0
		.amdhsa_float_round_mode_16_64 0
		.amdhsa_float_denorm_mode_32 3
		.amdhsa_float_denorm_mode_16_64 3
		.amdhsa_dx10_clamp 1
		.amdhsa_ieee_mode 1
		.amdhsa_fp16_overflow 0
		.amdhsa_tg_split 0
		.amdhsa_exception_fp_ieee_invalid_op 0
		.amdhsa_exception_fp_denorm_src 0
		.amdhsa_exception_fp_ieee_div_zero 0
		.amdhsa_exception_fp_ieee_overflow 0
		.amdhsa_exception_fp_ieee_underflow 0
		.amdhsa_exception_fp_ieee_inexact 0
		.amdhsa_exception_int_div_zero 0
	.end_amdhsa_kernel
	.section	.text._ZL9mul_mat_fI15__hip_bfloat162Li32ELi14ELi4ELb0EEvPKT_PKfPKiPfiiiiiiiiiiiiiiii,"axG",@progbits,_ZL9mul_mat_fI15__hip_bfloat162Li32ELi14ELi4ELb0EEvPKT_PKfPKiPfiiiiiiiiiiiiiiii,comdat
.Lfunc_end62:
	.size	_ZL9mul_mat_fI15__hip_bfloat162Li32ELi14ELi4ELb0EEvPKT_PKfPKiPfiiiiiiiiiiiiiiii, .Lfunc_end62-_ZL9mul_mat_fI15__hip_bfloat162Li32ELi14ELi4ELb0EEvPKT_PKfPKiPfiiiiiiiiiiiiiiii
                                        ; -- End function
	.section	.AMDGPU.csdata,"",@progbits
; Kernel info:
; codeLenInByte = 72
; NumSgprs: 40
; NumVgprs: 41
; NumAgprs: 0
; TotalNumVgprs: 41
; ScratchSize: 16
; MemoryBound: 0
; FloatMode: 240
; IeeeMode: 1
; LDSByteSize: 0 bytes/workgroup (compile time only)
; SGPRBlocks: 4
; VGPRBlocks: 5
; NumSGPRsForWavesPerEU: 40
; NumVGPRsForWavesPerEU: 41
; AccumOffset: 44
; Occupancy: 8
; WaveLimiterHint : 1
; COMPUTE_PGM_RSRC2:SCRATCH_EN: 1
; COMPUTE_PGM_RSRC2:USER_SGPR: 2
; COMPUTE_PGM_RSRC2:TRAP_HANDLER: 0
; COMPUTE_PGM_RSRC2:TGID_X_EN: 1
; COMPUTE_PGM_RSRC2:TGID_Y_EN: 0
; COMPUTE_PGM_RSRC2:TGID_Z_EN: 0
; COMPUTE_PGM_RSRC2:TIDIG_COMP_CNT: 0
; COMPUTE_PGM_RSRC3_GFX90A:ACCUM_OFFSET: 10
; COMPUTE_PGM_RSRC3_GFX90A:TG_SPLIT: 0
	.section	.text._ZL13mul_mat_f_idsI15__hip_bfloat162Li32ELi14ELi5EEvPKT_PKfPKiS7_S7_Pfiiiiiiiiiiiiii15HIP_vector_typeIjLj3EESA_,"axG",@progbits,_ZL13mul_mat_f_idsI15__hip_bfloat162Li32ELi14ELi5EEvPKT_PKfPKiS7_S7_Pfiiiiiiiiiiiiii15HIP_vector_typeIjLj3EESA_,comdat
	.globl	_ZL13mul_mat_f_idsI15__hip_bfloat162Li32ELi14ELi5EEvPKT_PKfPKiS7_S7_Pfiiiiiiiiiiiiii15HIP_vector_typeIjLj3EESA_ ; -- Begin function _ZL13mul_mat_f_idsI15__hip_bfloat162Li32ELi14ELi5EEvPKT_PKfPKiS7_S7_Pfiiiiiiiiiiiiii15HIP_vector_typeIjLj3EESA_
	.p2align	8
	.type	_ZL13mul_mat_f_idsI15__hip_bfloat162Li32ELi14ELi5EEvPKT_PKfPKiS7_S7_Pfiiiiiiiiiiiiii15HIP_vector_typeIjLj3EESA_,@function
_ZL13mul_mat_f_idsI15__hip_bfloat162Li32ELi14ELi5EEvPKT_PKfPKiS7_S7_Pfiiiiiiiiiiiiii15HIP_vector_typeIjLj3EESA_: ; @_ZL13mul_mat_f_idsI15__hip_bfloat162Li32ELi14ELi5EEvPKT_PKfPKiS7_S7_Pfiiiiiiiiiiiiii15HIP_vector_typeIjLj3EESA_
; %bb.0:
	s_add_u32 s8, s0, 0x80
	s_addc_u32 s9, s1, 0
	s_getpc_b64 s[0:1]
	s_add_u32 s0, s0, __FUNCTION__._ZL13mul_mat_f_idsIfLi32ELi14ELi1EEvPKT_PKfPKiS6_S6_Pfiiiiiiiiiiiiii15HIP_vector_typeIjLj3EES9_@rel32@lo+4
	s_addc_u32 s1, s1, __FUNCTION__._ZL13mul_mat_f_idsIfLi32ELi14ELi1EEvPKT_PKfPKiS6_S6_Pfiiiiiiiiiiiiii15HIP_vector_typeIjLj3EES9_@rel32@hi+12
	v_mov_b32_e32 v0, 0x13b
	v_mov_b32_e32 v1, s0
	;; [unrolled: 1-line block ×3, first 2 shown]
	s_mov_b32 s32, 0
	s_getpc_b64 s[2:3]
	s_add_u32 s2, s2, _ZL14no_device_codePKciS0_iS0_@rel32@lo+4
	s_addc_u32 s3, s3, _ZL14no_device_codePKciS0_iS0_@rel32@hi+12
	s_swappc_b64 s[30:31], s[2:3]
	.section	.rodata,"a",@progbits
	.p2align	6, 0x0
	.amdhsa_kernel _ZL13mul_mat_f_idsI15__hip_bfloat162Li32ELi14ELi5EEvPKT_PKfPKiS7_S7_Pfiiiiiiiiiiiiii15HIP_vector_typeIjLj3EESA_
		.amdhsa_group_segment_fixed_size 0
		.amdhsa_private_segment_fixed_size 16
		.amdhsa_kernarg_size 384
		.amdhsa_user_sgpr_count 2
		.amdhsa_user_sgpr_dispatch_ptr 0
		.amdhsa_user_sgpr_queue_ptr 0
		.amdhsa_user_sgpr_kernarg_segment_ptr 1
		.amdhsa_user_sgpr_dispatch_id 0
		.amdhsa_user_sgpr_kernarg_preload_length 0
		.amdhsa_user_sgpr_kernarg_preload_offset 0
		.amdhsa_user_sgpr_private_segment_size 0
		.amdhsa_uses_dynamic_stack 0
		.amdhsa_enable_private_segment 1
		.amdhsa_system_sgpr_workgroup_id_x 1
		.amdhsa_system_sgpr_workgroup_id_y 0
		.amdhsa_system_sgpr_workgroup_id_z 0
		.amdhsa_system_sgpr_workgroup_info 0
		.amdhsa_system_vgpr_workitem_id 0
		.amdhsa_next_free_vgpr 41
		.amdhsa_next_free_sgpr 34
		.amdhsa_accum_offset 44
		.amdhsa_reserve_vcc 1
		.amdhsa_float_round_mode_32 0
		.amdhsa_float_round_mode_16_64 0
		.amdhsa_float_denorm_mode_32 3
		.amdhsa_float_denorm_mode_16_64 3
		.amdhsa_dx10_clamp 1
		.amdhsa_ieee_mode 1
		.amdhsa_fp16_overflow 0
		.amdhsa_tg_split 0
		.amdhsa_exception_fp_ieee_invalid_op 0
		.amdhsa_exception_fp_denorm_src 0
		.amdhsa_exception_fp_ieee_div_zero 0
		.amdhsa_exception_fp_ieee_overflow 0
		.amdhsa_exception_fp_ieee_underflow 0
		.amdhsa_exception_fp_ieee_inexact 0
		.amdhsa_exception_int_div_zero 0
	.end_amdhsa_kernel
	.section	.text._ZL13mul_mat_f_idsI15__hip_bfloat162Li32ELi14ELi5EEvPKT_PKfPKiS7_S7_Pfiiiiiiiiiiiiii15HIP_vector_typeIjLj3EESA_,"axG",@progbits,_ZL13mul_mat_f_idsI15__hip_bfloat162Li32ELi14ELi5EEvPKT_PKfPKiS7_S7_Pfiiiiiiiiiiiiii15HIP_vector_typeIjLj3EESA_,comdat
.Lfunc_end63:
	.size	_ZL13mul_mat_f_idsI15__hip_bfloat162Li32ELi14ELi5EEvPKT_PKfPKiS7_S7_Pfiiiiiiiiiiiiii15HIP_vector_typeIjLj3EESA_, .Lfunc_end63-_ZL13mul_mat_f_idsI15__hip_bfloat162Li32ELi14ELi5EEvPKT_PKfPKiS7_S7_Pfiiiiiiiiiiiiii15HIP_vector_typeIjLj3EESA_
                                        ; -- End function
	.section	.AMDGPU.csdata,"",@progbits
; Kernel info:
; codeLenInByte = 76
; NumSgprs: 40
; NumVgprs: 41
; NumAgprs: 0
; TotalNumVgprs: 41
; ScratchSize: 16
; MemoryBound: 0
; FloatMode: 240
; IeeeMode: 1
; LDSByteSize: 0 bytes/workgroup (compile time only)
; SGPRBlocks: 4
; VGPRBlocks: 5
; NumSGPRsForWavesPerEU: 40
; NumVGPRsForWavesPerEU: 41
; AccumOffset: 44
; Occupancy: 8
; WaveLimiterHint : 1
; COMPUTE_PGM_RSRC2:SCRATCH_EN: 1
; COMPUTE_PGM_RSRC2:USER_SGPR: 2
; COMPUTE_PGM_RSRC2:TRAP_HANDLER: 0
; COMPUTE_PGM_RSRC2:TGID_X_EN: 1
; COMPUTE_PGM_RSRC2:TGID_Y_EN: 0
; COMPUTE_PGM_RSRC2:TGID_Z_EN: 0
; COMPUTE_PGM_RSRC2:TIDIG_COMP_CNT: 0
; COMPUTE_PGM_RSRC3_GFX90A:ACCUM_OFFSET: 10
; COMPUTE_PGM_RSRC3_GFX90A:TG_SPLIT: 0
	.section	.text._ZL9mul_mat_fI15__hip_bfloat162Li32ELi14ELi5ELb1EEvPKT_PKfPKiPfiiiiiiiiiiiiiiii,"axG",@progbits,_ZL9mul_mat_fI15__hip_bfloat162Li32ELi14ELi5ELb1EEvPKT_PKfPKiPfiiiiiiiiiiiiiiii,comdat
	.globl	_ZL9mul_mat_fI15__hip_bfloat162Li32ELi14ELi5ELb1EEvPKT_PKfPKiPfiiiiiiiiiiiiiiii ; -- Begin function _ZL9mul_mat_fI15__hip_bfloat162Li32ELi14ELi5ELb1EEvPKT_PKfPKiPfiiiiiiiiiiiiiiii
	.p2align	8
	.type	_ZL9mul_mat_fI15__hip_bfloat162Li32ELi14ELi5ELb1EEvPKT_PKfPKiPfiiiiiiiiiiiiiiii,@function
_ZL9mul_mat_fI15__hip_bfloat162Li32ELi14ELi5ELb1EEvPKT_PKfPKiPfiiiiiiiiiiiiiiii: ; @_ZL9mul_mat_fI15__hip_bfloat162Li32ELi14ELi5ELb1EEvPKT_PKfPKiPfiiiiiiiiiiiiiiii
; %bb.0:
	s_add_u32 s8, s0, 0x60
	s_addc_u32 s9, s1, 0
	s_getpc_b64 s[0:1]
	s_add_u32 s0, s0, __FUNCTION__._ZL9mul_mat_fIfLi32ELi14ELi1ELb1EEvPKT_PKfPKiPfiiiiiiiiiiiiiiii@rel32@lo+4
	s_addc_u32 s1, s1, __FUNCTION__._ZL9mul_mat_fIfLi32ELi14ELi1ELb1EEvPKT_PKfPKiPfiiiiiiiiiiiiiiii@rel32@hi+12
	v_mov_b32_e32 v0, 64
	v_mov_b32_e32 v1, s0
	;; [unrolled: 1-line block ×3, first 2 shown]
	s_mov_b32 s32, 0
	s_getpc_b64 s[2:3]
	s_add_u32 s2, s2, _ZL14no_device_codePKciS0_iS0_@rel32@lo+4
	s_addc_u32 s3, s3, _ZL14no_device_codePKciS0_iS0_@rel32@hi+12
	s_swappc_b64 s[30:31], s[2:3]
	.section	.rodata,"a",@progbits
	.p2align	6, 0x0
	.amdhsa_kernel _ZL9mul_mat_fI15__hip_bfloat162Li32ELi14ELi5ELb1EEvPKT_PKfPKiPfiiiiiiiiiiiiiiii
		.amdhsa_group_segment_fixed_size 0
		.amdhsa_private_segment_fixed_size 16
		.amdhsa_kernarg_size 352
		.amdhsa_user_sgpr_count 2
		.amdhsa_user_sgpr_dispatch_ptr 0
		.amdhsa_user_sgpr_queue_ptr 0
		.amdhsa_user_sgpr_kernarg_segment_ptr 1
		.amdhsa_user_sgpr_dispatch_id 0
		.amdhsa_user_sgpr_kernarg_preload_length 0
		.amdhsa_user_sgpr_kernarg_preload_offset 0
		.amdhsa_user_sgpr_private_segment_size 0
		.amdhsa_uses_dynamic_stack 0
		.amdhsa_enable_private_segment 1
		.amdhsa_system_sgpr_workgroup_id_x 1
		.amdhsa_system_sgpr_workgroup_id_y 0
		.amdhsa_system_sgpr_workgroup_id_z 0
		.amdhsa_system_sgpr_workgroup_info 0
		.amdhsa_system_vgpr_workitem_id 0
		.amdhsa_next_free_vgpr 41
		.amdhsa_next_free_sgpr 34
		.amdhsa_accum_offset 44
		.amdhsa_reserve_vcc 1
		.amdhsa_float_round_mode_32 0
		.amdhsa_float_round_mode_16_64 0
		.amdhsa_float_denorm_mode_32 3
		.amdhsa_float_denorm_mode_16_64 3
		.amdhsa_dx10_clamp 1
		.amdhsa_ieee_mode 1
		.amdhsa_fp16_overflow 0
		.amdhsa_tg_split 0
		.amdhsa_exception_fp_ieee_invalid_op 0
		.amdhsa_exception_fp_denorm_src 0
		.amdhsa_exception_fp_ieee_div_zero 0
		.amdhsa_exception_fp_ieee_overflow 0
		.amdhsa_exception_fp_ieee_underflow 0
		.amdhsa_exception_fp_ieee_inexact 0
		.amdhsa_exception_int_div_zero 0
	.end_amdhsa_kernel
	.section	.text._ZL9mul_mat_fI15__hip_bfloat162Li32ELi14ELi5ELb1EEvPKT_PKfPKiPfiiiiiiiiiiiiiiii,"axG",@progbits,_ZL9mul_mat_fI15__hip_bfloat162Li32ELi14ELi5ELb1EEvPKT_PKfPKiPfiiiiiiiiiiiiiiii,comdat
.Lfunc_end64:
	.size	_ZL9mul_mat_fI15__hip_bfloat162Li32ELi14ELi5ELb1EEvPKT_PKfPKiPfiiiiiiiiiiiiiiii, .Lfunc_end64-_ZL9mul_mat_fI15__hip_bfloat162Li32ELi14ELi5ELb1EEvPKT_PKfPKiPfiiiiiiiiiiiiiiii
                                        ; -- End function
	.section	.AMDGPU.csdata,"",@progbits
; Kernel info:
; codeLenInByte = 72
; NumSgprs: 40
; NumVgprs: 41
; NumAgprs: 0
; TotalNumVgprs: 41
; ScratchSize: 16
; MemoryBound: 0
; FloatMode: 240
; IeeeMode: 1
; LDSByteSize: 0 bytes/workgroup (compile time only)
; SGPRBlocks: 4
; VGPRBlocks: 5
; NumSGPRsForWavesPerEU: 40
; NumVGPRsForWavesPerEU: 41
; AccumOffset: 44
; Occupancy: 8
; WaveLimiterHint : 1
; COMPUTE_PGM_RSRC2:SCRATCH_EN: 1
; COMPUTE_PGM_RSRC2:USER_SGPR: 2
; COMPUTE_PGM_RSRC2:TRAP_HANDLER: 0
; COMPUTE_PGM_RSRC2:TGID_X_EN: 1
; COMPUTE_PGM_RSRC2:TGID_Y_EN: 0
; COMPUTE_PGM_RSRC2:TGID_Z_EN: 0
; COMPUTE_PGM_RSRC2:TIDIG_COMP_CNT: 0
; COMPUTE_PGM_RSRC3_GFX90A:ACCUM_OFFSET: 10
; COMPUTE_PGM_RSRC3_GFX90A:TG_SPLIT: 0
	.section	.text._ZL9mul_mat_fI15__hip_bfloat162Li32ELi14ELi5ELb0EEvPKT_PKfPKiPfiiiiiiiiiiiiiiii,"axG",@progbits,_ZL9mul_mat_fI15__hip_bfloat162Li32ELi14ELi5ELb0EEvPKT_PKfPKiPfiiiiiiiiiiiiiiii,comdat
	.globl	_ZL9mul_mat_fI15__hip_bfloat162Li32ELi14ELi5ELb0EEvPKT_PKfPKiPfiiiiiiiiiiiiiiii ; -- Begin function _ZL9mul_mat_fI15__hip_bfloat162Li32ELi14ELi5ELb0EEvPKT_PKfPKiPfiiiiiiiiiiiiiiii
	.p2align	8
	.type	_ZL9mul_mat_fI15__hip_bfloat162Li32ELi14ELi5ELb0EEvPKT_PKfPKiPfiiiiiiiiiiiiiiii,@function
_ZL9mul_mat_fI15__hip_bfloat162Li32ELi14ELi5ELb0EEvPKT_PKfPKiPfiiiiiiiiiiiiiiii: ; @_ZL9mul_mat_fI15__hip_bfloat162Li32ELi14ELi5ELb0EEvPKT_PKfPKiPfiiiiiiiiiiiiiiii
; %bb.0:
	s_add_u32 s8, s0, 0x60
	s_addc_u32 s9, s1, 0
	s_getpc_b64 s[0:1]
	s_add_u32 s0, s0, __FUNCTION__._ZL9mul_mat_fIfLi32ELi14ELi1ELb1EEvPKT_PKfPKiPfiiiiiiiiiiiiiiii@rel32@lo+4
	s_addc_u32 s1, s1, __FUNCTION__._ZL9mul_mat_fIfLi32ELi14ELi1ELb1EEvPKT_PKfPKiPfiiiiiiiiiiiiiiii@rel32@hi+12
	v_mov_b32_e32 v0, 64
	v_mov_b32_e32 v1, s0
	;; [unrolled: 1-line block ×3, first 2 shown]
	s_mov_b32 s32, 0
	s_getpc_b64 s[2:3]
	s_add_u32 s2, s2, _ZL14no_device_codePKciS0_iS0_@rel32@lo+4
	s_addc_u32 s3, s3, _ZL14no_device_codePKciS0_iS0_@rel32@hi+12
	s_swappc_b64 s[30:31], s[2:3]
	.section	.rodata,"a",@progbits
	.p2align	6, 0x0
	.amdhsa_kernel _ZL9mul_mat_fI15__hip_bfloat162Li32ELi14ELi5ELb0EEvPKT_PKfPKiPfiiiiiiiiiiiiiiii
		.amdhsa_group_segment_fixed_size 0
		.amdhsa_private_segment_fixed_size 16
		.amdhsa_kernarg_size 352
		.amdhsa_user_sgpr_count 2
		.amdhsa_user_sgpr_dispatch_ptr 0
		.amdhsa_user_sgpr_queue_ptr 0
		.amdhsa_user_sgpr_kernarg_segment_ptr 1
		.amdhsa_user_sgpr_dispatch_id 0
		.amdhsa_user_sgpr_kernarg_preload_length 0
		.amdhsa_user_sgpr_kernarg_preload_offset 0
		.amdhsa_user_sgpr_private_segment_size 0
		.amdhsa_uses_dynamic_stack 0
		.amdhsa_enable_private_segment 1
		.amdhsa_system_sgpr_workgroup_id_x 1
		.amdhsa_system_sgpr_workgroup_id_y 0
		.amdhsa_system_sgpr_workgroup_id_z 0
		.amdhsa_system_sgpr_workgroup_info 0
		.amdhsa_system_vgpr_workitem_id 0
		.amdhsa_next_free_vgpr 41
		.amdhsa_next_free_sgpr 34
		.amdhsa_accum_offset 44
		.amdhsa_reserve_vcc 1
		.amdhsa_float_round_mode_32 0
		.amdhsa_float_round_mode_16_64 0
		.amdhsa_float_denorm_mode_32 3
		.amdhsa_float_denorm_mode_16_64 3
		.amdhsa_dx10_clamp 1
		.amdhsa_ieee_mode 1
		.amdhsa_fp16_overflow 0
		.amdhsa_tg_split 0
		.amdhsa_exception_fp_ieee_invalid_op 0
		.amdhsa_exception_fp_denorm_src 0
		.amdhsa_exception_fp_ieee_div_zero 0
		.amdhsa_exception_fp_ieee_overflow 0
		.amdhsa_exception_fp_ieee_underflow 0
		.amdhsa_exception_fp_ieee_inexact 0
		.amdhsa_exception_int_div_zero 0
	.end_amdhsa_kernel
	.section	.text._ZL9mul_mat_fI15__hip_bfloat162Li32ELi14ELi5ELb0EEvPKT_PKfPKiPfiiiiiiiiiiiiiiii,"axG",@progbits,_ZL9mul_mat_fI15__hip_bfloat162Li32ELi14ELi5ELb0EEvPKT_PKfPKiPfiiiiiiiiiiiiiiii,comdat
.Lfunc_end65:
	.size	_ZL9mul_mat_fI15__hip_bfloat162Li32ELi14ELi5ELb0EEvPKT_PKfPKiPfiiiiiiiiiiiiiiii, .Lfunc_end65-_ZL9mul_mat_fI15__hip_bfloat162Li32ELi14ELi5ELb0EEvPKT_PKfPKiPfiiiiiiiiiiiiiiii
                                        ; -- End function
	.section	.AMDGPU.csdata,"",@progbits
; Kernel info:
; codeLenInByte = 72
; NumSgprs: 40
; NumVgprs: 41
; NumAgprs: 0
; TotalNumVgprs: 41
; ScratchSize: 16
; MemoryBound: 0
; FloatMode: 240
; IeeeMode: 1
; LDSByteSize: 0 bytes/workgroup (compile time only)
; SGPRBlocks: 4
; VGPRBlocks: 5
; NumSGPRsForWavesPerEU: 40
; NumVGPRsForWavesPerEU: 41
; AccumOffset: 44
; Occupancy: 8
; WaveLimiterHint : 1
; COMPUTE_PGM_RSRC2:SCRATCH_EN: 1
; COMPUTE_PGM_RSRC2:USER_SGPR: 2
; COMPUTE_PGM_RSRC2:TRAP_HANDLER: 0
; COMPUTE_PGM_RSRC2:TGID_X_EN: 1
; COMPUTE_PGM_RSRC2:TGID_Y_EN: 0
; COMPUTE_PGM_RSRC2:TGID_Z_EN: 0
; COMPUTE_PGM_RSRC2:TIDIG_COMP_CNT: 0
; COMPUTE_PGM_RSRC3_GFX90A:ACCUM_OFFSET: 10
; COMPUTE_PGM_RSRC3_GFX90A:TG_SPLIT: 0
	.section	.text._ZL13mul_mat_f_idsI15__hip_bfloat162Li32ELi14ELi6EEvPKT_PKfPKiS7_S7_Pfiiiiiiiiiiiiii15HIP_vector_typeIjLj3EESA_,"axG",@progbits,_ZL13mul_mat_f_idsI15__hip_bfloat162Li32ELi14ELi6EEvPKT_PKfPKiS7_S7_Pfiiiiiiiiiiiiii15HIP_vector_typeIjLj3EESA_,comdat
	.globl	_ZL13mul_mat_f_idsI15__hip_bfloat162Li32ELi14ELi6EEvPKT_PKfPKiS7_S7_Pfiiiiiiiiiiiiii15HIP_vector_typeIjLj3EESA_ ; -- Begin function _ZL13mul_mat_f_idsI15__hip_bfloat162Li32ELi14ELi6EEvPKT_PKfPKiS7_S7_Pfiiiiiiiiiiiiii15HIP_vector_typeIjLj3EESA_
	.p2align	8
	.type	_ZL13mul_mat_f_idsI15__hip_bfloat162Li32ELi14ELi6EEvPKT_PKfPKiS7_S7_Pfiiiiiiiiiiiiii15HIP_vector_typeIjLj3EESA_,@function
_ZL13mul_mat_f_idsI15__hip_bfloat162Li32ELi14ELi6EEvPKT_PKfPKiS7_S7_Pfiiiiiiiiiiiiii15HIP_vector_typeIjLj3EESA_: ; @_ZL13mul_mat_f_idsI15__hip_bfloat162Li32ELi14ELi6EEvPKT_PKfPKiS7_S7_Pfiiiiiiiiiiiiii15HIP_vector_typeIjLj3EESA_
; %bb.0:
	s_add_u32 s8, s0, 0x80
	s_addc_u32 s9, s1, 0
	s_getpc_b64 s[0:1]
	s_add_u32 s0, s0, __FUNCTION__._ZL13mul_mat_f_idsIfLi32ELi14ELi1EEvPKT_PKfPKiS6_S6_Pfiiiiiiiiiiiiii15HIP_vector_typeIjLj3EES9_@rel32@lo+4
	s_addc_u32 s1, s1, __FUNCTION__._ZL13mul_mat_f_idsIfLi32ELi14ELi1EEvPKT_PKfPKiS6_S6_Pfiiiiiiiiiiiiii15HIP_vector_typeIjLj3EES9_@rel32@hi+12
	v_mov_b32_e32 v0, 0x13b
	v_mov_b32_e32 v1, s0
	;; [unrolled: 1-line block ×3, first 2 shown]
	s_mov_b32 s32, 0
	s_getpc_b64 s[2:3]
	s_add_u32 s2, s2, _ZL14no_device_codePKciS0_iS0_@rel32@lo+4
	s_addc_u32 s3, s3, _ZL14no_device_codePKciS0_iS0_@rel32@hi+12
	s_swappc_b64 s[30:31], s[2:3]
	.section	.rodata,"a",@progbits
	.p2align	6, 0x0
	.amdhsa_kernel _ZL13mul_mat_f_idsI15__hip_bfloat162Li32ELi14ELi6EEvPKT_PKfPKiS7_S7_Pfiiiiiiiiiiiiii15HIP_vector_typeIjLj3EESA_
		.amdhsa_group_segment_fixed_size 0
		.amdhsa_private_segment_fixed_size 16
		.amdhsa_kernarg_size 384
		.amdhsa_user_sgpr_count 2
		.amdhsa_user_sgpr_dispatch_ptr 0
		.amdhsa_user_sgpr_queue_ptr 0
		.amdhsa_user_sgpr_kernarg_segment_ptr 1
		.amdhsa_user_sgpr_dispatch_id 0
		.amdhsa_user_sgpr_kernarg_preload_length 0
		.amdhsa_user_sgpr_kernarg_preload_offset 0
		.amdhsa_user_sgpr_private_segment_size 0
		.amdhsa_uses_dynamic_stack 0
		.amdhsa_enable_private_segment 1
		.amdhsa_system_sgpr_workgroup_id_x 1
		.amdhsa_system_sgpr_workgroup_id_y 0
		.amdhsa_system_sgpr_workgroup_id_z 0
		.amdhsa_system_sgpr_workgroup_info 0
		.amdhsa_system_vgpr_workitem_id 0
		.amdhsa_next_free_vgpr 41
		.amdhsa_next_free_sgpr 34
		.amdhsa_accum_offset 44
		.amdhsa_reserve_vcc 1
		.amdhsa_float_round_mode_32 0
		.amdhsa_float_round_mode_16_64 0
		.amdhsa_float_denorm_mode_32 3
		.amdhsa_float_denorm_mode_16_64 3
		.amdhsa_dx10_clamp 1
		.amdhsa_ieee_mode 1
		.amdhsa_fp16_overflow 0
		.amdhsa_tg_split 0
		.amdhsa_exception_fp_ieee_invalid_op 0
		.amdhsa_exception_fp_denorm_src 0
		.amdhsa_exception_fp_ieee_div_zero 0
		.amdhsa_exception_fp_ieee_overflow 0
		.amdhsa_exception_fp_ieee_underflow 0
		.amdhsa_exception_fp_ieee_inexact 0
		.amdhsa_exception_int_div_zero 0
	.end_amdhsa_kernel
	.section	.text._ZL13mul_mat_f_idsI15__hip_bfloat162Li32ELi14ELi6EEvPKT_PKfPKiS7_S7_Pfiiiiiiiiiiiiii15HIP_vector_typeIjLj3EESA_,"axG",@progbits,_ZL13mul_mat_f_idsI15__hip_bfloat162Li32ELi14ELi6EEvPKT_PKfPKiS7_S7_Pfiiiiiiiiiiiiii15HIP_vector_typeIjLj3EESA_,comdat
.Lfunc_end66:
	.size	_ZL13mul_mat_f_idsI15__hip_bfloat162Li32ELi14ELi6EEvPKT_PKfPKiS7_S7_Pfiiiiiiiiiiiiii15HIP_vector_typeIjLj3EESA_, .Lfunc_end66-_ZL13mul_mat_f_idsI15__hip_bfloat162Li32ELi14ELi6EEvPKT_PKfPKiS7_S7_Pfiiiiiiiiiiiiii15HIP_vector_typeIjLj3EESA_
                                        ; -- End function
	.section	.AMDGPU.csdata,"",@progbits
; Kernel info:
; codeLenInByte = 76
; NumSgprs: 40
; NumVgprs: 41
; NumAgprs: 0
; TotalNumVgprs: 41
; ScratchSize: 16
; MemoryBound: 0
; FloatMode: 240
; IeeeMode: 1
; LDSByteSize: 0 bytes/workgroup (compile time only)
; SGPRBlocks: 4
; VGPRBlocks: 5
; NumSGPRsForWavesPerEU: 40
; NumVGPRsForWavesPerEU: 41
; AccumOffset: 44
; Occupancy: 8
; WaveLimiterHint : 1
; COMPUTE_PGM_RSRC2:SCRATCH_EN: 1
; COMPUTE_PGM_RSRC2:USER_SGPR: 2
; COMPUTE_PGM_RSRC2:TRAP_HANDLER: 0
; COMPUTE_PGM_RSRC2:TGID_X_EN: 1
; COMPUTE_PGM_RSRC2:TGID_Y_EN: 0
; COMPUTE_PGM_RSRC2:TGID_Z_EN: 0
; COMPUTE_PGM_RSRC2:TIDIG_COMP_CNT: 0
; COMPUTE_PGM_RSRC3_GFX90A:ACCUM_OFFSET: 10
; COMPUTE_PGM_RSRC3_GFX90A:TG_SPLIT: 0
	.section	.text._ZL9mul_mat_fI15__hip_bfloat162Li32ELi14ELi6ELb1EEvPKT_PKfPKiPfiiiiiiiiiiiiiiii,"axG",@progbits,_ZL9mul_mat_fI15__hip_bfloat162Li32ELi14ELi6ELb1EEvPKT_PKfPKiPfiiiiiiiiiiiiiiii,comdat
	.globl	_ZL9mul_mat_fI15__hip_bfloat162Li32ELi14ELi6ELb1EEvPKT_PKfPKiPfiiiiiiiiiiiiiiii ; -- Begin function _ZL9mul_mat_fI15__hip_bfloat162Li32ELi14ELi6ELb1EEvPKT_PKfPKiPfiiiiiiiiiiiiiiii
	.p2align	8
	.type	_ZL9mul_mat_fI15__hip_bfloat162Li32ELi14ELi6ELb1EEvPKT_PKfPKiPfiiiiiiiiiiiiiiii,@function
_ZL9mul_mat_fI15__hip_bfloat162Li32ELi14ELi6ELb1EEvPKT_PKfPKiPfiiiiiiiiiiiiiiii: ; @_ZL9mul_mat_fI15__hip_bfloat162Li32ELi14ELi6ELb1EEvPKT_PKfPKiPfiiiiiiiiiiiiiiii
; %bb.0:
	s_add_u32 s8, s0, 0x60
	s_addc_u32 s9, s1, 0
	s_getpc_b64 s[0:1]
	s_add_u32 s0, s0, __FUNCTION__._ZL9mul_mat_fIfLi32ELi14ELi1ELb1EEvPKT_PKfPKiPfiiiiiiiiiiiiiiii@rel32@lo+4
	s_addc_u32 s1, s1, __FUNCTION__._ZL9mul_mat_fIfLi32ELi14ELi1ELb1EEvPKT_PKfPKiPfiiiiiiiiiiiiiiii@rel32@hi+12
	v_mov_b32_e32 v0, 64
	v_mov_b32_e32 v1, s0
	;; [unrolled: 1-line block ×3, first 2 shown]
	s_mov_b32 s32, 0
	s_getpc_b64 s[2:3]
	s_add_u32 s2, s2, _ZL14no_device_codePKciS0_iS0_@rel32@lo+4
	s_addc_u32 s3, s3, _ZL14no_device_codePKciS0_iS0_@rel32@hi+12
	s_swappc_b64 s[30:31], s[2:3]
	.section	.rodata,"a",@progbits
	.p2align	6, 0x0
	.amdhsa_kernel _ZL9mul_mat_fI15__hip_bfloat162Li32ELi14ELi6ELb1EEvPKT_PKfPKiPfiiiiiiiiiiiiiiii
		.amdhsa_group_segment_fixed_size 0
		.amdhsa_private_segment_fixed_size 16
		.amdhsa_kernarg_size 352
		.amdhsa_user_sgpr_count 2
		.amdhsa_user_sgpr_dispatch_ptr 0
		.amdhsa_user_sgpr_queue_ptr 0
		.amdhsa_user_sgpr_kernarg_segment_ptr 1
		.amdhsa_user_sgpr_dispatch_id 0
		.amdhsa_user_sgpr_kernarg_preload_length 0
		.amdhsa_user_sgpr_kernarg_preload_offset 0
		.amdhsa_user_sgpr_private_segment_size 0
		.amdhsa_uses_dynamic_stack 0
		.amdhsa_enable_private_segment 1
		.amdhsa_system_sgpr_workgroup_id_x 1
		.amdhsa_system_sgpr_workgroup_id_y 0
		.amdhsa_system_sgpr_workgroup_id_z 0
		.amdhsa_system_sgpr_workgroup_info 0
		.amdhsa_system_vgpr_workitem_id 0
		.amdhsa_next_free_vgpr 41
		.amdhsa_next_free_sgpr 34
		.amdhsa_accum_offset 44
		.amdhsa_reserve_vcc 1
		.amdhsa_float_round_mode_32 0
		.amdhsa_float_round_mode_16_64 0
		.amdhsa_float_denorm_mode_32 3
		.amdhsa_float_denorm_mode_16_64 3
		.amdhsa_dx10_clamp 1
		.amdhsa_ieee_mode 1
		.amdhsa_fp16_overflow 0
		.amdhsa_tg_split 0
		.amdhsa_exception_fp_ieee_invalid_op 0
		.amdhsa_exception_fp_denorm_src 0
		.amdhsa_exception_fp_ieee_div_zero 0
		.amdhsa_exception_fp_ieee_overflow 0
		.amdhsa_exception_fp_ieee_underflow 0
		.amdhsa_exception_fp_ieee_inexact 0
		.amdhsa_exception_int_div_zero 0
	.end_amdhsa_kernel
	.section	.text._ZL9mul_mat_fI15__hip_bfloat162Li32ELi14ELi6ELb1EEvPKT_PKfPKiPfiiiiiiiiiiiiiiii,"axG",@progbits,_ZL9mul_mat_fI15__hip_bfloat162Li32ELi14ELi6ELb1EEvPKT_PKfPKiPfiiiiiiiiiiiiiiii,comdat
.Lfunc_end67:
	.size	_ZL9mul_mat_fI15__hip_bfloat162Li32ELi14ELi6ELb1EEvPKT_PKfPKiPfiiiiiiiiiiiiiiii, .Lfunc_end67-_ZL9mul_mat_fI15__hip_bfloat162Li32ELi14ELi6ELb1EEvPKT_PKfPKiPfiiiiiiiiiiiiiiii
                                        ; -- End function
	.section	.AMDGPU.csdata,"",@progbits
; Kernel info:
; codeLenInByte = 72
; NumSgprs: 40
; NumVgprs: 41
; NumAgprs: 0
; TotalNumVgprs: 41
; ScratchSize: 16
; MemoryBound: 0
; FloatMode: 240
; IeeeMode: 1
; LDSByteSize: 0 bytes/workgroup (compile time only)
; SGPRBlocks: 4
; VGPRBlocks: 5
; NumSGPRsForWavesPerEU: 40
; NumVGPRsForWavesPerEU: 41
; AccumOffset: 44
; Occupancy: 8
; WaveLimiterHint : 1
; COMPUTE_PGM_RSRC2:SCRATCH_EN: 1
; COMPUTE_PGM_RSRC2:USER_SGPR: 2
; COMPUTE_PGM_RSRC2:TRAP_HANDLER: 0
; COMPUTE_PGM_RSRC2:TGID_X_EN: 1
; COMPUTE_PGM_RSRC2:TGID_Y_EN: 0
; COMPUTE_PGM_RSRC2:TGID_Z_EN: 0
; COMPUTE_PGM_RSRC2:TIDIG_COMP_CNT: 0
; COMPUTE_PGM_RSRC3_GFX90A:ACCUM_OFFSET: 10
; COMPUTE_PGM_RSRC3_GFX90A:TG_SPLIT: 0
	.section	.text._ZL9mul_mat_fI15__hip_bfloat162Li32ELi14ELi6ELb0EEvPKT_PKfPKiPfiiiiiiiiiiiiiiii,"axG",@progbits,_ZL9mul_mat_fI15__hip_bfloat162Li32ELi14ELi6ELb0EEvPKT_PKfPKiPfiiiiiiiiiiiiiiii,comdat
	.globl	_ZL9mul_mat_fI15__hip_bfloat162Li32ELi14ELi6ELb0EEvPKT_PKfPKiPfiiiiiiiiiiiiiiii ; -- Begin function _ZL9mul_mat_fI15__hip_bfloat162Li32ELi14ELi6ELb0EEvPKT_PKfPKiPfiiiiiiiiiiiiiiii
	.p2align	8
	.type	_ZL9mul_mat_fI15__hip_bfloat162Li32ELi14ELi6ELb0EEvPKT_PKfPKiPfiiiiiiiiiiiiiiii,@function
_ZL9mul_mat_fI15__hip_bfloat162Li32ELi14ELi6ELb0EEvPKT_PKfPKiPfiiiiiiiiiiiiiiii: ; @_ZL9mul_mat_fI15__hip_bfloat162Li32ELi14ELi6ELb0EEvPKT_PKfPKiPfiiiiiiiiiiiiiiii
; %bb.0:
	s_add_u32 s8, s0, 0x60
	s_addc_u32 s9, s1, 0
	s_getpc_b64 s[0:1]
	s_add_u32 s0, s0, __FUNCTION__._ZL9mul_mat_fIfLi32ELi14ELi1ELb1EEvPKT_PKfPKiPfiiiiiiiiiiiiiiii@rel32@lo+4
	s_addc_u32 s1, s1, __FUNCTION__._ZL9mul_mat_fIfLi32ELi14ELi1ELb1EEvPKT_PKfPKiPfiiiiiiiiiiiiiiii@rel32@hi+12
	v_mov_b32_e32 v0, 64
	v_mov_b32_e32 v1, s0
	;; [unrolled: 1-line block ×3, first 2 shown]
	s_mov_b32 s32, 0
	s_getpc_b64 s[2:3]
	s_add_u32 s2, s2, _ZL14no_device_codePKciS0_iS0_@rel32@lo+4
	s_addc_u32 s3, s3, _ZL14no_device_codePKciS0_iS0_@rel32@hi+12
	s_swappc_b64 s[30:31], s[2:3]
	.section	.rodata,"a",@progbits
	.p2align	6, 0x0
	.amdhsa_kernel _ZL9mul_mat_fI15__hip_bfloat162Li32ELi14ELi6ELb0EEvPKT_PKfPKiPfiiiiiiiiiiiiiiii
		.amdhsa_group_segment_fixed_size 0
		.amdhsa_private_segment_fixed_size 16
		.amdhsa_kernarg_size 352
		.amdhsa_user_sgpr_count 2
		.amdhsa_user_sgpr_dispatch_ptr 0
		.amdhsa_user_sgpr_queue_ptr 0
		.amdhsa_user_sgpr_kernarg_segment_ptr 1
		.amdhsa_user_sgpr_dispatch_id 0
		.amdhsa_user_sgpr_kernarg_preload_length 0
		.amdhsa_user_sgpr_kernarg_preload_offset 0
		.amdhsa_user_sgpr_private_segment_size 0
		.amdhsa_uses_dynamic_stack 0
		.amdhsa_enable_private_segment 1
		.amdhsa_system_sgpr_workgroup_id_x 1
		.amdhsa_system_sgpr_workgroup_id_y 0
		.amdhsa_system_sgpr_workgroup_id_z 0
		.amdhsa_system_sgpr_workgroup_info 0
		.amdhsa_system_vgpr_workitem_id 0
		.amdhsa_next_free_vgpr 41
		.amdhsa_next_free_sgpr 34
		.amdhsa_accum_offset 44
		.amdhsa_reserve_vcc 1
		.amdhsa_float_round_mode_32 0
		.amdhsa_float_round_mode_16_64 0
		.amdhsa_float_denorm_mode_32 3
		.amdhsa_float_denorm_mode_16_64 3
		.amdhsa_dx10_clamp 1
		.amdhsa_ieee_mode 1
		.amdhsa_fp16_overflow 0
		.amdhsa_tg_split 0
		.amdhsa_exception_fp_ieee_invalid_op 0
		.amdhsa_exception_fp_denorm_src 0
		.amdhsa_exception_fp_ieee_div_zero 0
		.amdhsa_exception_fp_ieee_overflow 0
		.amdhsa_exception_fp_ieee_underflow 0
		.amdhsa_exception_fp_ieee_inexact 0
		.amdhsa_exception_int_div_zero 0
	.end_amdhsa_kernel
	.section	.text._ZL9mul_mat_fI15__hip_bfloat162Li32ELi14ELi6ELb0EEvPKT_PKfPKiPfiiiiiiiiiiiiiiii,"axG",@progbits,_ZL9mul_mat_fI15__hip_bfloat162Li32ELi14ELi6ELb0EEvPKT_PKfPKiPfiiiiiiiiiiiiiiii,comdat
.Lfunc_end68:
	.size	_ZL9mul_mat_fI15__hip_bfloat162Li32ELi14ELi6ELb0EEvPKT_PKfPKiPfiiiiiiiiiiiiiiii, .Lfunc_end68-_ZL9mul_mat_fI15__hip_bfloat162Li32ELi14ELi6ELb0EEvPKT_PKfPKiPfiiiiiiiiiiiiiiii
                                        ; -- End function
	.section	.AMDGPU.csdata,"",@progbits
; Kernel info:
; codeLenInByte = 72
; NumSgprs: 40
; NumVgprs: 41
; NumAgprs: 0
; TotalNumVgprs: 41
; ScratchSize: 16
; MemoryBound: 0
; FloatMode: 240
; IeeeMode: 1
; LDSByteSize: 0 bytes/workgroup (compile time only)
; SGPRBlocks: 4
; VGPRBlocks: 5
; NumSGPRsForWavesPerEU: 40
; NumVGPRsForWavesPerEU: 41
; AccumOffset: 44
; Occupancy: 8
; WaveLimiterHint : 1
; COMPUTE_PGM_RSRC2:SCRATCH_EN: 1
; COMPUTE_PGM_RSRC2:USER_SGPR: 2
; COMPUTE_PGM_RSRC2:TRAP_HANDLER: 0
; COMPUTE_PGM_RSRC2:TGID_X_EN: 1
; COMPUTE_PGM_RSRC2:TGID_Y_EN: 0
; COMPUTE_PGM_RSRC2:TGID_Z_EN: 0
; COMPUTE_PGM_RSRC2:TIDIG_COMP_CNT: 0
; COMPUTE_PGM_RSRC3_GFX90A:ACCUM_OFFSET: 10
; COMPUTE_PGM_RSRC3_GFX90A:TG_SPLIT: 0
	.section	.text._ZL13mul_mat_f_idsI15__hip_bfloat162Li32ELi14ELi7EEvPKT_PKfPKiS7_S7_Pfiiiiiiiiiiiiii15HIP_vector_typeIjLj3EESA_,"axG",@progbits,_ZL13mul_mat_f_idsI15__hip_bfloat162Li32ELi14ELi7EEvPKT_PKfPKiS7_S7_Pfiiiiiiiiiiiiii15HIP_vector_typeIjLj3EESA_,comdat
	.globl	_ZL13mul_mat_f_idsI15__hip_bfloat162Li32ELi14ELi7EEvPKT_PKfPKiS7_S7_Pfiiiiiiiiiiiiii15HIP_vector_typeIjLj3EESA_ ; -- Begin function _ZL13mul_mat_f_idsI15__hip_bfloat162Li32ELi14ELi7EEvPKT_PKfPKiS7_S7_Pfiiiiiiiiiiiiii15HIP_vector_typeIjLj3EESA_
	.p2align	8
	.type	_ZL13mul_mat_f_idsI15__hip_bfloat162Li32ELi14ELi7EEvPKT_PKfPKiS7_S7_Pfiiiiiiiiiiiiii15HIP_vector_typeIjLj3EESA_,@function
_ZL13mul_mat_f_idsI15__hip_bfloat162Li32ELi14ELi7EEvPKT_PKfPKiS7_S7_Pfiiiiiiiiiiiiii15HIP_vector_typeIjLj3EESA_: ; @_ZL13mul_mat_f_idsI15__hip_bfloat162Li32ELi14ELi7EEvPKT_PKfPKiS7_S7_Pfiiiiiiiiiiiiii15HIP_vector_typeIjLj3EESA_
; %bb.0:
	s_add_u32 s8, s0, 0x80
	s_addc_u32 s9, s1, 0
	s_getpc_b64 s[0:1]
	s_add_u32 s0, s0, __FUNCTION__._ZL13mul_mat_f_idsIfLi32ELi14ELi1EEvPKT_PKfPKiS6_S6_Pfiiiiiiiiiiiiii15HIP_vector_typeIjLj3EES9_@rel32@lo+4
	s_addc_u32 s1, s1, __FUNCTION__._ZL13mul_mat_f_idsIfLi32ELi14ELi1EEvPKT_PKfPKiS6_S6_Pfiiiiiiiiiiiiii15HIP_vector_typeIjLj3EES9_@rel32@hi+12
	v_mov_b32_e32 v0, 0x13b
	v_mov_b32_e32 v1, s0
	;; [unrolled: 1-line block ×3, first 2 shown]
	s_mov_b32 s32, 0
	s_getpc_b64 s[2:3]
	s_add_u32 s2, s2, _ZL14no_device_codePKciS0_iS0_@rel32@lo+4
	s_addc_u32 s3, s3, _ZL14no_device_codePKciS0_iS0_@rel32@hi+12
	s_swappc_b64 s[30:31], s[2:3]
	.section	.rodata,"a",@progbits
	.p2align	6, 0x0
	.amdhsa_kernel _ZL13mul_mat_f_idsI15__hip_bfloat162Li32ELi14ELi7EEvPKT_PKfPKiS7_S7_Pfiiiiiiiiiiiiii15HIP_vector_typeIjLj3EESA_
		.amdhsa_group_segment_fixed_size 0
		.amdhsa_private_segment_fixed_size 16
		.amdhsa_kernarg_size 384
		.amdhsa_user_sgpr_count 2
		.amdhsa_user_sgpr_dispatch_ptr 0
		.amdhsa_user_sgpr_queue_ptr 0
		.amdhsa_user_sgpr_kernarg_segment_ptr 1
		.amdhsa_user_sgpr_dispatch_id 0
		.amdhsa_user_sgpr_kernarg_preload_length 0
		.amdhsa_user_sgpr_kernarg_preload_offset 0
		.amdhsa_user_sgpr_private_segment_size 0
		.amdhsa_uses_dynamic_stack 0
		.amdhsa_enable_private_segment 1
		.amdhsa_system_sgpr_workgroup_id_x 1
		.amdhsa_system_sgpr_workgroup_id_y 0
		.amdhsa_system_sgpr_workgroup_id_z 0
		.amdhsa_system_sgpr_workgroup_info 0
		.amdhsa_system_vgpr_workitem_id 0
		.amdhsa_next_free_vgpr 41
		.amdhsa_next_free_sgpr 34
		.amdhsa_accum_offset 44
		.amdhsa_reserve_vcc 1
		.amdhsa_float_round_mode_32 0
		.amdhsa_float_round_mode_16_64 0
		.amdhsa_float_denorm_mode_32 3
		.amdhsa_float_denorm_mode_16_64 3
		.amdhsa_dx10_clamp 1
		.amdhsa_ieee_mode 1
		.amdhsa_fp16_overflow 0
		.amdhsa_tg_split 0
		.amdhsa_exception_fp_ieee_invalid_op 0
		.amdhsa_exception_fp_denorm_src 0
		.amdhsa_exception_fp_ieee_div_zero 0
		.amdhsa_exception_fp_ieee_overflow 0
		.amdhsa_exception_fp_ieee_underflow 0
		.amdhsa_exception_fp_ieee_inexact 0
		.amdhsa_exception_int_div_zero 0
	.end_amdhsa_kernel
	.section	.text._ZL13mul_mat_f_idsI15__hip_bfloat162Li32ELi14ELi7EEvPKT_PKfPKiS7_S7_Pfiiiiiiiiiiiiii15HIP_vector_typeIjLj3EESA_,"axG",@progbits,_ZL13mul_mat_f_idsI15__hip_bfloat162Li32ELi14ELi7EEvPKT_PKfPKiS7_S7_Pfiiiiiiiiiiiiii15HIP_vector_typeIjLj3EESA_,comdat
.Lfunc_end69:
	.size	_ZL13mul_mat_f_idsI15__hip_bfloat162Li32ELi14ELi7EEvPKT_PKfPKiS7_S7_Pfiiiiiiiiiiiiii15HIP_vector_typeIjLj3EESA_, .Lfunc_end69-_ZL13mul_mat_f_idsI15__hip_bfloat162Li32ELi14ELi7EEvPKT_PKfPKiS7_S7_Pfiiiiiiiiiiiiii15HIP_vector_typeIjLj3EESA_
                                        ; -- End function
	.section	.AMDGPU.csdata,"",@progbits
; Kernel info:
; codeLenInByte = 76
; NumSgprs: 40
; NumVgprs: 41
; NumAgprs: 0
; TotalNumVgprs: 41
; ScratchSize: 16
; MemoryBound: 0
; FloatMode: 240
; IeeeMode: 1
; LDSByteSize: 0 bytes/workgroup (compile time only)
; SGPRBlocks: 4
; VGPRBlocks: 5
; NumSGPRsForWavesPerEU: 40
; NumVGPRsForWavesPerEU: 41
; AccumOffset: 44
; Occupancy: 7
; WaveLimiterHint : 1
; COMPUTE_PGM_RSRC2:SCRATCH_EN: 1
; COMPUTE_PGM_RSRC2:USER_SGPR: 2
; COMPUTE_PGM_RSRC2:TRAP_HANDLER: 0
; COMPUTE_PGM_RSRC2:TGID_X_EN: 1
; COMPUTE_PGM_RSRC2:TGID_Y_EN: 0
; COMPUTE_PGM_RSRC2:TGID_Z_EN: 0
; COMPUTE_PGM_RSRC2:TIDIG_COMP_CNT: 0
; COMPUTE_PGM_RSRC3_GFX90A:ACCUM_OFFSET: 10
; COMPUTE_PGM_RSRC3_GFX90A:TG_SPLIT: 0
	.section	.text._ZL9mul_mat_fI15__hip_bfloat162Li32ELi14ELi7ELb1EEvPKT_PKfPKiPfiiiiiiiiiiiiiiii,"axG",@progbits,_ZL9mul_mat_fI15__hip_bfloat162Li32ELi14ELi7ELb1EEvPKT_PKfPKiPfiiiiiiiiiiiiiiii,comdat
	.globl	_ZL9mul_mat_fI15__hip_bfloat162Li32ELi14ELi7ELb1EEvPKT_PKfPKiPfiiiiiiiiiiiiiiii ; -- Begin function _ZL9mul_mat_fI15__hip_bfloat162Li32ELi14ELi7ELb1EEvPKT_PKfPKiPfiiiiiiiiiiiiiiii
	.p2align	8
	.type	_ZL9mul_mat_fI15__hip_bfloat162Li32ELi14ELi7ELb1EEvPKT_PKfPKiPfiiiiiiiiiiiiiiii,@function
_ZL9mul_mat_fI15__hip_bfloat162Li32ELi14ELi7ELb1EEvPKT_PKfPKiPfiiiiiiiiiiiiiiii: ; @_ZL9mul_mat_fI15__hip_bfloat162Li32ELi14ELi7ELb1EEvPKT_PKfPKiPfiiiiiiiiiiiiiiii
; %bb.0:
	s_add_u32 s8, s0, 0x60
	s_addc_u32 s9, s1, 0
	s_getpc_b64 s[0:1]
	s_add_u32 s0, s0, __FUNCTION__._ZL9mul_mat_fIfLi32ELi14ELi1ELb1EEvPKT_PKfPKiPfiiiiiiiiiiiiiiii@rel32@lo+4
	s_addc_u32 s1, s1, __FUNCTION__._ZL9mul_mat_fIfLi32ELi14ELi1ELb1EEvPKT_PKfPKiPfiiiiiiiiiiiiiiii@rel32@hi+12
	v_mov_b32_e32 v0, 64
	v_mov_b32_e32 v1, s0
	;; [unrolled: 1-line block ×3, first 2 shown]
	s_mov_b32 s32, 0
	s_getpc_b64 s[2:3]
	s_add_u32 s2, s2, _ZL14no_device_codePKciS0_iS0_@rel32@lo+4
	s_addc_u32 s3, s3, _ZL14no_device_codePKciS0_iS0_@rel32@hi+12
	s_swappc_b64 s[30:31], s[2:3]
	.section	.rodata,"a",@progbits
	.p2align	6, 0x0
	.amdhsa_kernel _ZL9mul_mat_fI15__hip_bfloat162Li32ELi14ELi7ELb1EEvPKT_PKfPKiPfiiiiiiiiiiiiiiii
		.amdhsa_group_segment_fixed_size 0
		.amdhsa_private_segment_fixed_size 16
		.amdhsa_kernarg_size 352
		.amdhsa_user_sgpr_count 2
		.amdhsa_user_sgpr_dispatch_ptr 0
		.amdhsa_user_sgpr_queue_ptr 0
		.amdhsa_user_sgpr_kernarg_segment_ptr 1
		.amdhsa_user_sgpr_dispatch_id 0
		.amdhsa_user_sgpr_kernarg_preload_length 0
		.amdhsa_user_sgpr_kernarg_preload_offset 0
		.amdhsa_user_sgpr_private_segment_size 0
		.amdhsa_uses_dynamic_stack 0
		.amdhsa_enable_private_segment 1
		.amdhsa_system_sgpr_workgroup_id_x 1
		.amdhsa_system_sgpr_workgroup_id_y 0
		.amdhsa_system_sgpr_workgroup_id_z 0
		.amdhsa_system_sgpr_workgroup_info 0
		.amdhsa_system_vgpr_workitem_id 0
		.amdhsa_next_free_vgpr 41
		.amdhsa_next_free_sgpr 34
		.amdhsa_accum_offset 44
		.amdhsa_reserve_vcc 1
		.amdhsa_float_round_mode_32 0
		.amdhsa_float_round_mode_16_64 0
		.amdhsa_float_denorm_mode_32 3
		.amdhsa_float_denorm_mode_16_64 3
		.amdhsa_dx10_clamp 1
		.amdhsa_ieee_mode 1
		.amdhsa_fp16_overflow 0
		.amdhsa_tg_split 0
		.amdhsa_exception_fp_ieee_invalid_op 0
		.amdhsa_exception_fp_denorm_src 0
		.amdhsa_exception_fp_ieee_div_zero 0
		.amdhsa_exception_fp_ieee_overflow 0
		.amdhsa_exception_fp_ieee_underflow 0
		.amdhsa_exception_fp_ieee_inexact 0
		.amdhsa_exception_int_div_zero 0
	.end_amdhsa_kernel
	.section	.text._ZL9mul_mat_fI15__hip_bfloat162Li32ELi14ELi7ELb1EEvPKT_PKfPKiPfiiiiiiiiiiiiiiii,"axG",@progbits,_ZL9mul_mat_fI15__hip_bfloat162Li32ELi14ELi7ELb1EEvPKT_PKfPKiPfiiiiiiiiiiiiiiii,comdat
.Lfunc_end70:
	.size	_ZL9mul_mat_fI15__hip_bfloat162Li32ELi14ELi7ELb1EEvPKT_PKfPKiPfiiiiiiiiiiiiiiii, .Lfunc_end70-_ZL9mul_mat_fI15__hip_bfloat162Li32ELi14ELi7ELb1EEvPKT_PKfPKiPfiiiiiiiiiiiiiiii
                                        ; -- End function
	.section	.AMDGPU.csdata,"",@progbits
; Kernel info:
; codeLenInByte = 72
; NumSgprs: 40
; NumVgprs: 41
; NumAgprs: 0
; TotalNumVgprs: 41
; ScratchSize: 16
; MemoryBound: 0
; FloatMode: 240
; IeeeMode: 1
; LDSByteSize: 0 bytes/workgroup (compile time only)
; SGPRBlocks: 4
; VGPRBlocks: 5
; NumSGPRsForWavesPerEU: 40
; NumVGPRsForWavesPerEU: 41
; AccumOffset: 44
; Occupancy: 7
; WaveLimiterHint : 1
; COMPUTE_PGM_RSRC2:SCRATCH_EN: 1
; COMPUTE_PGM_RSRC2:USER_SGPR: 2
; COMPUTE_PGM_RSRC2:TRAP_HANDLER: 0
; COMPUTE_PGM_RSRC2:TGID_X_EN: 1
; COMPUTE_PGM_RSRC2:TGID_Y_EN: 0
; COMPUTE_PGM_RSRC2:TGID_Z_EN: 0
; COMPUTE_PGM_RSRC2:TIDIG_COMP_CNT: 0
; COMPUTE_PGM_RSRC3_GFX90A:ACCUM_OFFSET: 10
; COMPUTE_PGM_RSRC3_GFX90A:TG_SPLIT: 0
	.section	.text._ZL9mul_mat_fI15__hip_bfloat162Li32ELi14ELi7ELb0EEvPKT_PKfPKiPfiiiiiiiiiiiiiiii,"axG",@progbits,_ZL9mul_mat_fI15__hip_bfloat162Li32ELi14ELi7ELb0EEvPKT_PKfPKiPfiiiiiiiiiiiiiiii,comdat
	.globl	_ZL9mul_mat_fI15__hip_bfloat162Li32ELi14ELi7ELb0EEvPKT_PKfPKiPfiiiiiiiiiiiiiiii ; -- Begin function _ZL9mul_mat_fI15__hip_bfloat162Li32ELi14ELi7ELb0EEvPKT_PKfPKiPfiiiiiiiiiiiiiiii
	.p2align	8
	.type	_ZL9mul_mat_fI15__hip_bfloat162Li32ELi14ELi7ELb0EEvPKT_PKfPKiPfiiiiiiiiiiiiiiii,@function
_ZL9mul_mat_fI15__hip_bfloat162Li32ELi14ELi7ELb0EEvPKT_PKfPKiPfiiiiiiiiiiiiiiii: ; @_ZL9mul_mat_fI15__hip_bfloat162Li32ELi14ELi7ELb0EEvPKT_PKfPKiPfiiiiiiiiiiiiiiii
; %bb.0:
	s_add_u32 s8, s0, 0x60
	s_addc_u32 s9, s1, 0
	s_getpc_b64 s[0:1]
	s_add_u32 s0, s0, __FUNCTION__._ZL9mul_mat_fIfLi32ELi14ELi1ELb1EEvPKT_PKfPKiPfiiiiiiiiiiiiiiii@rel32@lo+4
	s_addc_u32 s1, s1, __FUNCTION__._ZL9mul_mat_fIfLi32ELi14ELi1ELb1EEvPKT_PKfPKiPfiiiiiiiiiiiiiiii@rel32@hi+12
	v_mov_b32_e32 v0, 64
	v_mov_b32_e32 v1, s0
	;; [unrolled: 1-line block ×3, first 2 shown]
	s_mov_b32 s32, 0
	s_getpc_b64 s[2:3]
	s_add_u32 s2, s2, _ZL14no_device_codePKciS0_iS0_@rel32@lo+4
	s_addc_u32 s3, s3, _ZL14no_device_codePKciS0_iS0_@rel32@hi+12
	s_swappc_b64 s[30:31], s[2:3]
	.section	.rodata,"a",@progbits
	.p2align	6, 0x0
	.amdhsa_kernel _ZL9mul_mat_fI15__hip_bfloat162Li32ELi14ELi7ELb0EEvPKT_PKfPKiPfiiiiiiiiiiiiiiii
		.amdhsa_group_segment_fixed_size 0
		.amdhsa_private_segment_fixed_size 16
		.amdhsa_kernarg_size 352
		.amdhsa_user_sgpr_count 2
		.amdhsa_user_sgpr_dispatch_ptr 0
		.amdhsa_user_sgpr_queue_ptr 0
		.amdhsa_user_sgpr_kernarg_segment_ptr 1
		.amdhsa_user_sgpr_dispatch_id 0
		.amdhsa_user_sgpr_kernarg_preload_length 0
		.amdhsa_user_sgpr_kernarg_preload_offset 0
		.amdhsa_user_sgpr_private_segment_size 0
		.amdhsa_uses_dynamic_stack 0
		.amdhsa_enable_private_segment 1
		.amdhsa_system_sgpr_workgroup_id_x 1
		.amdhsa_system_sgpr_workgroup_id_y 0
		.amdhsa_system_sgpr_workgroup_id_z 0
		.amdhsa_system_sgpr_workgroup_info 0
		.amdhsa_system_vgpr_workitem_id 0
		.amdhsa_next_free_vgpr 41
		.amdhsa_next_free_sgpr 34
		.amdhsa_accum_offset 44
		.amdhsa_reserve_vcc 1
		.amdhsa_float_round_mode_32 0
		.amdhsa_float_round_mode_16_64 0
		.amdhsa_float_denorm_mode_32 3
		.amdhsa_float_denorm_mode_16_64 3
		.amdhsa_dx10_clamp 1
		.amdhsa_ieee_mode 1
		.amdhsa_fp16_overflow 0
		.amdhsa_tg_split 0
		.amdhsa_exception_fp_ieee_invalid_op 0
		.amdhsa_exception_fp_denorm_src 0
		.amdhsa_exception_fp_ieee_div_zero 0
		.amdhsa_exception_fp_ieee_overflow 0
		.amdhsa_exception_fp_ieee_underflow 0
		.amdhsa_exception_fp_ieee_inexact 0
		.amdhsa_exception_int_div_zero 0
	.end_amdhsa_kernel
	.section	.text._ZL9mul_mat_fI15__hip_bfloat162Li32ELi14ELi7ELb0EEvPKT_PKfPKiPfiiiiiiiiiiiiiiii,"axG",@progbits,_ZL9mul_mat_fI15__hip_bfloat162Li32ELi14ELi7ELb0EEvPKT_PKfPKiPfiiiiiiiiiiiiiiii,comdat
.Lfunc_end71:
	.size	_ZL9mul_mat_fI15__hip_bfloat162Li32ELi14ELi7ELb0EEvPKT_PKfPKiPfiiiiiiiiiiiiiiii, .Lfunc_end71-_ZL9mul_mat_fI15__hip_bfloat162Li32ELi14ELi7ELb0EEvPKT_PKfPKiPfiiiiiiiiiiiiiiii
                                        ; -- End function
	.section	.AMDGPU.csdata,"",@progbits
; Kernel info:
; codeLenInByte = 72
; NumSgprs: 40
; NumVgprs: 41
; NumAgprs: 0
; TotalNumVgprs: 41
; ScratchSize: 16
; MemoryBound: 0
; FloatMode: 240
; IeeeMode: 1
; LDSByteSize: 0 bytes/workgroup (compile time only)
; SGPRBlocks: 4
; VGPRBlocks: 5
; NumSGPRsForWavesPerEU: 40
; NumVGPRsForWavesPerEU: 41
; AccumOffset: 44
; Occupancy: 7
; WaveLimiterHint : 1
; COMPUTE_PGM_RSRC2:SCRATCH_EN: 1
; COMPUTE_PGM_RSRC2:USER_SGPR: 2
; COMPUTE_PGM_RSRC2:TRAP_HANDLER: 0
; COMPUTE_PGM_RSRC2:TGID_X_EN: 1
; COMPUTE_PGM_RSRC2:TGID_Y_EN: 0
; COMPUTE_PGM_RSRC2:TGID_Z_EN: 0
; COMPUTE_PGM_RSRC2:TIDIG_COMP_CNT: 0
; COMPUTE_PGM_RSRC3_GFX90A:ACCUM_OFFSET: 10
; COMPUTE_PGM_RSRC3_GFX90A:TG_SPLIT: 0
	.section	.text._ZL13mul_mat_f_idsI15__hip_bfloat162Li32ELi14ELi8EEvPKT_PKfPKiS7_S7_Pfiiiiiiiiiiiiii15HIP_vector_typeIjLj3EESA_,"axG",@progbits,_ZL13mul_mat_f_idsI15__hip_bfloat162Li32ELi14ELi8EEvPKT_PKfPKiS7_S7_Pfiiiiiiiiiiiiii15HIP_vector_typeIjLj3EESA_,comdat
	.globl	_ZL13mul_mat_f_idsI15__hip_bfloat162Li32ELi14ELi8EEvPKT_PKfPKiS7_S7_Pfiiiiiiiiiiiiii15HIP_vector_typeIjLj3EESA_ ; -- Begin function _ZL13mul_mat_f_idsI15__hip_bfloat162Li32ELi14ELi8EEvPKT_PKfPKiS7_S7_Pfiiiiiiiiiiiiii15HIP_vector_typeIjLj3EESA_
	.p2align	8
	.type	_ZL13mul_mat_f_idsI15__hip_bfloat162Li32ELi14ELi8EEvPKT_PKfPKiS7_S7_Pfiiiiiiiiiiiiii15HIP_vector_typeIjLj3EESA_,@function
_ZL13mul_mat_f_idsI15__hip_bfloat162Li32ELi14ELi8EEvPKT_PKfPKiS7_S7_Pfiiiiiiiiiiiiii15HIP_vector_typeIjLj3EESA_: ; @_ZL13mul_mat_f_idsI15__hip_bfloat162Li32ELi14ELi8EEvPKT_PKfPKiS7_S7_Pfiiiiiiiiiiiiii15HIP_vector_typeIjLj3EESA_
; %bb.0:
	s_add_u32 s8, s0, 0x80
	s_addc_u32 s9, s1, 0
	s_getpc_b64 s[0:1]
	s_add_u32 s0, s0, __FUNCTION__._ZL13mul_mat_f_idsIfLi32ELi14ELi1EEvPKT_PKfPKiS6_S6_Pfiiiiiiiiiiiiii15HIP_vector_typeIjLj3EES9_@rel32@lo+4
	s_addc_u32 s1, s1, __FUNCTION__._ZL13mul_mat_f_idsIfLi32ELi14ELi1EEvPKT_PKfPKiS6_S6_Pfiiiiiiiiiiiiii15HIP_vector_typeIjLj3EES9_@rel32@hi+12
	v_mov_b32_e32 v0, 0x13b
	v_mov_b32_e32 v1, s0
	;; [unrolled: 1-line block ×3, first 2 shown]
	s_mov_b32 s32, 0
	s_getpc_b64 s[2:3]
	s_add_u32 s2, s2, _ZL14no_device_codePKciS0_iS0_@rel32@lo+4
	s_addc_u32 s3, s3, _ZL14no_device_codePKciS0_iS0_@rel32@hi+12
	s_swappc_b64 s[30:31], s[2:3]
	.section	.rodata,"a",@progbits
	.p2align	6, 0x0
	.amdhsa_kernel _ZL13mul_mat_f_idsI15__hip_bfloat162Li32ELi14ELi8EEvPKT_PKfPKiS7_S7_Pfiiiiiiiiiiiiii15HIP_vector_typeIjLj3EESA_
		.amdhsa_group_segment_fixed_size 0
		.amdhsa_private_segment_fixed_size 16
		.amdhsa_kernarg_size 384
		.amdhsa_user_sgpr_count 2
		.amdhsa_user_sgpr_dispatch_ptr 0
		.amdhsa_user_sgpr_queue_ptr 0
		.amdhsa_user_sgpr_kernarg_segment_ptr 1
		.amdhsa_user_sgpr_dispatch_id 0
		.amdhsa_user_sgpr_kernarg_preload_length 0
		.amdhsa_user_sgpr_kernarg_preload_offset 0
		.amdhsa_user_sgpr_private_segment_size 0
		.amdhsa_uses_dynamic_stack 0
		.amdhsa_enable_private_segment 1
		.amdhsa_system_sgpr_workgroup_id_x 1
		.amdhsa_system_sgpr_workgroup_id_y 0
		.amdhsa_system_sgpr_workgroup_id_z 0
		.amdhsa_system_sgpr_workgroup_info 0
		.amdhsa_system_vgpr_workitem_id 0
		.amdhsa_next_free_vgpr 41
		.amdhsa_next_free_sgpr 34
		.amdhsa_accum_offset 44
		.amdhsa_reserve_vcc 1
		.amdhsa_float_round_mode_32 0
		.amdhsa_float_round_mode_16_64 0
		.amdhsa_float_denorm_mode_32 3
		.amdhsa_float_denorm_mode_16_64 3
		.amdhsa_dx10_clamp 1
		.amdhsa_ieee_mode 1
		.amdhsa_fp16_overflow 0
		.amdhsa_tg_split 0
		.amdhsa_exception_fp_ieee_invalid_op 0
		.amdhsa_exception_fp_denorm_src 0
		.amdhsa_exception_fp_ieee_div_zero 0
		.amdhsa_exception_fp_ieee_overflow 0
		.amdhsa_exception_fp_ieee_underflow 0
		.amdhsa_exception_fp_ieee_inexact 0
		.amdhsa_exception_int_div_zero 0
	.end_amdhsa_kernel
	.section	.text._ZL13mul_mat_f_idsI15__hip_bfloat162Li32ELi14ELi8EEvPKT_PKfPKiS7_S7_Pfiiiiiiiiiiiiii15HIP_vector_typeIjLj3EESA_,"axG",@progbits,_ZL13mul_mat_f_idsI15__hip_bfloat162Li32ELi14ELi8EEvPKT_PKfPKiS7_S7_Pfiiiiiiiiiiiiii15HIP_vector_typeIjLj3EESA_,comdat
.Lfunc_end72:
	.size	_ZL13mul_mat_f_idsI15__hip_bfloat162Li32ELi14ELi8EEvPKT_PKfPKiS7_S7_Pfiiiiiiiiiiiiii15HIP_vector_typeIjLj3EESA_, .Lfunc_end72-_ZL13mul_mat_f_idsI15__hip_bfloat162Li32ELi14ELi8EEvPKT_PKfPKiS7_S7_Pfiiiiiiiiiiiiii15HIP_vector_typeIjLj3EESA_
                                        ; -- End function
	.section	.AMDGPU.csdata,"",@progbits
; Kernel info:
; codeLenInByte = 76
; NumSgprs: 40
; NumVgprs: 41
; NumAgprs: 0
; TotalNumVgprs: 41
; ScratchSize: 16
; MemoryBound: 0
; FloatMode: 240
; IeeeMode: 1
; LDSByteSize: 0 bytes/workgroup (compile time only)
; SGPRBlocks: 4
; VGPRBlocks: 5
; NumSGPRsForWavesPerEU: 40
; NumVGPRsForWavesPerEU: 41
; AccumOffset: 44
; Occupancy: 8
; WaveLimiterHint : 1
; COMPUTE_PGM_RSRC2:SCRATCH_EN: 1
; COMPUTE_PGM_RSRC2:USER_SGPR: 2
; COMPUTE_PGM_RSRC2:TRAP_HANDLER: 0
; COMPUTE_PGM_RSRC2:TGID_X_EN: 1
; COMPUTE_PGM_RSRC2:TGID_Y_EN: 0
; COMPUTE_PGM_RSRC2:TGID_Z_EN: 0
; COMPUTE_PGM_RSRC2:TIDIG_COMP_CNT: 0
; COMPUTE_PGM_RSRC3_GFX90A:ACCUM_OFFSET: 10
; COMPUTE_PGM_RSRC3_GFX90A:TG_SPLIT: 0
	.section	.text._ZL9mul_mat_fI15__hip_bfloat162Li32ELi14ELi8ELb1EEvPKT_PKfPKiPfiiiiiiiiiiiiiiii,"axG",@progbits,_ZL9mul_mat_fI15__hip_bfloat162Li32ELi14ELi8ELb1EEvPKT_PKfPKiPfiiiiiiiiiiiiiiii,comdat
	.globl	_ZL9mul_mat_fI15__hip_bfloat162Li32ELi14ELi8ELb1EEvPKT_PKfPKiPfiiiiiiiiiiiiiiii ; -- Begin function _ZL9mul_mat_fI15__hip_bfloat162Li32ELi14ELi8ELb1EEvPKT_PKfPKiPfiiiiiiiiiiiiiiii
	.p2align	8
	.type	_ZL9mul_mat_fI15__hip_bfloat162Li32ELi14ELi8ELb1EEvPKT_PKfPKiPfiiiiiiiiiiiiiiii,@function
_ZL9mul_mat_fI15__hip_bfloat162Li32ELi14ELi8ELb1EEvPKT_PKfPKiPfiiiiiiiiiiiiiiii: ; @_ZL9mul_mat_fI15__hip_bfloat162Li32ELi14ELi8ELb1EEvPKT_PKfPKiPfiiiiiiiiiiiiiiii
; %bb.0:
	s_add_u32 s8, s0, 0x60
	s_addc_u32 s9, s1, 0
	s_getpc_b64 s[0:1]
	s_add_u32 s0, s0, __FUNCTION__._ZL9mul_mat_fIfLi32ELi14ELi1ELb1EEvPKT_PKfPKiPfiiiiiiiiiiiiiiii@rel32@lo+4
	s_addc_u32 s1, s1, __FUNCTION__._ZL9mul_mat_fIfLi32ELi14ELi1ELb1EEvPKT_PKfPKiPfiiiiiiiiiiiiiiii@rel32@hi+12
	v_mov_b32_e32 v0, 64
	v_mov_b32_e32 v1, s0
	;; [unrolled: 1-line block ×3, first 2 shown]
	s_mov_b32 s32, 0
	s_getpc_b64 s[2:3]
	s_add_u32 s2, s2, _ZL14no_device_codePKciS0_iS0_@rel32@lo+4
	s_addc_u32 s3, s3, _ZL14no_device_codePKciS0_iS0_@rel32@hi+12
	s_swappc_b64 s[30:31], s[2:3]
	.section	.rodata,"a",@progbits
	.p2align	6, 0x0
	.amdhsa_kernel _ZL9mul_mat_fI15__hip_bfloat162Li32ELi14ELi8ELb1EEvPKT_PKfPKiPfiiiiiiiiiiiiiiii
		.amdhsa_group_segment_fixed_size 0
		.amdhsa_private_segment_fixed_size 16
		.amdhsa_kernarg_size 352
		.amdhsa_user_sgpr_count 2
		.amdhsa_user_sgpr_dispatch_ptr 0
		.amdhsa_user_sgpr_queue_ptr 0
		.amdhsa_user_sgpr_kernarg_segment_ptr 1
		.amdhsa_user_sgpr_dispatch_id 0
		.amdhsa_user_sgpr_kernarg_preload_length 0
		.amdhsa_user_sgpr_kernarg_preload_offset 0
		.amdhsa_user_sgpr_private_segment_size 0
		.amdhsa_uses_dynamic_stack 0
		.amdhsa_enable_private_segment 1
		.amdhsa_system_sgpr_workgroup_id_x 1
		.amdhsa_system_sgpr_workgroup_id_y 0
		.amdhsa_system_sgpr_workgroup_id_z 0
		.amdhsa_system_sgpr_workgroup_info 0
		.amdhsa_system_vgpr_workitem_id 0
		.amdhsa_next_free_vgpr 41
		.amdhsa_next_free_sgpr 34
		.amdhsa_accum_offset 44
		.amdhsa_reserve_vcc 1
		.amdhsa_float_round_mode_32 0
		.amdhsa_float_round_mode_16_64 0
		.amdhsa_float_denorm_mode_32 3
		.amdhsa_float_denorm_mode_16_64 3
		.amdhsa_dx10_clamp 1
		.amdhsa_ieee_mode 1
		.amdhsa_fp16_overflow 0
		.amdhsa_tg_split 0
		.amdhsa_exception_fp_ieee_invalid_op 0
		.amdhsa_exception_fp_denorm_src 0
		.amdhsa_exception_fp_ieee_div_zero 0
		.amdhsa_exception_fp_ieee_overflow 0
		.amdhsa_exception_fp_ieee_underflow 0
		.amdhsa_exception_fp_ieee_inexact 0
		.amdhsa_exception_int_div_zero 0
	.end_amdhsa_kernel
	.section	.text._ZL9mul_mat_fI15__hip_bfloat162Li32ELi14ELi8ELb1EEvPKT_PKfPKiPfiiiiiiiiiiiiiiii,"axG",@progbits,_ZL9mul_mat_fI15__hip_bfloat162Li32ELi14ELi8ELb1EEvPKT_PKfPKiPfiiiiiiiiiiiiiiii,comdat
.Lfunc_end73:
	.size	_ZL9mul_mat_fI15__hip_bfloat162Li32ELi14ELi8ELb1EEvPKT_PKfPKiPfiiiiiiiiiiiiiiii, .Lfunc_end73-_ZL9mul_mat_fI15__hip_bfloat162Li32ELi14ELi8ELb1EEvPKT_PKfPKiPfiiiiiiiiiiiiiiii
                                        ; -- End function
	.section	.AMDGPU.csdata,"",@progbits
; Kernel info:
; codeLenInByte = 72
; NumSgprs: 40
; NumVgprs: 41
; NumAgprs: 0
; TotalNumVgprs: 41
; ScratchSize: 16
; MemoryBound: 0
; FloatMode: 240
; IeeeMode: 1
; LDSByteSize: 0 bytes/workgroup (compile time only)
; SGPRBlocks: 4
; VGPRBlocks: 5
; NumSGPRsForWavesPerEU: 40
; NumVGPRsForWavesPerEU: 41
; AccumOffset: 44
; Occupancy: 8
; WaveLimiterHint : 1
; COMPUTE_PGM_RSRC2:SCRATCH_EN: 1
; COMPUTE_PGM_RSRC2:USER_SGPR: 2
; COMPUTE_PGM_RSRC2:TRAP_HANDLER: 0
; COMPUTE_PGM_RSRC2:TGID_X_EN: 1
; COMPUTE_PGM_RSRC2:TGID_Y_EN: 0
; COMPUTE_PGM_RSRC2:TGID_Z_EN: 0
; COMPUTE_PGM_RSRC2:TIDIG_COMP_CNT: 0
; COMPUTE_PGM_RSRC3_GFX90A:ACCUM_OFFSET: 10
; COMPUTE_PGM_RSRC3_GFX90A:TG_SPLIT: 0
	.section	.text._ZL9mul_mat_fI15__hip_bfloat162Li32ELi14ELi8ELb0EEvPKT_PKfPKiPfiiiiiiiiiiiiiiii,"axG",@progbits,_ZL9mul_mat_fI15__hip_bfloat162Li32ELi14ELi8ELb0EEvPKT_PKfPKiPfiiiiiiiiiiiiiiii,comdat
	.globl	_ZL9mul_mat_fI15__hip_bfloat162Li32ELi14ELi8ELb0EEvPKT_PKfPKiPfiiiiiiiiiiiiiiii ; -- Begin function _ZL9mul_mat_fI15__hip_bfloat162Li32ELi14ELi8ELb0EEvPKT_PKfPKiPfiiiiiiiiiiiiiiii
	.p2align	8
	.type	_ZL9mul_mat_fI15__hip_bfloat162Li32ELi14ELi8ELb0EEvPKT_PKfPKiPfiiiiiiiiiiiiiiii,@function
_ZL9mul_mat_fI15__hip_bfloat162Li32ELi14ELi8ELb0EEvPKT_PKfPKiPfiiiiiiiiiiiiiiii: ; @_ZL9mul_mat_fI15__hip_bfloat162Li32ELi14ELi8ELb0EEvPKT_PKfPKiPfiiiiiiiiiiiiiiii
; %bb.0:
	s_add_u32 s8, s0, 0x60
	s_addc_u32 s9, s1, 0
	s_getpc_b64 s[0:1]
	s_add_u32 s0, s0, __FUNCTION__._ZL9mul_mat_fIfLi32ELi14ELi1ELb1EEvPKT_PKfPKiPfiiiiiiiiiiiiiiii@rel32@lo+4
	s_addc_u32 s1, s1, __FUNCTION__._ZL9mul_mat_fIfLi32ELi14ELi1ELb1EEvPKT_PKfPKiPfiiiiiiiiiiiiiiii@rel32@hi+12
	v_mov_b32_e32 v0, 64
	v_mov_b32_e32 v1, s0
	;; [unrolled: 1-line block ×3, first 2 shown]
	s_mov_b32 s32, 0
	s_getpc_b64 s[2:3]
	s_add_u32 s2, s2, _ZL14no_device_codePKciS0_iS0_@rel32@lo+4
	s_addc_u32 s3, s3, _ZL14no_device_codePKciS0_iS0_@rel32@hi+12
	s_swappc_b64 s[30:31], s[2:3]
	.section	.rodata,"a",@progbits
	.p2align	6, 0x0
	.amdhsa_kernel _ZL9mul_mat_fI15__hip_bfloat162Li32ELi14ELi8ELb0EEvPKT_PKfPKiPfiiiiiiiiiiiiiiii
		.amdhsa_group_segment_fixed_size 0
		.amdhsa_private_segment_fixed_size 16
		.amdhsa_kernarg_size 352
		.amdhsa_user_sgpr_count 2
		.amdhsa_user_sgpr_dispatch_ptr 0
		.amdhsa_user_sgpr_queue_ptr 0
		.amdhsa_user_sgpr_kernarg_segment_ptr 1
		.amdhsa_user_sgpr_dispatch_id 0
		.amdhsa_user_sgpr_kernarg_preload_length 0
		.amdhsa_user_sgpr_kernarg_preload_offset 0
		.amdhsa_user_sgpr_private_segment_size 0
		.amdhsa_uses_dynamic_stack 0
		.amdhsa_enable_private_segment 1
		.amdhsa_system_sgpr_workgroup_id_x 1
		.amdhsa_system_sgpr_workgroup_id_y 0
		.amdhsa_system_sgpr_workgroup_id_z 0
		.amdhsa_system_sgpr_workgroup_info 0
		.amdhsa_system_vgpr_workitem_id 0
		.amdhsa_next_free_vgpr 41
		.amdhsa_next_free_sgpr 34
		.amdhsa_accum_offset 44
		.amdhsa_reserve_vcc 1
		.amdhsa_float_round_mode_32 0
		.amdhsa_float_round_mode_16_64 0
		.amdhsa_float_denorm_mode_32 3
		.amdhsa_float_denorm_mode_16_64 3
		.amdhsa_dx10_clamp 1
		.amdhsa_ieee_mode 1
		.amdhsa_fp16_overflow 0
		.amdhsa_tg_split 0
		.amdhsa_exception_fp_ieee_invalid_op 0
		.amdhsa_exception_fp_denorm_src 0
		.amdhsa_exception_fp_ieee_div_zero 0
		.amdhsa_exception_fp_ieee_overflow 0
		.amdhsa_exception_fp_ieee_underflow 0
		.amdhsa_exception_fp_ieee_inexact 0
		.amdhsa_exception_int_div_zero 0
	.end_amdhsa_kernel
	.section	.text._ZL9mul_mat_fI15__hip_bfloat162Li32ELi14ELi8ELb0EEvPKT_PKfPKiPfiiiiiiiiiiiiiiii,"axG",@progbits,_ZL9mul_mat_fI15__hip_bfloat162Li32ELi14ELi8ELb0EEvPKT_PKfPKiPfiiiiiiiiiiiiiiii,comdat
.Lfunc_end74:
	.size	_ZL9mul_mat_fI15__hip_bfloat162Li32ELi14ELi8ELb0EEvPKT_PKfPKiPfiiiiiiiiiiiiiiii, .Lfunc_end74-_ZL9mul_mat_fI15__hip_bfloat162Li32ELi14ELi8ELb0EEvPKT_PKfPKiPfiiiiiiiiiiiiiiii
                                        ; -- End function
	.section	.AMDGPU.csdata,"",@progbits
; Kernel info:
; codeLenInByte = 72
; NumSgprs: 40
; NumVgprs: 41
; NumAgprs: 0
; TotalNumVgprs: 41
; ScratchSize: 16
; MemoryBound: 0
; FloatMode: 240
; IeeeMode: 1
; LDSByteSize: 0 bytes/workgroup (compile time only)
; SGPRBlocks: 4
; VGPRBlocks: 5
; NumSGPRsForWavesPerEU: 40
; NumVGPRsForWavesPerEU: 41
; AccumOffset: 44
; Occupancy: 8
; WaveLimiterHint : 1
; COMPUTE_PGM_RSRC2:SCRATCH_EN: 1
; COMPUTE_PGM_RSRC2:USER_SGPR: 2
; COMPUTE_PGM_RSRC2:TRAP_HANDLER: 0
; COMPUTE_PGM_RSRC2:TGID_X_EN: 1
; COMPUTE_PGM_RSRC2:TGID_Y_EN: 0
; COMPUTE_PGM_RSRC2:TGID_Z_EN: 0
; COMPUTE_PGM_RSRC2:TIDIG_COMP_CNT: 0
; COMPUTE_PGM_RSRC3_GFX90A:ACCUM_OFFSET: 10
; COMPUTE_PGM_RSRC3_GFX90A:TG_SPLIT: 0
	.section	.text._ZL13mul_mat_f_idsIfLi64ELi14ELi1EEvPKT_PKfPKiS6_S6_Pfiiiiiiiiiiiiii15HIP_vector_typeIjLj3EES9_,"axG",@progbits,_ZL13mul_mat_f_idsIfLi64ELi14ELi1EEvPKT_PKfPKiS6_S6_Pfiiiiiiiiiiiiii15HIP_vector_typeIjLj3EES9_,comdat
	.globl	_ZL13mul_mat_f_idsIfLi64ELi14ELi1EEvPKT_PKfPKiS6_S6_Pfiiiiiiiiiiiiii15HIP_vector_typeIjLj3EES9_ ; -- Begin function _ZL13mul_mat_f_idsIfLi64ELi14ELi1EEvPKT_PKfPKiS6_S6_Pfiiiiiiiiiiiiii15HIP_vector_typeIjLj3EES9_
	.p2align	8
	.type	_ZL13mul_mat_f_idsIfLi64ELi14ELi1EEvPKT_PKfPKiS6_S6_Pfiiiiiiiiiiiiii15HIP_vector_typeIjLj3EES9_,@function
_ZL13mul_mat_f_idsIfLi64ELi14ELi1EEvPKT_PKfPKiS6_S6_Pfiiiiiiiiiiiiii15HIP_vector_typeIjLj3EES9_: ; @_ZL13mul_mat_f_idsIfLi64ELi14ELi1EEvPKT_PKfPKiS6_S6_Pfiiiiiiiiiiiiii15HIP_vector_typeIjLj3EES9_
; %bb.0:
	s_load_dwordx2 s[6:7], s[0:1], 0x20
	s_mov_b32 s34, s3
	s_ashr_i32 s35, s3, 31
	s_lshl_b64 s[8:9], s[34:35], 2
	s_waitcnt lgkmcnt(0)
	s_add_u32 s6, s6, s8
	s_addc_u32 s7, s7, s9
	s_load_dwordx2 s[26:27], s[6:7], 0x0
	s_waitcnt lgkmcnt(0)
	s_sub_i32 s33, s27, s26
	s_add_i32 s3, s33, 13
	s_mul_hi_i32 s5, s3, 0x92492493
	s_add_i32 s5, s5, s3
	s_lshr_b32 s3, s5, 31
	s_ashr_i32 s5, s5, 3
	s_add_i32 s5, s5, s3
	s_cmp_ge_i32 s4, s5
	s_cbranch_scc1 .LBB75_91
; %bb.1:
	v_bfe_u32 v2, v0, 10, 10
	v_lshlrev_b32_e32 v68, 6, v2
	v_and_b32_e32 v3, 0x3ff, v0
	s_load_dwordx4 s[12:15], s[0:1], 0x30
	s_load_dwordx2 s[20:21], s[0:1], 0x40
	s_load_dwordx4 s[8:11], s[0:1], 0x4c
	s_load_dwordx4 s[16:19], s[0:1], 0x68
	s_load_dwordx2 s[24:25], s[0:1], 0x78
	v_or_b32_e32 v70, v68, v3
	s_ashr_i32 s27, s26, 31
	s_waitcnt lgkmcnt(0)
	v_cmp_le_i32_e32 vcc, s12, v70
	v_and_b32_e32 v0, 15, v3
                                        ; implicit-def: $sgpr3
                                        ; implicit-def: $vgpr69
	s_and_saveexec_b64 s[6:7], vcc
	s_xor_b64 s[6:7], exec, s[6:7]
; %bb.2:
	v_mul_u32_u24_e32 v69, 0x108, v0
	s_mov_b32 s3, 0
                                        ; implicit-def: $vgpr70
                                        ; implicit-def: $vgpr0
; %bb.3:
	s_or_saveexec_b64 s[28:29], s[6:7]
	s_load_dwordx2 s[22:23], s[0:1], 0x18
	s_load_dwordx2 s[6:7], s[0:1], 0x28
                                        ; implicit-def: $vgpr90 : SGPR spill to VGPR lane
	s_lshl_b32 s11, s2, 6
	s_mul_i32 s2, s4, 14
	v_accvgpr_write_b32 a0, s3
	v_accvgpr_write_b32 a1, s3
	s_waitcnt lgkmcnt(0)
	v_writelane_b32 v90, s6, 0
	v_accvgpr_write_b32 a2, s3
	v_accvgpr_write_b32 a3, s3
	;; [unrolled: 1-line block ×14, first 2 shown]
	v_writelane_b32 v90, s7, 1
	s_xor_b64 exec, exec, s[28:29]
	s_cbranch_execz .LBB75_49
; %bb.4:
	v_writelane_b32 v90, s28, 2
	s_movk_i32 s3, 0x1080
	v_mad_u32_u24 v5, v2, s3, 0
	v_writelane_b32 v90, s29, 3
	v_writelane_b32 v90, s22, 4
	v_mul_u32_u24_e32 v69, 0x108, v0
	v_lshrrev_b32_e32 v0, 1, v3
	v_writelane_b32 v90, s23, 5
	v_writelane_b32 v90, s24, 6
	s_load_dwordx4 s[4:7], s[0:1], 0x0
	s_load_dwordx2 s[22:23], s[0:1], 0x10
	v_writelane_b32 v90, s25, 7
	s_mul_i32 s0, s34, s8
	s_mul_i32 s24, s11, s15
	s_ashr_i32 s1, s0, 31
	s_ashr_i32 s25, s24, 31
	s_lshl_b64 s[24:25], s[24:25], 2
	s_lshl_b64 s[0:1], s[0:1], 2
	s_add_u32 s24, s0, s24
	v_writelane_b32 v90, s11, 8
	s_addc_u32 s25, s1, s25
	s_waitcnt lgkmcnt(0)
	s_add_u32 s0, s24, s4
	v_writelane_b32 v90, s26, 9
	s_addc_u32 s1, s25, s5
	v_and_b32_e32 v0, 0x1f8, v0
	v_writelane_b32 v90, s27, 10
	s_lshl_b64 s[26:27], s[26:27], 2
	s_add_u32 s8, s22, s26
	s_addc_u32 s11, s23, s27
	s_cmp_lt_i32 s2, s33
	s_cselect_b64 s[34:35], -1, 0
	s_ashr_i32 s3, s2, 31
	s_lshl_b64 s[22:23], s[2:3], 2
	s_add_u32 s36, s8, s22
	s_addc_u32 s37, s11, s23
	s_or_b32 s3, s2, 1
	s_cmp_lt_i32 s3, s33
	s_cselect_b64 s[38:39], -1, 0
	s_add_i32 s3, s2, 2
	s_cmp_lt_i32 s3, s33
	s_cselect_b64 s[40:41], -1, 0
	s_add_i32 s3, s2, 3
	;; [unrolled: 3-line block ×3, first 2 shown]
	v_mov_b32_e32 v1, 0
	v_lshlrev_b32_e32 v4, 2, v3
	v_add3_u32 v72, v5, v69, v0
	s_cmp_lt_i32 s3, s33
	v_lshlrev_b32_e32 v0, 8, v2
	v_add_u32_e32 v71, v5, v4
	s_cselect_b64 s[44:45], -1, 0
	s_add_i32 s3, s2, 5
	v_lshl_add_u64 v[6:7], s[24:25], 0, v[0:1]
	v_mov_b32_e32 v5, v1
	s_cmp_lt_i32 s3, s33
	v_lshl_add_u64 v[0:1], v[6:7], 0, v[4:5]
	s_cselect_b64 s[46:47], -1, 0
	s_add_i32 s3, s2, 6
	v_lshl_add_u64 v[0:1], s[4:5], 0, v[0:1]
	s_mul_i32 s4, s15, 3
	s_cmp_lt_i32 s3, s33
	v_writelane_b32 v90, s4, 11
	s_mul_i32 s4, s15, 5
	s_cselect_b64 s[48:49], -1, 0
	s_add_i32 s3, s2, 7
	v_writelane_b32 v90, s4, 12
	s_mul_i32 s4, s15, 6
	s_cmp_lt_i32 s3, s33
	v_writelane_b32 v90, s4, 13
	s_mul_i32 s4, s15, 7
	s_cselect_b64 s[50:51], -1, 0
	s_add_i32 s3, s2, 8
	v_writelane_b32 v90, s4, 14
	;; [unrolled: 7-line block ×7, first 2 shown]
	s_mul_i32 s4, s15, 20
	s_cmp_lt_i32 s3, s33
	v_writelane_b32 v90, s4, 25
	s_mul_i32 s4, s15, 21
	s_cselect_b64 s[62:63], -1, 0
	s_ashr_i32 s23, s15, 31
	s_mov_b32 s22, s15
	v_writelane_b32 v90, s4, 26
	s_mul_i32 s4, s15, 22
	s_lshl_b64 s[64:65], s[22:23], 2
	s_lshl_b32 s3, s15, 1
	s_lshl_b32 s68, s15, 2
	;; [unrolled: 1-line block ×4, first 2 shown]
	v_writelane_b32 v90, s4, 27
	s_mul_i32 s87, s15, 23
	s_mul_i32 s88, s15, 24
	;; [unrolled: 1-line block ×5, first 2 shown]
	v_mov_b32_e32 v73, 0
	v_accvgpr_write_b32 a15, 0
	v_accvgpr_write_b32 a14, 0
	;; [unrolled: 1-line block ×16, first 2 shown]
	s_mul_i32 s92, s15, 28
	s_mul_i32 s93, s15, 29
	;; [unrolled: 1-line block ×4, first 2 shown]
	s_lshl_b32 s96, s15, 5
	s_mul_i32 s97, s15, 33
	s_mul_i32 s98, s15, 34
	;; [unrolled: 1-line block ×31, first 2 shown]
	s_mov_b64 s[4:5], 0
	s_mov_b64 s[66:67], 0x100
	s_branch .LBB75_6
.LBB75_5:                               ;   in Loop: Header=BB75_6 Depth=1
	s_waitcnt vmcnt(0)
	ds_write2_b32 v71, v74, v76 offset1:66
	ds_write2_b32 v71, v75, v78 offset0:132 offset1:198
	v_add_u32_e32 v74, 0x400, v71
	ds_write2_b32 v74, v77, v80 offset0:8 offset1:74
	ds_write2_b32 v74, v79, v82 offset0:140 offset1:206
	v_add_u32_e32 v74, 0x800, v71
	ds_write2_b32 v74, v81, v84 offset0:16 offset1:82
	;; [unrolled: 3-line block ×3, first 2 shown]
	ds_write2_b32 v74, v73, v73 offset0:156 offset1:222
	ds_read2_b64 v[74:77], v72 offset1:4
	v_add_u32_e32 v70, 64, v70
	s_waitcnt lgkmcnt(0)
	v_mfma_f32_16x16x8_xf32 a[0:3], v[10:11], v[74:75], a[0:3]
	v_cmp_le_i32_e32 vcc, s12, v70
	v_lshl_add_u64 v[0:1], v[0:1], 0, s[66:67]
	s_or_b64 s[4:5], vcc, s[4:5]
	v_mfma_f32_16x16x8_xf32 a[4:7], v[36:37], v[74:75], a[4:7]
	v_mfma_f32_16x16x8_xf32 a[8:11], v[50:51], v[74:75], a[8:11]
	;; [unrolled: 1-line block ×4, first 2 shown]
	ds_read2_b64 v[8:11], v72 offset0:8 offset1:12
	v_mfma_f32_16x16x8_xf32 a[4:7], v[32:33], v[76:77], a[4:7]
	v_mfma_f32_16x16x8_xf32 a[8:11], v[48:49], v[76:77], a[8:11]
	v_mfma_f32_16x16x8_xf32 a[12:15], v[64:65], v[76:77], a[12:15]
	s_waitcnt lgkmcnt(0)
	v_mfma_f32_16x16x8_xf32 a[0:3], v[6:7], v[8:9], a[0:3]
	v_mfma_f32_16x16x8_xf32 a[4:7], v[30:31], v[8:9], a[4:7]
	;; [unrolled: 1-line block ×5, first 2 shown]
	ds_read2_b64 v[4:7], v72 offset0:16 offset1:20
	v_mfma_f32_16x16x8_xf32 a[4:7], v[28:29], v[10:11], a[4:7]
	v_mfma_f32_16x16x8_xf32 a[8:11], v[44:45], v[10:11], a[8:11]
	;; [unrolled: 1-line block ×3, first 2 shown]
	s_waitcnt lgkmcnt(0)
	v_mfma_f32_16x16x8_xf32 a[0:3], v[18:19], v[4:5], a[0:3]
	v_mfma_f32_16x16x8_xf32 a[4:7], v[26:27], v[4:5], a[4:7]
	;; [unrolled: 1-line block ×8, first 2 shown]
	ds_read2_b64 v[4:7], v72 offset0:24 offset1:28
	s_waitcnt lgkmcnt(0)
	v_mfma_f32_16x16x8_xf32 a[0:3], v[14:15], v[4:5], a[0:3]
	v_mfma_f32_16x16x8_xf32 a[4:7], v[22:23], v[4:5], a[4:7]
	;; [unrolled: 1-line block ×8, first 2 shown]
	s_andn2_b64 exec, exec, s[4:5]
	s_cbranch_execz .LBB75_48
.LBB75_6:                               ; =>This Inner Loop Header: Depth=1
	v_readlane_b32 s86, v90, 11
	v_lshl_add_u64 v[4:5], v[0:1], 0, s[64:65]
	global_load_dword v20, v[0:1], off
	global_load_dword v21, v[4:5], off
	v_add_u32_e32 v6, s86, v70
	v_readlane_b32 s86, v90, 12
	v_add_u32_e32 v4, s3, v70
	v_add_u32_e32 v16, s72, v70
	;; [unrolled: 1-line block ×3, first 2 shown]
	v_readlane_b32 s86, v90, 13
	v_ashrrev_i32_e32 v5, 31, v4
	v_add_u32_e32 v8, s68, v70
	v_add_u32_e32 v12, s86, v70
	v_readlane_b32 s86, v90, 14
	v_ashrrev_i32_e32 v17, 31, v16
	v_lshl_add_u64 v[4:5], v[4:5], 2, s[0:1]
	v_add_u32_e32 v14, s86, v70
	v_readlane_b32 s86, v90, 15
	v_ashrrev_i32_e32 v7, 31, v6
	v_ashrrev_i32_e32 v9, 31, v8
	v_add_u32_e32 v18, s86, v70
	v_ashrrev_i32_e32 v11, 31, v10
	v_ashrrev_i32_e32 v13, 31, v12
	;; [unrolled: 1-line block ×3, first 2 shown]
	v_lshl_add_u64 v[16:17], v[16:17], 2, s[0:1]
	v_ashrrev_i32_e32 v19, 31, v18
	v_readlane_b32 s86, v90, 16
	v_lshl_add_u64 v[6:7], v[6:7], 2, s[0:1]
	v_lshl_add_u64 v[8:9], v[8:9], 2, s[0:1]
	;; [unrolled: 1-line block ×6, first 2 shown]
	global_load_dword v22, v[4:5], off
	global_load_dword v23, v[6:7], off
	global_load_dword v24, v[8:9], off
	global_load_dword v25, v[10:11], off
	global_load_dword v26, v[12:13], off
	global_load_dword v27, v[14:15], off
	s_nop 0
	global_load_dword v16, v[16:17], off
	s_nop 0
	global_load_dword v17, v[18:19], off
	v_add_u32_e32 v4, s86, v70
	v_readlane_b32 s86, v90, 17
	v_ashrrev_i32_e32 v5, 31, v4
	v_lshl_add_u64 v[4:5], v[4:5], 2, s[0:1]
	v_add_u32_e32 v6, s86, v70
	v_readlane_b32 s86, v90, 18
	v_ashrrev_i32_e32 v7, 31, v6
	v_lshl_add_u64 v[6:7], v[6:7], 2, s[0:1]
	v_add_u32_e32 v8, s86, v70
	v_readlane_b32 s86, v90, 19
	v_ashrrev_i32_e32 v9, 31, v8
	v_lshl_add_u64 v[8:9], v[8:9], 2, s[0:1]
	v_add_u32_e32 v10, s86, v70
	v_readlane_b32 s86, v90, 20
	v_ashrrev_i32_e32 v11, 31, v10
	v_lshl_add_u64 v[10:11], v[10:11], 2, s[0:1]
	v_add_u32_e32 v12, s86, v70
	v_readlane_b32 s86, v90, 21
	v_ashrrev_i32_e32 v13, 31, v12
	v_lshl_add_u64 v[12:13], v[12:13], 2, s[0:1]
	v_add_u32_e32 v14, s86, v70
	v_ashrrev_i32_e32 v15, 31, v14
	v_lshl_add_u64 v[14:15], v[14:15], 2, s[0:1]
	global_load_dword v18, v[4:5], off
	global_load_dword v19, v[6:7], off
	s_nop 0
	global_load_dword v8, v[8:9], off
	s_nop 0
	;; [unrolled: 2-line block ×3, first 2 shown]
	global_load_dword v10, v[12:13], off
	global_load_dword v11, v[14:15], off
	v_readlane_b32 s86, v90, 22
	v_add_u32_e32 v4, s80, v70
	v_ashrrev_i32_e32 v5, 31, v4
	v_add_u32_e32 v6, s86, v70
	v_readlane_b32 s86, v90, 23
	v_ashrrev_i32_e32 v7, 31, v6
	v_lshl_add_u64 v[4:5], v[4:5], 2, s[0:1]
	v_add_u32_e32 v12, s86, v70
	v_readlane_b32 s86, v90, 24
	v_lshl_add_u64 v[6:7], v[6:7], 2, s[0:1]
	global_load_dword v28, v[4:5], off
	global_load_dword v29, v[6:7], off
	v_add_u32_e32 v14, s86, v70
	v_readlane_b32 s86, v90, 25
	v_ashrrev_i32_e32 v13, 31, v12
	v_lshl_add_u64 v[12:13], v[12:13], 2, s[0:1]
	v_ashrrev_i32_e32 v15, 31, v14
	v_lshl_add_u64 v[14:15], v[14:15], 2, s[0:1]
	s_andn2_b64 vcc, exec, s[34:35]
	s_waitcnt vmcnt(17)
	ds_write_b32 v71, v20
	s_waitcnt vmcnt(16)
	ds_write_b32 v71, v21 offset:264
	s_waitcnt vmcnt(15)
	ds_write_b32 v71, v22 offset:528
	;; [unrolled: 2-line block ×15, first 2 shown]
	v_add_u32_e32 v16, s86, v70
	v_readlane_b32 s86, v90, 26
	v_add_u32_e32 v22, s87, v70
	v_add_u32_e32 v24, s88, v70
	;; [unrolled: 1-line block ×3, first 2 shown]
	v_readlane_b32 s86, v90, 27
	v_add_u32_e32 v26, s89, v70
	v_ashrrev_i32_e32 v17, 31, v16
	v_add_u32_e32 v20, s86, v70
	v_ashrrev_i32_e32 v19, 31, v18
	v_ashrrev_i32_e32 v21, 31, v20
	;; [unrolled: 1-line block ×5, first 2 shown]
	ds_read_b64 v[10:11], v72
	ds_read_b64 v[8:9], v72 offset:32
	ds_read_b64 v[6:7], v72 offset:64
	;; [unrolled: 1-line block ×3, first 2 shown]
	v_lshl_add_u64 v[16:17], v[16:17], 2, s[0:1]
	v_lshl_add_u64 v[18:19], v[18:19], 2, s[0:1]
	v_lshl_add_u64 v[20:21], v[20:21], 2, s[0:1]
	v_lshl_add_u64 v[22:23], v[22:23], 2, s[0:1]
	v_lshl_add_u64 v[24:25], v[24:25], 2, s[0:1]
	v_lshl_add_u64 v[26:27], v[26:27], 2, s[0:1]
	global_load_dword v30, v[12:13], off
	global_load_dword v31, v[14:15], off
	global_load_dword v32, v[16:17], off
	global_load_dword v33, v[18:19], off
	global_load_dword v34, v[20:21], off
	global_load_dword v35, v[22:23], off
	global_load_dword v36, v[24:25], off
	global_load_dword v37, v[26:27], off
	v_add_u32_e32 v12, s90, v70
	v_ashrrev_i32_e32 v13, 31, v12
	v_add_u32_e32 v14, s91, v70
	v_add_u32_e32 v16, s92, v70
	v_add_u32_e32 v18, s93, v70
	v_add_u32_e32 v20, s94, v70
	v_add_u32_e32 v22, s95, v70
	v_add_u32_e32 v24, s96, v70
	v_add_u32_e32 v26, s97, v70
	v_lshl_add_u64 v[12:13], v[12:13], 2, s[0:1]
	v_ashrrev_i32_e32 v15, 31, v14
	v_ashrrev_i32_e32 v17, 31, v16
	v_ashrrev_i32_e32 v19, 31, v18
	v_ashrrev_i32_e32 v21, 31, v20
	v_ashrrev_i32_e32 v23, 31, v22
	v_ashrrev_i32_e32 v25, 31, v24
	v_ashrrev_i32_e32 v27, 31, v26
	v_lshl_add_u64 v[14:15], v[14:15], 2, s[0:1]
	v_lshl_add_u64 v[16:17], v[16:17], 2, s[0:1]
	v_lshl_add_u64 v[18:19], v[18:19], 2, s[0:1]
	v_lshl_add_u64 v[20:21], v[20:21], 2, s[0:1]
	v_lshl_add_u64 v[22:23], v[22:23], 2, s[0:1]
	v_lshl_add_u64 v[24:25], v[24:25], 2, s[0:1]
	v_lshl_add_u64 v[26:27], v[26:27], 2, s[0:1]
	global_load_dword v38, v[12:13], off
	global_load_dword v39, v[14:15], off
	global_load_dword v40, v[16:17], off
	global_load_dword v41, v[18:19], off
	global_load_dword v42, v[20:21], off
	global_load_dword v43, v[22:23], off
	global_load_dword v44, v[24:25], off
	global_load_dword v45, v[26:27], off
	v_add_u32_e32 v12, s98, v70
	v_ashrrev_i32_e32 v13, 31, v12
	v_add_u32_e32 v14, s99, v70
	v_add_u32_e32 v16, s28, v70
	v_add_u32_e32 v18, s29, v70
	v_add_u32_e32 v20, s24, v70
	v_add_u32_e32 v22, s25, v70
	v_add_u32_e32 v24, s11, v70
	v_add_u32_e32 v26, s30, v70
	v_lshl_add_u64 v[12:13], v[12:13], 2, s[0:1]
	v_ashrrev_i32_e32 v15, 31, v14
	v_ashrrev_i32_e32 v17, 31, v16
	v_ashrrev_i32_e32 v19, 31, v18
	v_ashrrev_i32_e32 v21, 31, v20
	v_ashrrev_i32_e32 v23, 31, v22
	v_ashrrev_i32_e32 v25, 31, v24
	v_ashrrev_i32_e32 v27, 31, v26
	v_lshl_add_u64 v[14:15], v[14:15], 2, s[0:1]
	;; [unrolled: 32-line block ×4, first 2 shown]
	v_lshl_add_u64 v[16:17], v[16:17], 2, s[0:1]
	v_lshl_add_u64 v[18:19], v[18:19], 2, s[0:1]
	v_lshl_add_u64 v[20:21], v[20:21], 2, s[0:1]
	v_lshl_add_u64 v[22:23], v[22:23], 2, s[0:1]
	v_lshl_add_u64 v[24:25], v[24:25], 2, s[0:1]
	v_lshl_add_u64 v[26:27], v[26:27], 2, s[0:1]
	global_load_dword v62, v[12:13], off
	global_load_dword v63, v[14:15], off
	;; [unrolled: 1-line block ×8, first 2 shown]
	v_add_u32_e32 v12, s81, v70
	v_ashrrev_i32_e32 v13, 31, v12
	v_add_u32_e32 v14, s82, v70
	v_add_u32_e32 v16, s83, v70
	;; [unrolled: 1-line block ×5, first 2 shown]
	v_lshl_add_u64 v[12:13], v[12:13], 2, s[0:1]
	v_ashrrev_i32_e32 v15, 31, v14
	v_ashrrev_i32_e32 v17, 31, v16
	;; [unrolled: 1-line block ×5, first 2 shown]
	v_lshl_add_u64 v[14:15], v[14:15], 2, s[0:1]
	v_lshl_add_u64 v[16:17], v[16:17], 2, s[0:1]
	;; [unrolled: 1-line block ×5, first 2 shown]
	global_load_dword v76, v[12:13], off
	global_load_dword v77, v[14:15], off
	;; [unrolled: 1-line block ×6, first 2 shown]
	ds_read_b64 v[18:19], v72 offset:128
	ds_read_b64 v[16:17], v72 offset:160
	ds_read_b64 v[14:15], v72 offset:192
	ds_read_b64 v[12:13], v72 offset:224
	s_waitcnt vmcnt(47)
	ds_write_b32 v71, v28
	s_waitcnt vmcnt(46)
	ds_write_b32 v71, v29 offset:264
	s_waitcnt vmcnt(45)
	ds_write_b32 v71, v30 offset:528
	s_waitcnt vmcnt(44)
	ds_write_b32 v71, v31 offset:792
	s_waitcnt vmcnt(43)
	ds_write_b32 v71, v32 offset:1056
	s_waitcnt vmcnt(42)
	ds_write_b32 v71, v33 offset:1320
	s_waitcnt vmcnt(41)
	ds_write_b32 v71, v34 offset:1584
	s_waitcnt vmcnt(40)
	ds_write_b32 v71, v35 offset:1848
	s_waitcnt vmcnt(39)
	ds_write_b32 v71, v36 offset:2112
	s_waitcnt vmcnt(38)
	ds_write_b32 v71, v37 offset:2376
	s_waitcnt vmcnt(37)
	ds_write_b32 v71, v38 offset:2640
	s_waitcnt vmcnt(36)
	ds_write_b32 v71, v39 offset:2904
	s_waitcnt vmcnt(35)
	ds_write_b32 v71, v40 offset:3168
	s_waitcnt vmcnt(34)
	ds_write_b32 v71, v41 offset:3432
	s_waitcnt vmcnt(33)
	ds_write_b32 v71, v42 offset:3696
	s_waitcnt vmcnt(32)
	ds_write_b32 v71, v43 offset:3960
	ds_read_b64 v[36:37], v72
	ds_read_b64 v[32:33], v72 offset:32
	ds_read_b64 v[30:31], v72 offset:64
	ds_read_b64 v[28:29], v72 offset:96
	ds_read_b64 v[26:27], v72 offset:128
	ds_read_b64 v[24:25], v72 offset:160
	ds_read_b64 v[22:23], v72 offset:192
	ds_read_b64 v[20:21], v72 offset:224
	s_waitcnt vmcnt(31)
	ds_write_b32 v71, v44
	s_waitcnt vmcnt(30)
	ds_write_b32 v71, v45 offset:264
	s_waitcnt vmcnt(29)
	ds_write_b32 v71, v46 offset:528
	s_waitcnt vmcnt(28)
	ds_write_b32 v71, v47 offset:792
	s_waitcnt vmcnt(27)
	ds_write_b32 v71, v48 offset:1056
	s_waitcnt vmcnt(26)
	ds_write_b32 v71, v49 offset:1320
	s_waitcnt vmcnt(25)
	ds_write_b32 v71, v50 offset:1584
	s_waitcnt vmcnt(24)
	ds_write_b32 v71, v51 offset:1848
	s_waitcnt vmcnt(23)
	ds_write_b32 v71, v52 offset:2112
	s_waitcnt vmcnt(22)
	ds_write_b32 v71, v53 offset:2376
	s_waitcnt vmcnt(21)
	ds_write_b32 v71, v54 offset:2640
	s_waitcnt vmcnt(20)
	ds_write_b32 v71, v55 offset:2904
	s_waitcnt vmcnt(19)
	ds_write_b32 v71, v56 offset:3168
	s_waitcnt vmcnt(18)
	ds_write_b32 v71, v57 offset:3432
	s_waitcnt vmcnt(17)
	ds_write_b32 v71, v58 offset:3696
	s_waitcnt vmcnt(16)
	ds_write_b32 v71, v59 offset:3960
	ds_read_b64 v[50:51], v72
	ds_read_b64 v[48:49], v72 offset:32
	ds_read_b64 v[46:47], v72 offset:64
	ds_read_b64 v[44:45], v72 offset:96
	;; [unrolled: 40-line block ×3, first 2 shown]
	ds_read_b64 v[62:63], v72 offset:128
	ds_read_b64 v[58:59], v72 offset:160
	;; [unrolled: 1-line block ×4, first 2 shown]
	v_mov_b32_e32 v74, 0
	s_cbranch_vccnz .LBB75_9
; %bb.7:                                ;   in Loop: Header=BB75_6 Depth=1
	s_load_dword vcc_lo, s[36:37], 0x0
	v_mov_b32_e32 v74, 0
	s_waitcnt lgkmcnt(0)
	s_mul_hi_u32 vcc_hi, vcc_lo, s16
	s_add_i32 vcc_hi, vcc_lo, vcc_hi
	s_lshr_b32 s86, vcc_hi, s17
	s_cmp_ge_i32 s86, s13
	s_cbranch_scc1 .LBB75_9
; %bb.8:                                ;   in Loop: Header=BB75_6 Depth=1
	s_mul_i32 vcc_hi, s86, s18
	s_sub_i32 vcc_lo, vcc_lo, vcc_hi
	s_mul_i32 vcc_lo, vcc_lo, s9
	s_mul_i32 s86, s86, s20
	s_add_i32 s86, s86, vcc_lo
	v_add_u32_e32 v74, s86, v70
	v_ashrrev_i32_e32 v75, 31, v74
	v_lshl_add_u64 v[74:75], v[74:75], 2, s[6:7]
	global_load_dword v74, v[74:75], off
.LBB75_9:                               ;   in Loop: Header=BB75_6 Depth=1
	s_andn2_b64 vcc, exec, s[38:39]
	v_mov_b32_e32 v75, 0
	v_mov_b32_e32 v76, 0
	s_cbranch_vccnz .LBB75_12
; %bb.10:                               ;   in Loop: Header=BB75_6 Depth=1
	s_load_dword vcc_lo, s[36:37], 0x4
	v_mov_b32_e32 v76, 0
	s_waitcnt lgkmcnt(0)
	s_mul_hi_u32 s86, vcc_lo, s16
	s_add_i32 s86, vcc_lo, s86
	s_lshr_b32 vcc_hi, s86, s17
	s_cmp_ge_i32 vcc_hi, s13
	s_cbranch_scc1 .LBB75_12
; %bb.11:                               ;   in Loop: Header=BB75_6 Depth=1
	s_mul_i32 s86, vcc_hi, s18
	s_sub_i32 s86, vcc_lo, s86
	s_mul_i32 s86, s86, s9
	s_mul_i32 vcc_lo, vcc_hi, s20
	s_add_i32 vcc_lo, vcc_lo, s86
	v_add_u32_e32 v76, vcc_lo, v70
	v_ashrrev_i32_e32 v77, 31, v76
	v_lshl_add_u64 v[76:77], v[76:77], 2, s[6:7]
	global_load_dword v76, v[76:77], off
.LBB75_12:                              ;   in Loop: Header=BB75_6 Depth=1
	s_andn2_b64 vcc, exec, s[40:41]
	s_cbranch_vccnz .LBB75_15
; %bb.13:                               ;   in Loop: Header=BB75_6 Depth=1
	s_load_dword vcc_lo, s[36:37], 0x8
	v_mov_b32_e32 v75, 0
	s_waitcnt lgkmcnt(0)
	s_mul_hi_u32 s86, vcc_lo, s16
	s_add_i32 s86, vcc_lo, s86
	s_lshr_b32 vcc_hi, s86, s17
	s_cmp_ge_i32 vcc_hi, s13
	s_cbranch_scc1 .LBB75_15
; %bb.14:                               ;   in Loop: Header=BB75_6 Depth=1
	s_mul_i32 s86, vcc_hi, s18
	s_sub_i32 s86, vcc_lo, s86
	s_mul_i32 s86, s86, s9
	s_mul_i32 vcc_lo, vcc_hi, s20
	s_add_i32 vcc_lo, vcc_lo, s86
	v_add_u32_e32 v78, vcc_lo, v70
	v_ashrrev_i32_e32 v79, 31, v78
	v_lshl_add_u64 v[78:79], v[78:79], 2, s[6:7]
	global_load_dword v75, v[78:79], off
.LBB75_15:                              ;   in Loop: Header=BB75_6 Depth=1
	s_andn2_b64 vcc, exec, s[42:43]
	v_mov_b32_e32 v77, 0
	v_mov_b32_e32 v78, 0
	s_cbranch_vccnz .LBB75_18
; %bb.16:                               ;   in Loop: Header=BB75_6 Depth=1
	s_load_dword vcc_lo, s[36:37], 0xc
	v_mov_b32_e32 v78, 0
	s_waitcnt lgkmcnt(0)
	s_mul_hi_u32 s86, vcc_lo, s16
	s_add_i32 s86, vcc_lo, s86
	s_lshr_b32 vcc_hi, s86, s17
	s_cmp_ge_i32 vcc_hi, s13
	s_cbranch_scc1 .LBB75_18
; %bb.17:                               ;   in Loop: Header=BB75_6 Depth=1
	s_mul_i32 s86, vcc_hi, s18
	s_sub_i32 s86, vcc_lo, s86
	s_mul_i32 s86, s86, s9
	s_mul_i32 vcc_lo, vcc_hi, s20
	s_add_i32 vcc_lo, vcc_lo, s86
	v_add_u32_e32 v78, vcc_lo, v70
	v_ashrrev_i32_e32 v79, 31, v78
	v_lshl_add_u64 v[78:79], v[78:79], 2, s[6:7]
	global_load_dword v78, v[78:79], off
.LBB75_18:                              ;   in Loop: Header=BB75_6 Depth=1
	s_andn2_b64 vcc, exec, s[44:45]
	s_cbranch_vccnz .LBB75_21
; %bb.19:                               ;   in Loop: Header=BB75_6 Depth=1
	s_load_dword vcc_lo, s[36:37], 0x10
	v_mov_b32_e32 v77, 0
	s_waitcnt lgkmcnt(0)
	s_mul_hi_u32 s86, vcc_lo, s16
	s_add_i32 s86, vcc_lo, s86
	s_lshr_b32 vcc_hi, s86, s17
	s_cmp_ge_i32 vcc_hi, s13
	s_cbranch_scc1 .LBB75_21
; %bb.20:                               ;   in Loop: Header=BB75_6 Depth=1
	s_mul_i32 s86, vcc_hi, s18
	s_sub_i32 s86, vcc_lo, s86
	s_mul_i32 s86, s86, s9
	s_mul_i32 vcc_lo, vcc_hi, s20
	s_add_i32 vcc_lo, vcc_lo, s86
	v_add_u32_e32 v80, vcc_lo, v70
	v_ashrrev_i32_e32 v81, 31, v80
	v_lshl_add_u64 v[80:81], v[80:81], 2, s[6:7]
	global_load_dword v77, v[80:81], off
.LBB75_21:                              ;   in Loop: Header=BB75_6 Depth=1
	;; [unrolled: 46-line block ×6, first 2 shown]
	s_andn2_b64 vcc, exec, s[62:63]
	v_mov_b32_e32 v87, 0
	s_cbranch_vccnz .LBB75_5
; %bb.46:                               ;   in Loop: Header=BB75_6 Depth=1
	s_load_dword vcc_lo, s[36:37], 0x34
	v_mov_b32_e32 v87, 0
	s_waitcnt lgkmcnt(0)
	s_mul_hi_u32 s86, vcc_lo, s16
	s_add_i32 s86, vcc_lo, s86
	s_lshr_b32 vcc_hi, s86, s17
	s_cmp_ge_i32 vcc_hi, s13
	s_cbranch_scc1 .LBB75_5
; %bb.47:                               ;   in Loop: Header=BB75_6 Depth=1
	s_mul_i32 s86, vcc_hi, s18
	s_sub_i32 s86, vcc_lo, s86
	s_mul_i32 s86, s86, s9
	s_mul_i32 vcc_lo, vcc_hi, s20
	s_add_i32 vcc_lo, vcc_lo, s86
	v_add_u32_e32 v88, vcc_lo, v70
	v_ashrrev_i32_e32 v89, 31, v88
	v_lshl_add_u64 v[88:89], v[88:89], 2, s[6:7]
	global_load_dword v87, v[88:89], off
	s_branch .LBB75_5
.LBB75_48:
	s_or_b64 exec, exec, s[4:5]
	v_readlane_b32 s24, v90, 6
	v_readlane_b32 s26, v90, 9
	;; [unrolled: 1-line block ×9, first 2 shown]
.LBB75_49:
	s_or_b64 exec, exec, s[28:29]
	s_lshl_b64 s[0:1], s[26:27], 2
	v_lshlrev_b32_e32 v0, 2, v68
	v_or_b32_e32 v4, 12, v3
	s_add_u32 s4, s22, s0
	v_add3_u32 v0, 0, v69, v0
	v_and_b32_e32 v1, 0x3f0, v3
	v_and_b32_e32 v4, 0x3fc, v4
	s_addc_u32 s5, s23, s1
	v_add_u32_e32 v1, v0, v1
	v_add_u32_e32 v0, v0, v4
	ds_write2_b32 v1, a0, a1 offset1:1
	ds_write_b32 v1, a2 offset:8
	ds_write_b32 v0, a3
	ds_write2_b32 v1, a4, a5 offset0:16 offset1:17
	ds_write_b32 v1, a6 offset:72
	ds_write_b32 v0, a7 offset:64
	ds_write2_b32 v1, a8, a9 offset0:32 offset1:33
	ds_write_b32 v1, a10 offset:136
	ds_write_b32 v0, a11 offset:128
	;; [unrolled: 3-line block ×3, first 2 shown]
	s_cmp_gt_i32 s14, 0
	v_add_u32_e32 v0, s2, v2
	s_cselect_b64 s[6:7], -1, 0
	v_cmp_gt_i32_e64 s[0:1], s33, v0
	v_cmp_gt_u32_e32 vcc, 14, v2
	s_and_b64 s[0:1], s[6:7], s[0:1]
	v_lshl_add_u32 v5, v3, 2, 0
	v_add_u32_e32 v4, s11, v3
	v_mul_u32_u24_e32 v6, 0x108, v2
	s_and_b64 s[8:9], vcc, s[0:1]
	s_and_saveexec_b64 s[0:1], s[8:9]
	v_readlane_b32 s14, v90, 0
	v_readlane_b32 s15, v90, 1
	s_cbranch_execz .LBB75_52
; %bb.50:
	v_ashrrev_i32_e32 v1, 31, v0
	v_lshl_add_u64 v[8:9], v[0:1], 2, s[4:5]
	global_load_dword v1, v[8:9], off
	s_waitcnt vmcnt(0)
	v_mul_hi_u32 v3, v1, s19
	v_add_u32_e32 v3, v1, v3
	v_lshrrev_b32_e32 v3, s24, v3
	v_cmp_gt_i32_e32 vcc, s13, v3
	s_and_b64 exec, exec, vcc
	s_cbranch_execz .LBB75_52
; %bb.51:
	v_add_u32_e32 v7, v5, v6
	ds_read_b32 v7, v7
	v_mul_lo_u32 v8, v3, s25
	v_sub_u32_e32 v1, v1, v8
	v_mul_lo_u32 v3, v3, s21
	v_mul_lo_u32 v1, v1, s10
	v_add3_u32 v8, v4, v3, v1
	v_mov_b32_e32 v9, 0
	s_waitcnt lgkmcnt(0)
	v_add_f32_e32 v7, 0, v7
	v_lshl_add_u64 v[8:9], v[8:9], 2, s[14:15]
	global_store_dword v[8:9], v7, off
.LBB75_52:
	s_or_b64 exec, exec, s[0:1]
	v_add_u32_e32 v1, 1, v0
	v_cmp_gt_i32_e64 s[0:1], s33, v1
	v_cmp_gt_u32_e32 vcc, 13, v2
	s_and_b64 s[0:1], s[6:7], s[0:1]
	s_and_b64 s[8:9], vcc, s[0:1]
	s_and_saveexec_b64 s[0:1], s[8:9]
	s_cbranch_execz .LBB75_55
; %bb.53:
	s_ashr_i32 s3, s2, 31
	v_mov_b32_e32 v3, 0
	v_lshl_add_u64 v[8:9], v[2:3], 0, s[2:3]
	v_lshl_add_u64 v[8:9], v[8:9], 2, s[4:5]
	global_load_dword v1, v[8:9], off offset:4
	s_waitcnt vmcnt(0)
	v_mul_hi_u32 v7, v1, s19
	v_add_u32_e32 v7, v1, v7
	v_lshrrev_b32_e32 v7, s24, v7
	v_cmp_gt_i32_e32 vcc, s13, v7
	s_and_b64 exec, exec, vcc
	s_cbranch_execz .LBB75_55
; %bb.54:
	v_add_u32_e32 v8, v6, v5
	ds_read_b32 v8, v8 offset:264
	v_mul_lo_u32 v9, v7, s25
	v_sub_u32_e32 v1, v1, v9
	v_mul_lo_u32 v7, v7, s21
	v_mul_lo_u32 v1, v1, s10
	s_waitcnt lgkmcnt(0)
	v_add_f32_e32 v10, 0, v8
	v_add3_u32 v8, v4, v7, v1
	v_mov_b32_e32 v9, v3
	v_lshl_add_u64 v[8:9], v[8:9], 2, s[14:15]
	global_store_dword v[8:9], v10, off
.LBB75_55:
	s_or_b64 exec, exec, s[0:1]
	v_add_u32_e32 v1, 2, v0
	v_cmp_gt_i32_e64 s[0:1], s33, v1
	v_cmp_gt_u32_e32 vcc, 12, v2
	s_and_b64 s[0:1], s[6:7], s[0:1]
	s_and_b64 s[8:9], vcc, s[0:1]
	s_and_saveexec_b64 s[0:1], s[8:9]
	s_cbranch_execz .LBB75_58
; %bb.56:
	s_ashr_i32 s3, s2, 31
	v_mov_b32_e32 v3, 0
	v_lshl_add_u64 v[8:9], v[2:3], 0, s[2:3]
	v_lshl_add_u64 v[8:9], v[8:9], 2, s[4:5]
	global_load_dword v1, v[8:9], off offset:8
	s_waitcnt vmcnt(0)
	v_mul_hi_u32 v7, v1, s19
	v_add_u32_e32 v7, v1, v7
	v_lshrrev_b32_e32 v7, s24, v7
	v_cmp_gt_i32_e32 vcc, s13, v7
	s_and_b64 exec, exec, vcc
	s_cbranch_execz .LBB75_58
; %bb.57:
	v_add_u32_e32 v8, v5, v6
	ds_read_b32 v8, v8 offset:528
	v_mul_lo_u32 v9, v7, s25
	v_sub_u32_e32 v1, v1, v9
	v_mul_lo_u32 v7, v7, s21
	v_mul_lo_u32 v1, v1, s10
	s_waitcnt lgkmcnt(0)
	v_add_f32_e32 v10, 0, v8
	v_add3_u32 v8, v4, v7, v1
	v_mov_b32_e32 v9, v3
	v_lshl_add_u64 v[8:9], v[8:9], 2, s[14:15]
	global_store_dword v[8:9], v10, off
.LBB75_58:
	s_or_b64 exec, exec, s[0:1]
	v_add_u32_e32 v1, 3, v0
	v_cmp_gt_i32_e64 s[0:1], s33, v1
	v_cmp_gt_u32_e32 vcc, 11, v2
	s_and_b64 s[0:1], s[6:7], s[0:1]
	s_and_b64 s[8:9], vcc, s[0:1]
	s_and_saveexec_b64 s[0:1], s[8:9]
	s_cbranch_execz .LBB75_61
; %bb.59:
	s_ashr_i32 s3, s2, 31
	v_mov_b32_e32 v3, 0
	v_lshl_add_u64 v[8:9], v[2:3], 0, s[2:3]
	v_lshl_add_u64 v[8:9], v[8:9], 2, s[4:5]
	global_load_dword v1, v[8:9], off offset:12
	s_waitcnt vmcnt(0)
	v_mul_hi_u32 v7, v1, s19
	v_add_u32_e32 v7, v1, v7
	v_lshrrev_b32_e32 v7, s24, v7
	v_cmp_gt_i32_e32 vcc, s13, v7
	s_and_b64 exec, exec, vcc
	s_cbranch_execz .LBB75_61
; %bb.60:
	v_add_u32_e32 v8, v5, v6
	ds_read_b32 v8, v8 offset:792
	v_mul_lo_u32 v9, v7, s25
	v_sub_u32_e32 v1, v1, v9
	v_mul_lo_u32 v7, v7, s21
	v_mul_lo_u32 v1, v1, s10
	s_waitcnt lgkmcnt(0)
	v_add_f32_e32 v10, 0, v8
	v_add3_u32 v8, v4, v7, v1
	v_mov_b32_e32 v9, v3
	v_lshl_add_u64 v[8:9], v[8:9], 2, s[14:15]
	global_store_dword v[8:9], v10, off
.LBB75_61:
	s_or_b64 exec, exec, s[0:1]
	v_add_u32_e32 v1, 4, v0
	v_cmp_gt_i32_e64 s[0:1], s33, v1
	v_cmp_gt_u32_e32 vcc, 10, v2
	s_and_b64 s[0:1], s[6:7], s[0:1]
	s_and_b64 s[8:9], vcc, s[0:1]
	s_and_saveexec_b64 s[0:1], s[8:9]
	s_cbranch_execz .LBB75_64
; %bb.62:
	s_ashr_i32 s3, s2, 31
	v_mov_b32_e32 v3, 0
	v_lshl_add_u64 v[8:9], v[2:3], 0, s[2:3]
	v_lshl_add_u64 v[8:9], v[8:9], 2, s[4:5]
	global_load_dword v1, v[8:9], off offset:16
	s_waitcnt vmcnt(0)
	v_mul_hi_u32 v7, v1, s19
	v_add_u32_e32 v7, v1, v7
	v_lshrrev_b32_e32 v7, s24, v7
	v_cmp_gt_i32_e32 vcc, s13, v7
	s_and_b64 exec, exec, vcc
	s_cbranch_execz .LBB75_64
; %bb.63:
	v_add_u32_e32 v8, v5, v6
	ds_read_b32 v8, v8 offset:1056
	v_mul_lo_u32 v9, v7, s25
	v_sub_u32_e32 v1, v1, v9
	v_mul_lo_u32 v7, v7, s21
	v_mul_lo_u32 v1, v1, s10
	s_waitcnt lgkmcnt(0)
	v_add_f32_e32 v10, 0, v8
	v_add3_u32 v8, v4, v7, v1
	v_mov_b32_e32 v9, v3
	v_lshl_add_u64 v[8:9], v[8:9], 2, s[14:15]
	global_store_dword v[8:9], v10, off
.LBB75_64:
	s_or_b64 exec, exec, s[0:1]
	v_add_u32_e32 v1, 5, v0
	v_cmp_gt_i32_e64 s[0:1], s33, v1
	v_cmp_gt_u32_e32 vcc, 9, v2
	s_and_b64 s[0:1], s[6:7], s[0:1]
	s_and_b64 s[8:9], vcc, s[0:1]
	s_and_saveexec_b64 s[0:1], s[8:9]
	s_cbranch_execz .LBB75_67
; %bb.65:
	s_ashr_i32 s3, s2, 31
	v_mov_b32_e32 v3, 0
	v_lshl_add_u64 v[8:9], v[2:3], 0, s[2:3]
	v_lshl_add_u64 v[8:9], v[8:9], 2, s[4:5]
	global_load_dword v1, v[8:9], off offset:20
	s_waitcnt vmcnt(0)
	v_mul_hi_u32 v7, v1, s19
	v_add_u32_e32 v7, v1, v7
	v_lshrrev_b32_e32 v7, s24, v7
	v_cmp_gt_i32_e32 vcc, s13, v7
	s_and_b64 exec, exec, vcc
	s_cbranch_execz .LBB75_67
; %bb.66:
	v_add_u32_e32 v8, v5, v6
	ds_read_b32 v8, v8 offset:1320
	v_mul_lo_u32 v9, v7, s25
	v_sub_u32_e32 v1, v1, v9
	v_mul_lo_u32 v7, v7, s21
	v_mul_lo_u32 v1, v1, s10
	s_waitcnt lgkmcnt(0)
	v_add_f32_e32 v10, 0, v8
	v_add3_u32 v8, v4, v7, v1
	v_mov_b32_e32 v9, v3
	v_lshl_add_u64 v[8:9], v[8:9], 2, s[14:15]
	global_store_dword v[8:9], v10, off
.LBB75_67:
	s_or_b64 exec, exec, s[0:1]
	v_add_u32_e32 v1, 6, v0
	v_cmp_gt_i32_e64 s[0:1], s33, v1
	v_cmp_gt_u32_e32 vcc, 8, v2
	s_and_b64 s[0:1], s[6:7], s[0:1]
	s_and_b64 s[8:9], vcc, s[0:1]
	s_and_saveexec_b64 s[0:1], s[8:9]
	s_cbranch_execz .LBB75_70
; %bb.68:
	s_ashr_i32 s3, s2, 31
	v_mov_b32_e32 v3, 0
	v_lshl_add_u64 v[8:9], v[2:3], 0, s[2:3]
	v_lshl_add_u64 v[8:9], v[8:9], 2, s[4:5]
	global_load_dword v1, v[8:9], off offset:24
	s_waitcnt vmcnt(0)
	v_mul_hi_u32 v7, v1, s19
	v_add_u32_e32 v7, v1, v7
	v_lshrrev_b32_e32 v7, s24, v7
	v_cmp_gt_i32_e32 vcc, s13, v7
	s_and_b64 exec, exec, vcc
	s_cbranch_execz .LBB75_70
; %bb.69:
	v_add_u32_e32 v8, v5, v6
	ds_read_b32 v8, v8 offset:1584
	v_mul_lo_u32 v9, v7, s25
	v_sub_u32_e32 v1, v1, v9
	v_mul_lo_u32 v7, v7, s21
	v_mul_lo_u32 v1, v1, s10
	s_waitcnt lgkmcnt(0)
	v_add_f32_e32 v10, 0, v8
	v_add3_u32 v8, v4, v7, v1
	v_mov_b32_e32 v9, v3
	v_lshl_add_u64 v[8:9], v[8:9], 2, s[14:15]
	global_store_dword v[8:9], v10, off
.LBB75_70:
	s_or_b64 exec, exec, s[0:1]
	v_add_u32_e32 v1, 7, v0
	v_cmp_gt_i32_e64 s[0:1], s33, v1
	v_cmp_gt_u32_e32 vcc, 7, v2
	s_and_b64 s[0:1], s[6:7], s[0:1]
	s_and_b64 s[8:9], vcc, s[0:1]
	s_and_saveexec_b64 s[0:1], s[8:9]
	s_cbranch_execz .LBB75_73
; %bb.71:
	s_ashr_i32 s3, s2, 31
	v_mov_b32_e32 v3, 0
	v_lshl_add_u64 v[8:9], v[2:3], 0, s[2:3]
	v_lshl_add_u64 v[8:9], v[8:9], 2, s[4:5]
	global_load_dword v1, v[8:9], off offset:28
	s_waitcnt vmcnt(0)
	v_mul_hi_u32 v7, v1, s19
	v_add_u32_e32 v7, v1, v7
	v_lshrrev_b32_e32 v7, s24, v7
	v_cmp_gt_i32_e32 vcc, s13, v7
	s_and_b64 exec, exec, vcc
	s_cbranch_execz .LBB75_73
; %bb.72:
	v_add_u32_e32 v8, v5, v6
	ds_read_b32 v8, v8 offset:1848
	v_mul_lo_u32 v9, v7, s25
	v_sub_u32_e32 v1, v1, v9
	v_mul_lo_u32 v7, v7, s21
	v_mul_lo_u32 v1, v1, s10
	s_waitcnt lgkmcnt(0)
	v_add_f32_e32 v10, 0, v8
	v_add3_u32 v8, v4, v7, v1
	v_mov_b32_e32 v9, v3
	v_lshl_add_u64 v[8:9], v[8:9], 2, s[14:15]
	global_store_dword v[8:9], v10, off
.LBB75_73:
	s_or_b64 exec, exec, s[0:1]
	v_add_u32_e32 v1, 8, v0
	v_cmp_gt_i32_e64 s[0:1], s33, v1
	v_cmp_gt_u32_e32 vcc, 6, v2
	s_and_b64 s[0:1], s[6:7], s[0:1]
	s_and_b64 s[8:9], vcc, s[0:1]
	s_and_saveexec_b64 s[0:1], s[8:9]
	s_cbranch_execz .LBB75_76
; %bb.74:
	s_ashr_i32 s3, s2, 31
	v_mov_b32_e32 v3, 0
	v_lshl_add_u64 v[8:9], v[2:3], 0, s[2:3]
	v_lshl_add_u64 v[8:9], v[8:9], 2, s[4:5]
	global_load_dword v1, v[8:9], off offset:32
	s_waitcnt vmcnt(0)
	v_mul_hi_u32 v7, v1, s19
	v_add_u32_e32 v7, v1, v7
	v_lshrrev_b32_e32 v7, s24, v7
	v_cmp_gt_i32_e32 vcc, s13, v7
	s_and_b64 exec, exec, vcc
	s_cbranch_execz .LBB75_76
; %bb.75:
	v_add_u32_e32 v8, v5, v6
	ds_read_b32 v8, v8 offset:2112
	v_mul_lo_u32 v9, v7, s25
	v_sub_u32_e32 v1, v1, v9
	v_mul_lo_u32 v7, v7, s21
	v_mul_lo_u32 v1, v1, s10
	s_waitcnt lgkmcnt(0)
	v_add_f32_e32 v10, 0, v8
	v_add3_u32 v8, v4, v7, v1
	v_mov_b32_e32 v9, v3
	v_lshl_add_u64 v[8:9], v[8:9], 2, s[14:15]
	global_store_dword v[8:9], v10, off
.LBB75_76:
	s_or_b64 exec, exec, s[0:1]
	v_add_u32_e32 v1, 9, v0
	v_cmp_gt_i32_e64 s[0:1], s33, v1
	v_cmp_gt_u32_e32 vcc, 5, v2
	s_and_b64 s[0:1], s[6:7], s[0:1]
	s_and_b64 s[8:9], vcc, s[0:1]
	s_and_saveexec_b64 s[0:1], s[8:9]
	s_cbranch_execz .LBB75_79
; %bb.77:
	s_ashr_i32 s3, s2, 31
	v_mov_b32_e32 v3, 0
	v_lshl_add_u64 v[8:9], v[2:3], 0, s[2:3]
	v_lshl_add_u64 v[8:9], v[8:9], 2, s[4:5]
	global_load_dword v1, v[8:9], off offset:36
	s_waitcnt vmcnt(0)
	v_mul_hi_u32 v7, v1, s19
	v_add_u32_e32 v7, v1, v7
	v_lshrrev_b32_e32 v7, s24, v7
	v_cmp_gt_i32_e32 vcc, s13, v7
	s_and_b64 exec, exec, vcc
	s_cbranch_execz .LBB75_79
; %bb.78:
	v_add_u32_e32 v8, v5, v6
	ds_read_b32 v8, v8 offset:2376
	v_mul_lo_u32 v9, v7, s25
	v_sub_u32_e32 v1, v1, v9
	v_mul_lo_u32 v7, v7, s21
	v_mul_lo_u32 v1, v1, s10
	s_waitcnt lgkmcnt(0)
	v_add_f32_e32 v10, 0, v8
	v_add3_u32 v8, v4, v7, v1
	v_mov_b32_e32 v9, v3
	v_lshl_add_u64 v[8:9], v[8:9], 2, s[14:15]
	global_store_dword v[8:9], v10, off
.LBB75_79:
	s_or_b64 exec, exec, s[0:1]
	v_add_u32_e32 v1, 10, v0
	v_cmp_gt_i32_e64 s[0:1], s33, v1
	v_cmp_gt_u32_e32 vcc, 4, v2
	s_and_b64 s[0:1], s[6:7], s[0:1]
	s_and_b64 s[8:9], vcc, s[0:1]
	s_and_saveexec_b64 s[0:1], s[8:9]
	s_cbranch_execz .LBB75_82
; %bb.80:
	s_ashr_i32 s3, s2, 31
	v_mov_b32_e32 v3, 0
	v_lshl_add_u64 v[8:9], v[2:3], 0, s[2:3]
	v_lshl_add_u64 v[8:9], v[8:9], 2, s[4:5]
	global_load_dword v1, v[8:9], off offset:40
	s_waitcnt vmcnt(0)
	v_mul_hi_u32 v7, v1, s19
	v_add_u32_e32 v7, v1, v7
	v_lshrrev_b32_e32 v7, s24, v7
	v_cmp_gt_i32_e32 vcc, s13, v7
	s_and_b64 exec, exec, vcc
	s_cbranch_execz .LBB75_82
; %bb.81:
	v_add_u32_e32 v8, v5, v6
	ds_read_b32 v8, v8 offset:2640
	v_mul_lo_u32 v9, v7, s25
	v_sub_u32_e32 v1, v1, v9
	v_mul_lo_u32 v7, v7, s21
	v_mul_lo_u32 v1, v1, s10
	s_waitcnt lgkmcnt(0)
	v_add_f32_e32 v10, 0, v8
	v_add3_u32 v8, v4, v7, v1
	v_mov_b32_e32 v9, v3
	v_lshl_add_u64 v[8:9], v[8:9], 2, s[14:15]
	global_store_dword v[8:9], v10, off
.LBB75_82:
	s_or_b64 exec, exec, s[0:1]
	v_add_u32_e32 v1, 11, v0
	v_cmp_gt_i32_e64 s[0:1], s33, v1
	v_cmp_gt_u32_e32 vcc, 3, v2
	s_and_b64 s[0:1], s[6:7], s[0:1]
	s_and_b64 s[8:9], vcc, s[0:1]
	s_and_saveexec_b64 s[0:1], s[8:9]
	s_cbranch_execz .LBB75_85
; %bb.83:
	s_ashr_i32 s3, s2, 31
	v_mov_b32_e32 v3, 0
	v_lshl_add_u64 v[8:9], v[2:3], 0, s[2:3]
	v_lshl_add_u64 v[8:9], v[8:9], 2, s[4:5]
	global_load_dword v1, v[8:9], off offset:44
	s_waitcnt vmcnt(0)
	v_mul_hi_u32 v7, v1, s19
	v_add_u32_e32 v7, v1, v7
	v_lshrrev_b32_e32 v7, s24, v7
	v_cmp_gt_i32_e32 vcc, s13, v7
	s_and_b64 exec, exec, vcc
	s_cbranch_execz .LBB75_85
; %bb.84:
	v_add_u32_e32 v8, v5, v6
	ds_read_b32 v8, v8 offset:2904
	v_mul_lo_u32 v9, v7, s25
	v_sub_u32_e32 v1, v1, v9
	v_mul_lo_u32 v7, v7, s21
	v_mul_lo_u32 v1, v1, s10
	s_waitcnt lgkmcnt(0)
	v_add_f32_e32 v10, 0, v8
	v_add3_u32 v8, v4, v7, v1
	v_mov_b32_e32 v9, v3
	v_lshl_add_u64 v[8:9], v[8:9], 2, s[14:15]
	global_store_dword v[8:9], v10, off
.LBB75_85:
	s_or_b64 exec, exec, s[0:1]
	v_add_u32_e32 v1, 12, v0
	v_cmp_gt_i32_e64 s[0:1], s33, v1
	v_cmp_gt_u32_e32 vcc, 2, v2
	s_and_b64 s[0:1], s[6:7], s[0:1]
	s_and_b64 s[8:9], vcc, s[0:1]
	s_and_saveexec_b64 s[0:1], s[8:9]
	s_cbranch_execz .LBB75_88
; %bb.86:
	s_ashr_i32 s3, s2, 31
	v_mov_b32_e32 v3, 0
	v_lshl_add_u64 v[8:9], v[2:3], 0, s[2:3]
	v_lshl_add_u64 v[8:9], v[8:9], 2, s[4:5]
	global_load_dword v1, v[8:9], off offset:48
	s_waitcnt vmcnt(0)
	v_mul_hi_u32 v7, v1, s19
	v_add_u32_e32 v7, v1, v7
	v_lshrrev_b32_e32 v7, s24, v7
	v_cmp_gt_i32_e32 vcc, s13, v7
	s_and_b64 exec, exec, vcc
	s_cbranch_execz .LBB75_88
; %bb.87:
	v_add_u32_e32 v8, v5, v6
	ds_read_b32 v8, v8 offset:3168
	v_mul_lo_u32 v9, v7, s25
	v_sub_u32_e32 v1, v1, v9
	v_mul_lo_u32 v7, v7, s21
	v_mul_lo_u32 v1, v1, s10
	s_waitcnt lgkmcnt(0)
	v_add_f32_e32 v10, 0, v8
	v_add3_u32 v8, v4, v7, v1
	v_mov_b32_e32 v9, v3
	v_lshl_add_u64 v[8:9], v[8:9], 2, s[14:15]
	global_store_dword v[8:9], v10, off
.LBB75_88:
	s_or_b64 exec, exec, s[0:1]
	v_add_u32_e32 v0, 13, v0
	v_cmp_gt_i32_e64 s[0:1], s33, v0
	v_cmp_eq_u32_e32 vcc, 0, v2
	s_and_b64 s[0:1], s[6:7], s[0:1]
	s_and_b64 s[0:1], vcc, s[0:1]
	s_and_saveexec_b64 s[6:7], s[0:1]
	s_cbranch_execz .LBB75_91
; %bb.89:
	s_ashr_i32 s3, s2, 31
	s_lshl_b64 s[0:1], s[2:3], 2
	s_add_u32 s0, s4, s0
	s_addc_u32 s1, s5, s1
	s_load_dword s0, s[0:1], 0x34
	s_waitcnt lgkmcnt(0)
	s_mul_hi_u32 s1, s0, s19
	s_add_i32 s1, s0, s1
	s_lshr_b32 s1, s1, s24
	s_cmp_ge_i32 s1, s13
	s_cbranch_scc1 .LBB75_91
; %bb.90:
	v_add_u32_e32 v0, v5, v6
	ds_read_b32 v0, v0 offset:3432
	s_mul_i32 s2, s1, s25
	s_sub_i32 s0, s0, s2
	s_mul_i32 s1, s1, s21
	s_mul_i32 s0, s0, s10
	s_add_i32 s0, s0, s1
	s_waitcnt lgkmcnt(0)
	v_add_f32_e32 v2, 0, v0
	v_add_u32_e32 v0, s0, v4
	v_mov_b32_e32 v1, 0
	v_lshl_add_u64 v[0:1], v[0:1], 2, s[14:15]
	global_store_dword v[0:1], v2, off
.LBB75_91:
	s_endpgm
	.section	.rodata,"a",@progbits
	.p2align	6, 0x0
	.amdhsa_kernel _ZL13mul_mat_f_idsIfLi64ELi14ELi1EEvPKT_PKfPKiS6_S6_Pfiiiiiiiiiiiiii15HIP_vector_typeIjLj3EES9_
		.amdhsa_group_segment_fixed_size 0
		.amdhsa_private_segment_fixed_size 0
		.amdhsa_kernarg_size 128
		.amdhsa_user_sgpr_count 2
		.amdhsa_user_sgpr_dispatch_ptr 0
		.amdhsa_user_sgpr_queue_ptr 0
		.amdhsa_user_sgpr_kernarg_segment_ptr 1
		.amdhsa_user_sgpr_dispatch_id 0
		.amdhsa_user_sgpr_kernarg_preload_length 0
		.amdhsa_user_sgpr_kernarg_preload_offset 0
		.amdhsa_user_sgpr_private_segment_size 0
		.amdhsa_uses_dynamic_stack 0
		.amdhsa_enable_private_segment 0
		.amdhsa_system_sgpr_workgroup_id_x 1
		.amdhsa_system_sgpr_workgroup_id_y 1
		.amdhsa_system_sgpr_workgroup_id_z 1
		.amdhsa_system_sgpr_workgroup_info 0
		.amdhsa_system_vgpr_workitem_id 1
		.amdhsa_next_free_vgpr 108
		.amdhsa_next_free_sgpr 100
		.amdhsa_accum_offset 92
		.amdhsa_reserve_vcc 1
		.amdhsa_float_round_mode_32 0
		.amdhsa_float_round_mode_16_64 0
		.amdhsa_float_denorm_mode_32 3
		.amdhsa_float_denorm_mode_16_64 3
		.amdhsa_dx10_clamp 1
		.amdhsa_ieee_mode 1
		.amdhsa_fp16_overflow 0
		.amdhsa_tg_split 0
		.amdhsa_exception_fp_ieee_invalid_op 0
		.amdhsa_exception_fp_denorm_src 0
		.amdhsa_exception_fp_ieee_div_zero 0
		.amdhsa_exception_fp_ieee_overflow 0
		.amdhsa_exception_fp_ieee_underflow 0
		.amdhsa_exception_fp_ieee_inexact 0
		.amdhsa_exception_int_div_zero 0
	.end_amdhsa_kernel
	.section	.text._ZL13mul_mat_f_idsIfLi64ELi14ELi1EEvPKT_PKfPKiS6_S6_Pfiiiiiiiiiiiiii15HIP_vector_typeIjLj3EES9_,"axG",@progbits,_ZL13mul_mat_f_idsIfLi64ELi14ELi1EEvPKT_PKfPKiS6_S6_Pfiiiiiiiiiiiiii15HIP_vector_typeIjLj3EES9_,comdat
.Lfunc_end75:
	.size	_ZL13mul_mat_f_idsIfLi64ELi14ELi1EEvPKT_PKfPKiS6_S6_Pfiiiiiiiiiiiiii15HIP_vector_typeIjLj3EES9_, .Lfunc_end75-_ZL13mul_mat_f_idsIfLi64ELi14ELi1EEvPKT_PKfPKiS6_S6_Pfiiiiiiiiiiiiii15HIP_vector_typeIjLj3EES9_
                                        ; -- End function
	.section	.AMDGPU.csdata,"",@progbits
; Kernel info:
; codeLenInByte = 8424
; NumSgprs: 106
; NumVgprs: 91
; NumAgprs: 16
; TotalNumVgprs: 108
; ScratchSize: 0
; MemoryBound: 0
; FloatMode: 240
; IeeeMode: 1
; LDSByteSize: 0 bytes/workgroup (compile time only)
; SGPRBlocks: 13
; VGPRBlocks: 13
; NumSGPRsForWavesPerEU: 106
; NumVGPRsForWavesPerEU: 108
; AccumOffset: 92
; Occupancy: 4
; WaveLimiterHint : 1
; COMPUTE_PGM_RSRC2:SCRATCH_EN: 0
; COMPUTE_PGM_RSRC2:USER_SGPR: 2
; COMPUTE_PGM_RSRC2:TRAP_HANDLER: 0
; COMPUTE_PGM_RSRC2:TGID_X_EN: 1
; COMPUTE_PGM_RSRC2:TGID_Y_EN: 1
; COMPUTE_PGM_RSRC2:TGID_Z_EN: 1
; COMPUTE_PGM_RSRC2:TIDIG_COMP_CNT: 1
; COMPUTE_PGM_RSRC3_GFX90A:ACCUM_OFFSET: 22
; COMPUTE_PGM_RSRC3_GFX90A:TG_SPLIT: 0
	.section	.text._ZL9mul_mat_fIfLi64ELi14ELi1ELb1EEvPKT_PKfPKiPfiiiiiiiiiiiiiiii,"axG",@progbits,_ZL9mul_mat_fIfLi64ELi14ELi1ELb1EEvPKT_PKfPKiPfiiiiiiiiiiiiiiii,comdat
	.globl	_ZL9mul_mat_fIfLi64ELi14ELi1ELb1EEvPKT_PKfPKiPfiiiiiiiiiiiiiiii ; -- Begin function _ZL9mul_mat_fIfLi64ELi14ELi1ELb1EEvPKT_PKfPKiPfiiiiiiiiiiiiiiii
	.p2align	8
	.type	_ZL9mul_mat_fIfLi64ELi14ELi1ELb1EEvPKT_PKfPKiPfiiiiiiiiiiiiiiii,@function
_ZL9mul_mat_fIfLi64ELi14ELi1ELb1EEvPKT_PKfPKiPfiiiiiiiiiiiiiiii: ; @_ZL9mul_mat_fIfLi64ELi14ELi1ELb1EEvPKT_PKfPKiPfiiiiiiiiiiiiiiii
; %bb.0:
	s_load_dwordx8 s[64:71], s[0:1], 0x20
	s_mov_b32 s28, s4
	s_load_dwordx2 s[8:9], s[0:1], 0x10
	s_waitcnt lgkmcnt(0)
	s_add_i32 s4, s65, 13
	s_mul_hi_i32 s5, s4, 0x92492493
	s_add_i32 s5, s5, s4
	s_lshr_b32 s4, s5, 31
	s_ashr_i32 s5, s5, 3
	s_add_i32 s5, s5, s4
	v_cvt_f32_u32_e32 v1, s5
	s_load_dword s4, s[0:1], 0x64
	s_add_u32 s36, s0, 0x60
	s_addc_u32 s37, s1, 0
	v_rcp_iflag_f32_e32 v1, v1
	s_sub_i32 s6, 0, s5
	v_mul_f32_e32 v1, 0x4f7ffffe, v1
	v_cvt_u32_f32_e32 v1, v1
	v_mul_lo_u32 v2, s6, v1
	v_mul_hi_u32 v2, v1, v2
	v_add_u32_e32 v1, v1, v2
	s_waitcnt lgkmcnt(0)
	v_mul_hi_u32 v1, s4, v1
	v_mul_lo_u32 v2, v1, s5
	v_sub_u32_e32 v2, s4, v2
	v_add_u32_e32 v3, 1, v1
	v_subrev_u32_e32 v4, s5, v2
	v_cmp_le_u32_e32 vcc, s5, v2
	s_nop 1
	v_cndmask_b32_e32 v1, v1, v3, vcc
	v_cndmask_b32_e32 v2, v2, v4, vcc
	v_add_u32_e32 v3, 1, v1
	v_cmp_le_u32_e32 vcc, s5, v2
	s_nop 1
	v_cndmask_b32_e32 v1, v1, v3, vcc
	v_cvt_f32_u32_e32 v2, v1
	v_sub_u32_e32 v5, 0, v1
	v_bfe_u32 v3, v0, 10, 10
	v_rcp_iflag_f32_e32 v2, v2
	s_nop 0
	v_mul_f32_e32 v2, 0x4f7ffffe, v2
	v_cvt_u32_f32_e32 v4, v2
	v_and_b32_e32 v2, 0x3ff, v0
	v_cmp_eq_u32_e32 vcc, 0, v2
	v_mul_lo_u32 v5, v5, v4
	v_mul_hi_u32 v5, v4, v5
	v_add_u32_e32 v4, v4, v5
	v_mul_hi_u32 v4, s3, v4
	s_and_saveexec_b64 s[6:7], vcc
	s_cbranch_execz .LBB76_2
; %bb.1:
	v_mov_b32_e32 v5, 0x100
	v_lshl_add_u32 v5, v3, 2, v5
	v_mov_b32_e32 v6, -1
	ds_write_b32 v5, v6
.LBB76_2:
	s_or_b64 exec, exec, s[6:7]
	v_mul_lo_u32 v5, v4, v1
	v_sub_u32_e32 v5, s3, v5
	v_add_u32_e32 v6, 1, v4
	v_sub_u32_e32 v7, v5, v1
	v_cmp_ge_u32_e64 s[6:7], v5, v1
	v_cmp_gt_i32_e64 s[30:31], s66, v2
	s_nop 0
	v_cndmask_b32_e64 v4, v4, v6, s[6:7]
	v_cndmask_b32_e64 v5, v5, v7, s[6:7]
	v_add_u32_e32 v6, 1, v4
	v_cmp_ge_u32_e64 s[6:7], v5, v1
	s_nop 1
	v_cndmask_b32_e64 v4, v4, v6, s[6:7]
	v_mul_lo_u32 v74, v4, 14
	v_mul_lo_u32 v1, v4, v1
	v_mul_hi_i32 v5, v74, s71
	v_mul_lo_u32 v4, v74, s71
	v_sub_u32_e32 v10, s3, v1
	v_lshlrev_b64 v[4:5], 2, v[4:5]
	v_add_u32_e32 v1, v3, v74
	v_lshl_add_u64 v[4:5], s[8:9], 0, v[4:5]
	v_cmp_gt_i32_e64 s[46:47], s65, v1
	v_mov_b32_e32 v1, 0
	s_and_saveexec_b64 s[10:11], s[46:47]
	s_cbranch_execz .LBB76_10
; %bb.3:
	v_mov_b32_e32 v1, 0
	s_and_saveexec_b64 s[12:13], s[30:31]
	s_cbranch_execz .LBB76_9
; %bb.4:
	v_mul_lo_u32 v6, v3, s71
	v_ashrrev_i32_e32 v7, 31, v6
	v_mov_b32_e32 v1, 0x100
	v_lshl_add_u64 v[6:7], v[6:7], 2, v[4:5]
	v_lshl_add_u32 v11, v3, 2, v1
	v_mul_lo_u32 v8, v2, s70
	s_lshl_b32 s3, s70, 6
	s_mov_b64 s[14:15], 0
	v_mov_b32_e32 v1, 0
	v_mov_b32_e32 v12, v2
	s_branch .LBB76_6
.LBB76_5:                               ;   in Loop: Header=BB76_6 Depth=1
	s_or_b64 exec, exec, s[16:17]
	v_add_u32_e32 v12, 64, v12
	v_cmp_le_i32_e64 s[8:9], s66, v12
	s_xor_b64 s[4:5], s[6:7], -1
	s_or_b64 s[4:5], s[4:5], s[8:9]
	s_and_b64 s[4:5], exec, s[4:5]
	s_or_b64 s[14:15], s[4:5], s[14:15]
	v_add_u32_e32 v8, s3, v8
	s_andn2_b64 exec, exec, s[14:15]
	s_cbranch_execz .LBB76_8
.LBB76_6:                               ; =>This Inner Loop Header: Depth=1
	v_ashrrev_i32_e32 v9, 31, v8
	v_lshl_add_u64 v[14:15], v[8:9], 2, v[6:7]
	global_load_dword v9, v[14:15], off
	s_waitcnt vmcnt(0)
	v_cmp_ne_u32_e64 s[6:7], v9, v10
	v_cmp_eq_u32_e64 s[8:9], v9, v10
	s_and_saveexec_b64 s[16:17], s[8:9]
	s_cbranch_execz .LBB76_5
; %bb.7:                                ;   in Loop: Header=BB76_6 Depth=1
	v_mov_b32_e32 v1, 1
	ds_write_b32 v11, v12
	s_branch .LBB76_5
.LBB76_8:
	s_or_b64 exec, exec, s[14:15]
.LBB76_9:
	s_or_b64 exec, exec, s[12:13]
.LBB76_10:
	s_or_b64 exec, exec, s[10:11]
	s_and_saveexec_b64 s[6:7], vcc
	s_cbranch_execz .LBB76_12
; %bb.11:
	v_mov_b32_e32 v6, 0x100
	v_lshl_add_u32 v6, v3, 2, v6
	v_mov_b32_e32 v7, -1
	ds_write_b32 v6, v7 offset:4
.LBB76_12:
	s_or_b64 exec, exec, s[6:7]
	v_add_u32_e32 v75, 1, v3
	v_add_u32_e32 v6, v75, v74
	v_cmp_gt_i32_e64 s[4:5], s65, v6
	s_mov_b64 s[10:11], exec
                                        ; implicit-def: $vgpr101 : SGPR spill to VGPR lane
	s_nop 0
	v_writelane_b32 v101, s4, 0
	s_nop 1
	v_writelane_b32 v101, s5, 1
	s_and_b64 s[4:5], s[10:11], s[4:5]
	s_mov_b64 exec, s[4:5]
	s_cbranch_execz .LBB76_20
; %bb.13:
	s_and_saveexec_b64 s[12:13], s[30:31]
	s_cbranch_execz .LBB76_19
; %bb.14:
	v_mul_lo_u32 v6, v75, s71
	v_ashrrev_i32_e32 v7, 31, v6
	v_mov_b32_e32 v8, 0x100
	v_lshl_add_u64 v[6:7], v[6:7], 2, v[4:5]
	v_lshl_add_u32 v11, v3, 2, v8
	v_mul_lo_u32 v8, v2, s70
	s_lshl_b32 s3, s70, 6
	s_mov_b64 s[14:15], 0
	v_mov_b32_e32 v12, v2
	s_branch .LBB76_16
.LBB76_15:                              ;   in Loop: Header=BB76_16 Depth=1
	s_or_b64 exec, exec, s[16:17]
	v_add_u32_e32 v12, 64, v12
	v_cmp_le_i32_e64 s[8:9], s66, v12
	s_xor_b64 s[4:5], s[6:7], -1
	s_or_b64 s[4:5], s[4:5], s[8:9]
	s_and_b64 s[4:5], exec, s[4:5]
	s_or_b64 s[14:15], s[4:5], s[14:15]
	v_add_u32_e32 v8, s3, v8
	s_andn2_b64 exec, exec, s[14:15]
	s_cbranch_execz .LBB76_18
.LBB76_16:                              ; =>This Inner Loop Header: Depth=1
	v_ashrrev_i32_e32 v9, 31, v8
	v_lshl_add_u64 v[14:15], v[8:9], 2, v[6:7]
	global_load_dword v9, v[14:15], off
	s_waitcnt vmcnt(0)
	v_cmp_ne_u32_e64 s[6:7], v9, v10
	v_cmp_eq_u32_e64 s[8:9], v9, v10
	s_and_saveexec_b64 s[16:17], s[8:9]
	s_cbranch_execz .LBB76_15
; %bb.17:                               ;   in Loop: Header=BB76_16 Depth=1
	v_mov_b32_e32 v1, 1
	ds_write_b32 v11, v12 offset:4
	s_branch .LBB76_15
.LBB76_18:
	s_or_b64 exec, exec, s[14:15]
.LBB76_19:
	s_or_b64 exec, exec, s[12:13]
.LBB76_20:
	s_or_b64 exec, exec, s[10:11]
	s_and_saveexec_b64 s[6:7], vcc
	s_cbranch_execz .LBB76_22
; %bb.21:
	v_mov_b32_e32 v6, 0x100
	v_lshl_add_u32 v6, v3, 2, v6
	v_mov_b32_e32 v7, -1
	ds_write_b32 v6, v7 offset:8
.LBB76_22:
	s_or_b64 exec, exec, s[6:7]
	v_add_u32_e32 v76, 2, v3
	v_add_u32_e32 v6, v76, v74
	v_cmp_gt_i32_e64 s[4:5], s65, v6
	s_mov_b64 s[10:11], exec
	s_nop 0
	v_writelane_b32 v101, s4, 2
	s_nop 1
	v_writelane_b32 v101, s5, 3
	s_and_b64 s[4:5], s[10:11], s[4:5]
	s_mov_b64 exec, s[4:5]
	s_cbranch_execz .LBB76_30
; %bb.23:
	s_and_saveexec_b64 s[12:13], s[30:31]
	s_cbranch_execz .LBB76_29
; %bb.24:
	v_mul_lo_u32 v6, v76, s71
	v_ashrrev_i32_e32 v7, 31, v6
	v_mov_b32_e32 v8, 0x100
	v_lshl_add_u64 v[6:7], v[6:7], 2, v[4:5]
	v_lshl_add_u32 v11, v3, 2, v8
	v_mul_lo_u32 v8, v2, s70
	s_lshl_b32 s3, s70, 6
	s_mov_b64 s[14:15], 0
	v_mov_b32_e32 v12, v2
	s_branch .LBB76_26
.LBB76_25:                              ;   in Loop: Header=BB76_26 Depth=1
	s_or_b64 exec, exec, s[16:17]
	v_add_u32_e32 v12, 64, v12
	v_cmp_le_i32_e64 s[8:9], s66, v12
	s_xor_b64 s[4:5], s[6:7], -1
	s_or_b64 s[4:5], s[4:5], s[8:9]
	s_and_b64 s[4:5], exec, s[4:5]
	s_or_b64 s[14:15], s[4:5], s[14:15]
	v_add_u32_e32 v8, s3, v8
	s_andn2_b64 exec, exec, s[14:15]
	s_cbranch_execz .LBB76_28
.LBB76_26:                              ; =>This Inner Loop Header: Depth=1
	v_ashrrev_i32_e32 v9, 31, v8
	v_lshl_add_u64 v[14:15], v[8:9], 2, v[6:7]
	global_load_dword v9, v[14:15], off
	s_waitcnt vmcnt(0)
	v_cmp_ne_u32_e64 s[6:7], v9, v10
	v_cmp_eq_u32_e64 s[8:9], v9, v10
	s_and_saveexec_b64 s[16:17], s[8:9]
	s_cbranch_execz .LBB76_25
; %bb.27:                               ;   in Loop: Header=BB76_26 Depth=1
	v_mov_b32_e32 v1, 1
	ds_write_b32 v11, v12 offset:8
	s_branch .LBB76_25
.LBB76_28:
	s_or_b64 exec, exec, s[14:15]
.LBB76_29:
	s_or_b64 exec, exec, s[12:13]
.LBB76_30:
	s_or_b64 exec, exec, s[10:11]
	s_and_saveexec_b64 s[6:7], vcc
	s_cbranch_execz .LBB76_32
; %bb.31:
	v_mov_b32_e32 v6, 0x100
	v_lshl_add_u32 v6, v3, 2, v6
	v_mov_b32_e32 v7, -1
	ds_write_b32 v6, v7 offset:12
.LBB76_32:
	s_or_b64 exec, exec, s[6:7]
	v_add_u32_e32 v77, 3, v3
	v_add_u32_e32 v6, v77, v74
	v_cmp_gt_i32_e64 s[4:5], s65, v6
	s_mov_b64 s[12:13], exec
	;; [unrolled: 64-line block ×7, first 2 shown]
	s_nop 0
	v_writelane_b32 v101, s4, 14
	s_nop 1
	v_writelane_b32 v101, s5, 15
	s_and_b64 s[4:5], s[22:23], s[4:5]
	s_mov_b64 exec, s[4:5]
	s_cbranch_execz .LBB76_90
; %bb.83:
	s_and_saveexec_b64 s[24:25], s[30:31]
	s_cbranch_execz .LBB76_89
; %bb.84:
	v_mul_lo_u32 v6, v82, s71
	v_ashrrev_i32_e32 v7, 31, v6
	v_mov_b32_e32 v8, 0x100
	v_lshl_add_u64 v[6:7], v[6:7], 2, v[4:5]
	v_lshl_add_u32 v11, v3, 2, v8
	v_mul_lo_u32 v8, v2, s70
	s_lshl_b32 s3, s70, 6
	s_mov_b64 s[26:27], 0
	v_mov_b32_e32 v12, v2
	s_branch .LBB76_86
.LBB76_85:                              ;   in Loop: Header=BB76_86 Depth=1
	s_or_b64 exec, exec, s[34:35]
	v_add_u32_e32 v12, 64, v12
	v_cmp_le_i32_e64 s[20:21], s66, v12
	s_xor_b64 s[4:5], s[18:19], -1
	s_or_b64 s[4:5], s[4:5], s[20:21]
	s_and_b64 s[4:5], exec, s[4:5]
	s_or_b64 s[26:27], s[4:5], s[26:27]
	v_add_u32_e32 v8, s3, v8
	s_andn2_b64 exec, exec, s[26:27]
	s_cbranch_execz .LBB76_88
.LBB76_86:                              ; =>This Inner Loop Header: Depth=1
	v_ashrrev_i32_e32 v9, 31, v8
	v_lshl_add_u64 v[14:15], v[8:9], 2, v[6:7]
	global_load_dword v9, v[14:15], off
	s_waitcnt vmcnt(0)
	v_cmp_ne_u32_e64 s[18:19], v9, v10
	v_cmp_eq_u32_e64 s[20:21], v9, v10
	s_and_saveexec_b64 s[34:35], s[20:21]
	s_cbranch_execz .LBB76_85
; %bb.87:                               ;   in Loop: Header=BB76_86 Depth=1
	v_mov_b32_e32 v1, 1
	ds_write_b32 v11, v12 offset:32
	s_branch .LBB76_85
.LBB76_88:
	s_or_b64 exec, exec, s[26:27]
.LBB76_89:
	s_or_b64 exec, exec, s[24:25]
.LBB76_90:
	s_or_b64 exec, exec, s[22:23]
	s_load_dwordx4 s[72:75], s[0:1], 0x44
	s_and_saveexec_b64 s[18:19], vcc
	s_cbranch_execz .LBB76_92
; %bb.91:
	v_mov_b32_e32 v6, 0x100
	v_lshl_add_u32 v6, v3, 2, v6
	v_mov_b32_e32 v7, -1
	ds_write_b32 v6, v7 offset:36
.LBB76_92:
	s_or_b64 exec, exec, s[18:19]
	v_add_u32_e32 v83, 9, v3
	v_add_u32_e32 v6, v83, v74
	v_cmp_gt_i32_e64 s[4:5], s65, v6
	s_mov_b64 s[24:25], exec
	s_nop 0
	v_writelane_b32 v101, s4, 16
	s_nop 1
	v_writelane_b32 v101, s5, 17
	s_and_b64 s[4:5], s[24:25], s[4:5]
	s_mov_b64 exec, s[4:5]
	s_cbranch_execz .LBB76_100
; %bb.93:
	s_and_saveexec_b64 s[26:27], s[30:31]
	s_cbranch_execz .LBB76_99
; %bb.94:
	v_mul_lo_u32 v6, v83, s71
	v_ashrrev_i32_e32 v7, 31, v6
	v_mov_b32_e32 v8, 0x100
	v_lshl_add_u64 v[6:7], v[6:7], 2, v[4:5]
	v_lshl_add_u32 v11, v3, 2, v8
	v_mul_lo_u32 v8, v2, s70
	s_lshl_b32 s3, s70, 6
	s_mov_b64 s[34:35], 0
	v_mov_b32_e32 v12, v2
	s_branch .LBB76_96
.LBB76_95:                              ;   in Loop: Header=BB76_96 Depth=1
	s_or_b64 exec, exec, s[38:39]
	v_add_u32_e32 v12, 64, v12
	v_cmp_le_i32_e64 s[22:23], s66, v12
	s_xor_b64 s[4:5], s[20:21], -1
	s_or_b64 s[4:5], s[4:5], s[22:23]
	s_and_b64 s[4:5], exec, s[4:5]
	s_or_b64 s[34:35], s[4:5], s[34:35]
	v_add_u32_e32 v8, s3, v8
	s_andn2_b64 exec, exec, s[34:35]
	s_cbranch_execz .LBB76_98
.LBB76_96:                              ; =>This Inner Loop Header: Depth=1
	v_ashrrev_i32_e32 v9, 31, v8
	v_lshl_add_u64 v[14:15], v[8:9], 2, v[6:7]
	global_load_dword v9, v[14:15], off
	s_waitcnt vmcnt(0)
	v_cmp_ne_u32_e64 s[20:21], v9, v10
	v_cmp_eq_u32_e64 s[22:23], v9, v10
	s_and_saveexec_b64 s[38:39], s[22:23]
	s_cbranch_execz .LBB76_95
; %bb.97:                               ;   in Loop: Header=BB76_96 Depth=1
	v_mov_b32_e32 v1, 1
	ds_write_b32 v11, v12 offset:36
	s_branch .LBB76_95
.LBB76_98:
	s_or_b64 exec, exec, s[34:35]
.LBB76_99:
	s_or_b64 exec, exec, s[26:27]
.LBB76_100:
	s_or_b64 exec, exec, s[24:25]
	s_waitcnt lgkmcnt(0)
	s_abs_i32 s3, s75
	s_and_saveexec_b64 s[20:21], vcc
	s_cbranch_execz .LBB76_102
; %bb.101:
	v_mov_b32_e32 v6, 0x100
	v_lshl_add_u32 v6, v3, 2, v6
	v_mov_b32_e32 v7, -1
	ds_write_b32 v6, v7 offset:40
.LBB76_102:
	s_or_b64 exec, exec, s[20:21]
	v_cvt_f32_u32_e32 v11, s3
	v_add_u32_e32 v84, 10, v3
	v_add_u32_e32 v6, v84, v74
	v_cmp_gt_i32_e64 s[4:5], s65, v6
	s_mov_b64 s[26:27], exec
	s_nop 0
	v_writelane_b32 v101, s4, 18
	s_nop 1
	v_writelane_b32 v101, s5, 19
	s_and_b64 s[4:5], s[26:27], s[4:5]
	s_mov_b64 exec, s[4:5]
	s_cbranch_execz .LBB76_110
; %bb.103:
	s_and_saveexec_b64 s[34:35], s[30:31]
	s_cbranch_execz .LBB76_109
; %bb.104:
	v_mul_lo_u32 v6, v84, s71
	v_ashrrev_i32_e32 v7, 31, v6
	v_mov_b32_e32 v8, 0x100
	v_lshl_add_u64 v[6:7], v[6:7], 2, v[4:5]
	v_lshl_add_u32 v12, v3, 2, v8
	v_mul_lo_u32 v8, v2, s70
	s_lshl_b32 s4, s70, 6
	s_mov_b64 s[38:39], 0
	v_mov_b32_e32 v13, v2
	s_branch .LBB76_106
.LBB76_105:                             ;   in Loop: Header=BB76_106 Depth=1
	s_or_b64 exec, exec, s[40:41]
	v_add_u32_e32 v13, 64, v13
	v_cmp_le_i32_e64 s[24:25], s66, v13
	s_xor_b64 s[6:7], s[22:23], -1
	s_or_b64 s[6:7], s[6:7], s[24:25]
	s_and_b64 s[6:7], exec, s[6:7]
	s_or_b64 s[38:39], s[6:7], s[38:39]
	v_add_u32_e32 v8, s4, v8
	s_andn2_b64 exec, exec, s[38:39]
	s_cbranch_execz .LBB76_108
.LBB76_106:                             ; =>This Inner Loop Header: Depth=1
	v_ashrrev_i32_e32 v9, 31, v8
	v_lshl_add_u64 v[14:15], v[8:9], 2, v[6:7]
	global_load_dword v9, v[14:15], off
	s_waitcnt vmcnt(0)
	v_cmp_ne_u32_e64 s[22:23], v9, v10
	v_cmp_eq_u32_e64 s[24:25], v9, v10
	s_and_saveexec_b64 s[40:41], s[24:25]
	s_cbranch_execz .LBB76_105
; %bb.107:                              ;   in Loop: Header=BB76_106 Depth=1
	v_mov_b32_e32 v1, 1
	ds_write_b32 v12, v13 offset:40
	s_branch .LBB76_105
.LBB76_108:
	s_or_b64 exec, exec, s[38:39]
.LBB76_109:
	s_or_b64 exec, exec, s[34:35]
.LBB76_110:
	s_or_b64 exec, exec, s[26:27]
	v_rcp_iflag_f32_e32 v6, v11
	s_and_saveexec_b64 s[22:23], vcc
	s_cbranch_execz .LBB76_112
; %bb.111:
	v_mov_b32_e32 v7, 0x100
	v_lshl_add_u32 v7, v3, 2, v7
	v_mov_b32_e32 v8, -1
	ds_write_b32 v7, v8 offset:44
.LBB76_112:
	s_or_b64 exec, exec, s[22:23]
	v_add_u32_e32 v85, 11, v3
	v_mul_f32_e32 v11, 0x4f7ffffe, v6
	v_add_u32_e32 v6, v85, v74
	v_cmp_gt_i32_e64 s[4:5], s65, v6
	s_mov_b64 s[34:35], exec
	s_nop 0
	v_writelane_b32 v101, s4, 20
	s_nop 1
	v_writelane_b32 v101, s5, 21
	s_and_b64 s[4:5], s[34:35], s[4:5]
	s_mov_b64 exec, s[4:5]
	s_cbranch_execz .LBB76_120
; %bb.113:
	s_and_saveexec_b64 s[38:39], s[30:31]
	s_cbranch_execz .LBB76_119
; %bb.114:
	v_mul_lo_u32 v6, v85, s71
	v_ashrrev_i32_e32 v7, 31, v6
	v_mov_b32_e32 v8, 0x100
	v_lshl_add_u64 v[6:7], v[6:7], 2, v[4:5]
	v_lshl_add_u32 v12, v3, 2, v8
	v_mul_lo_u32 v8, v2, s70
	s_lshl_b32 s4, s70, 6
	s_mov_b64 s[40:41], 0
	v_mov_b32_e32 v13, v2
	s_branch .LBB76_116
.LBB76_115:                             ;   in Loop: Header=BB76_116 Depth=1
	s_or_b64 exec, exec, s[42:43]
	v_add_u32_e32 v13, 64, v13
	v_cmp_le_i32_e64 s[26:27], s66, v13
	s_xor_b64 s[6:7], s[24:25], -1
	s_or_b64 s[6:7], s[6:7], s[26:27]
	s_and_b64 s[6:7], exec, s[6:7]
	s_or_b64 s[40:41], s[6:7], s[40:41]
	v_add_u32_e32 v8, s4, v8
	s_andn2_b64 exec, exec, s[40:41]
	s_cbranch_execz .LBB76_118
.LBB76_116:                             ; =>This Inner Loop Header: Depth=1
	v_ashrrev_i32_e32 v9, 31, v8
	v_lshl_add_u64 v[14:15], v[8:9], 2, v[6:7]
	global_load_dword v9, v[14:15], off
	s_waitcnt vmcnt(0)
	v_cmp_ne_u32_e64 s[24:25], v9, v10
	v_cmp_eq_u32_e64 s[26:27], v9, v10
	s_and_saveexec_b64 s[42:43], s[26:27]
	s_cbranch_execz .LBB76_115
; %bb.117:                              ;   in Loop: Header=BB76_116 Depth=1
	v_mov_b32_e32 v1, 1
	ds_write_b32 v12, v13 offset:44
	s_branch .LBB76_115
.LBB76_118:
	s_or_b64 exec, exec, s[40:41]
.LBB76_119:
	s_or_b64 exec, exec, s[38:39]
.LBB76_120:
	s_or_b64 exec, exec, s[34:35]
	v_cvt_u32_f32_e32 v11, v11
	s_sub_i32 s4, 0, s3
	s_and_saveexec_b64 s[24:25], vcc
	s_cbranch_execz .LBB76_122
; %bb.121:
	v_mov_b32_e32 v6, 0x100
	v_lshl_add_u32 v6, v3, 2, v6
	v_mov_b32_e32 v7, -1
	ds_write_b32 v6, v7 offset:48
.LBB76_122:
	s_or_b64 exec, exec, s[24:25]
	v_add_u32_e32 v86, 12, v3
	v_mul_lo_u32 v12, s4, v11
	v_add_u32_e32 v6, v86, v74
	v_cmp_gt_i32_e64 s[4:5], s65, v6
	s_mov_b64 s[38:39], exec
	s_nop 0
	v_writelane_b32 v101, s4, 22
	s_nop 1
	v_writelane_b32 v101, s5, 23
	s_and_b64 s[4:5], s[38:39], s[4:5]
	s_mov_b64 exec, s[4:5]
	s_cbranch_execz .LBB76_130
; %bb.123:
	s_and_saveexec_b64 s[40:41], s[30:31]
	s_cbranch_execz .LBB76_129
; %bb.124:
	v_mul_lo_u32 v6, v86, s71
	v_ashrrev_i32_e32 v7, 31, v6
	v_mov_b32_e32 v8, 0x100
	v_lshl_add_u64 v[6:7], v[6:7], 2, v[4:5]
	v_lshl_add_u32 v13, v3, 2, v8
	v_mul_lo_u32 v8, v2, s70
	s_lshl_b32 s4, s70, 6
	s_mov_b64 s[42:43], 0
	v_mov_b32_e32 v14, v2
	s_branch .LBB76_126
.LBB76_125:                             ;   in Loop: Header=BB76_126 Depth=1
	s_or_b64 exec, exec, s[44:45]
	v_add_u32_e32 v14, 64, v14
	v_cmp_le_i32_e64 s[34:35], s66, v14
	s_xor_b64 s[6:7], s[26:27], -1
	s_or_b64 s[6:7], s[6:7], s[34:35]
	s_and_b64 s[6:7], exec, s[6:7]
	s_or_b64 s[42:43], s[6:7], s[42:43]
	v_add_u32_e32 v8, s4, v8
	s_andn2_b64 exec, exec, s[42:43]
	s_cbranch_execz .LBB76_128
.LBB76_126:                             ; =>This Inner Loop Header: Depth=1
	v_ashrrev_i32_e32 v9, 31, v8
	v_lshl_add_u64 v[16:17], v[8:9], 2, v[6:7]
	global_load_dword v9, v[16:17], off
	s_waitcnt vmcnt(0)
	v_cmp_ne_u32_e64 s[26:27], v9, v10
	v_cmp_eq_u32_e64 s[34:35], v9, v10
	s_and_saveexec_b64 s[44:45], s[34:35]
	s_cbranch_execz .LBB76_125
; %bb.127:                              ;   in Loop: Header=BB76_126 Depth=1
	v_mov_b32_e32 v1, 1
	ds_write_b32 v13, v14 offset:48
	s_branch .LBB76_125
.LBB76_128:
	s_or_b64 exec, exec, s[42:43]
.LBB76_129:
	s_or_b64 exec, exec, s[40:41]
.LBB76_130:
	s_or_b64 exec, exec, s[38:39]
	v_mul_hi_u32 v6, v11, v12
	s_and_saveexec_b64 s[26:27], vcc
	s_cbranch_execz .LBB76_132
; %bb.131:
	v_mov_b32_e32 v7, 0x100
	v_lshl_add_u32 v7, v3, 2, v7
	v_mov_b32_e32 v8, -1
	ds_write_b32 v7, v8 offset:52
.LBB76_132:
	s_or_b64 exec, exec, s[26:27]
	s_load_dwordx4 s[12:15], s[0:1], 0x54
	v_add_u32_e32 v87, 13, v3
	s_abs_i32 s4, s28
	v_add_u32_e32 v8, v11, v6
	v_add_u32_e32 v6, v87, v74
	v_cmp_gt_i32_e64 s[6:7], s65, v6
	s_mov_b64 s[34:35], exec
	s_nop 0
	v_writelane_b32 v101, s6, 24
	s_nop 1
	v_writelane_b32 v101, s7, 25
	s_and_b64 s[6:7], s[34:35], s[6:7]
	s_mov_b64 exec, s[6:7]
	s_cbranch_execz .LBB76_140
; %bb.133:
	s_and_saveexec_b64 s[38:39], s[30:31]
	s_cbranch_execz .LBB76_139
; %bb.134:
	v_mul_lo_u32 v6, v87, s71
	v_ashrrev_i32_e32 v7, 31, v6
	v_lshl_add_u64 v[4:5], v[6:7], 2, v[4:5]
	v_mov_b32_e32 v6, 0x100
	v_lshl_add_u32 v9, v3, 2, v6
	v_mul_lo_u32 v6, v2, s70
	s_lshl_b32 s5, s70, 6
	s_mov_b64 s[40:41], 0
	v_mov_b32_e32 v11, v2
	s_branch .LBB76_136
.LBB76_135:                             ;   in Loop: Header=BB76_136 Depth=1
	s_or_b64 exec, exec, s[42:43]
	v_add_u32_e32 v11, 64, v11
	v_cmp_le_i32_e64 s[30:31], s66, v11
	s_xor_b64 s[6:7], vcc, -1
	s_or_b64 s[6:7], s[6:7], s[30:31]
	s_and_b64 s[6:7], exec, s[6:7]
	s_or_b64 s[40:41], s[6:7], s[40:41]
	v_add_u32_e32 v6, s5, v6
	s_andn2_b64 exec, exec, s[40:41]
	s_cbranch_execz .LBB76_138
.LBB76_136:                             ; =>This Inner Loop Header: Depth=1
	v_ashrrev_i32_e32 v7, 31, v6
	v_lshl_add_u64 v[12:13], v[6:7], 2, v[4:5]
	global_load_dword v7, v[12:13], off
	s_waitcnt vmcnt(0)
	v_cmp_ne_u32_e32 vcc, v7, v10
	v_cmp_eq_u32_e64 s[30:31], v7, v10
	s_and_saveexec_b64 s[42:43], s[30:31]
	s_cbranch_execz .LBB76_135
; %bb.137:                              ;   in Loop: Header=BB76_136 Depth=1
	v_mov_b32_e32 v1, 1
	ds_write_b32 v9, v11 offset:52
	s_branch .LBB76_135
.LBB76_138:
	s_or_b64 exec, exec, s[40:41]
.LBB76_139:
	s_or_b64 exec, exec, s[38:39]
.LBB76_140:
	s_or_b64 exec, exec, s[34:35]
	s_load_dwordx2 s[6:7], s[36:37], 0xc
	s_load_dwordx2 s[34:35], s[0:1], 0x8
	;; [unrolled: 1-line block ×3, first 2 shown]
	v_cmp_ne_u32_e32 vcc, 0, v1
	v_mul_hi_u32 v4, s4, v8
	s_waitcnt lgkmcnt(0)
	s_and_b32 s5, s7, 0xffff
	v_cndmask_b32_e64 v1, 0, 1, vcc
	v_writelane_b32 v101, s8, 26
	s_lshr_b32 s7, s6, 16
	v_or_b32_dpp v1, v1, v1 row_shl:1 row_mask:0xf bank_mask:0xf bound_ctrl:1
	s_and_b32 s6, s6, 0xffff
	v_writelane_b32 v101, s9, 27
	v_or_b32_dpp v1, v1, v1 row_shl:2 row_mask:0xf bank_mask:0xf bound_ctrl:1
	s_mul_i32 s8, s7, s6
	s_bfe_i32 s8, s8, 0x180000
	v_or_b32_dpp v1, v1, v1 row_shl:4 row_mask:0xf bank_mask:0xf bound_ctrl:1
	s_mul_i32 s5, s8, s5
	s_add_i32 s8, s5, 63
	v_or_b32_dpp v1, v1, v1 row_shl:8 row_mask:0xf bank_mask:0xf bound_ctrl:1
	s_bitcmp1_b32 exec_hi, 0
	s_nop 0
	v_mov_b32_dpp v5, v1 wave_shl:1 row_mask:0xf bank_mask:0xf bound_ctrl:1
	s_nop 1
	v_or_b32_dpp v1, v5, v1 row_mirror row_mask:0xf bank_mask:0xf bound_ctrl:1
	s_nop 0
	v_readlane_b32 s5, v1, 32
	s_cselect_b32 s5, s5, 0
	v_readlane_b32 s9, v1, 0
	s_or_b32 s5, s5, s9
	s_andn2_b32 s8, s8, 63
	s_cmp_lg_u32 s8, 64
	v_mov_b32_e32 v1, s5
	s_cbranch_scc0 .LBB76_147
; %bb.141:
	v_bfe_u32 v0, v0, 20, 10
	v_mbcnt_lo_u32_b32 v1, -1, 0
	v_mad_u32_u24 v0, v0, s7, v3
	v_mbcnt_hi_u32_b32 v5, -1, v1
	v_mad_u64_u32 v[0:1], s[6:7], v0, s6, v[2:3]
	v_lshrrev_b32_e32 v1, 6, v0
	v_or_b32_e32 v1, v5, v1
	v_cmp_eq_u32_e32 vcc, 0, v1
	s_and_saveexec_b64 s[30:31], vcc
	s_cbranch_execz .LBB76_143
; %bb.142:
	v_mov_b32_e32 v1, 0
	v_mov_b32_e32 v6, s5
	ds_write_b32 v1, v6
.LBB76_143:
	s_or_b64 exec, exec, s[30:31]
	v_cmp_eq_u32_e32 vcc, 0, v5
	v_cmp_lt_u32_e64 s[30:31], 63, v0
	s_and_b64 s[6:7], s[30:31], vcc
	s_waitcnt lgkmcnt(0)
	; wave barrier
	s_waitcnt lgkmcnt(0)
	s_and_saveexec_b64 s[30:31], s[6:7]
	s_cbranch_execz .LBB76_146
; %bb.144:
	v_mbcnt_lo_u32_b32 v0, exec_lo, 0
	v_mbcnt_hi_u32_b32 v0, exec_hi, v0
	v_cmp_eq_u32_e32 vcc, 0, v0
	s_and_b64 exec, exec, vcc
	s_cbranch_execz .LBB76_146
; %bb.145:
	v_mov_b32_e32 v0, 0
	v_mov_b32_e32 v1, s5
	ds_or_b32 v0, v1
.LBB76_146:
	s_or_b64 exec, exec, s[30:31]
	v_mov_b32_e32 v0, 0
	s_waitcnt lgkmcnt(0)
	; wave barrier
	s_waitcnt lgkmcnt(0)
	ds_read_b32 v1, v0
	s_waitcnt lgkmcnt(0)
	; wave barrier
	s_waitcnt lgkmcnt(0)
.LBB76_147:
	s_load_dwordx2 s[0:1], s[0:1], 0x0
	v_cmp_ne_u32_e32 vcc, 0, v1
	s_ashr_i32 s5, s28, 31
	s_ashr_i32 s6, s75, 31
	s_cbranch_vccz .LBB76_266
; %bb.148:
	v_lshlrev_b32_e32 v88, 6, v3
	v_add_u32_e32 v89, v88, v2
	v_cmp_le_i32_e32 vcc, s64, v89
	v_and_b32_e32 v6, 15, v2
                                        ; implicit-def: $sgpr7
                                        ; implicit-def: $vgpr90
	s_and_saveexec_b64 s[8:9], vcc
	s_xor_b64 s[30:31], exec, s[8:9]
; %bb.149:
	v_mul_u32_u24_e32 v90, 0x108, v6
	s_mov_b32 s7, 0
                                        ; implicit-def: $vgpr89
                                        ; implicit-def: $vgpr4
                                        ; implicit-def: $vgpr10
                                        ; implicit-def: $vgpr6
; %bb.150:
	s_or_saveexec_b64 s[10:11], s[30:31]
	s_lshl_b32 s8, s2, 6
	v_accvgpr_write_b32 a0, s7
	v_accvgpr_write_b32 a1, s7
	;; [unrolled: 1-line block ×16, first 2 shown]
	v_writelane_b32 v101, s10, 28
	s_nop 1
	v_writelane_b32 v101, s11, 29
	s_xor_b64 exec, exec, s[10:11]
	s_cbranch_execz .LBB76_210
; %bb.151:
	v_mul_lo_u32 v0, v4, s3
	v_sub_u32_e32 v0, s4, v0
	v_add_u32_e32 v1, 1, v4
	v_subrev_u32_e32 v5, s3, v0
	v_cmp_le_u32_e32 vcc, s3, v0
	s_xor_b32 s2, s5, s6
	v_writelane_b32 v101, s46, 30
	v_cndmask_b32_e32 v1, v4, v1, vcc
	v_cndmask_b32_e32 v0, v0, v5, vcc
	v_add_u32_e32 v4, 1, v1
	v_cmp_le_u32_e32 vcc, s3, v0
	v_writelane_b32 v101, s47, 31
	v_writelane_b32 v101, s8, 32
	v_cndmask_b32_e32 v0, v1, v4, vcc
	v_xor_b32_e32 v0, s2, v0
	v_subrev_u32_e32 v0, s2, v0
	s_mul_i32 s2, s8, s67
	s_ashr_i32 s3, s2, 31
	s_lshl_b64 s[4:5], s[2:3], 2
	s_movk_i32 s2, 0x1080
	v_mov_b32_e32 v91, 0x100
	v_writelane_b32 v101, s28, 33
	v_mul_hi_i32 v1, v0, s12
	v_mul_lo_u32 v0, v0, s12
	v_mul_lo_u32 v4, v10, s72
	v_mad_u32_u24 v7, v3, s2, v91
	s_mul_hi_i32 s3, s13, s28
	v_writelane_b32 v101, s12, 34
	s_mul_i32 s2, s13, s28
	v_ashrrev_i32_e32 v5, 31, v4
	s_lshl_b64 s[2:3], s[2:3], 2
	v_lshlrev_b64 v[10:11], 2, v[4:5]
	v_writelane_b32 v101, s13, 35
	v_mul_hi_i32 v5, v74, s68
	v_mul_lo_u32 v4, v74, s68
	s_add_u32 s2, s34, s2
	v_mul_u32_u24_e32 v90, 0x108, v6
	v_lshrrev_b32_e32 v6, 1, v2
	v_lshlrev_b64 v[8:9], 2, v[0:1]
	v_writelane_b32 v101, s14, 36
	s_addc_u32 s3, s35, s3
	v_lshlrev_b64 v[4:5], 2, v[4:5]
	v_and_b32_e32 v6, 0x1f8, v6
	v_writelane_b32 v101, s15, 37
	v_lshl_add_u64 v[4:5], s[2:3], 0, v[4:5]
	v_lshl_add_u32 v92, v2, 2, v7
	v_add3_u32 v93, v7, v90, v6
	s_lshl_b32 s2, s68, 2
	v_lshl_add_u64 v[6:7], v[8:9], 0, s[4:5]
	s_waitcnt lgkmcnt(0)
	v_lshl_add_u64 v[0:1], s[0:1], 0, v[8:9]
	v_writelane_b32 v101, s2, 38
	s_lshl_b32 s2, s68, 3
	v_lshl_add_u64 v[8:9], v[6:7], 0, v[10:11]
	v_writelane_b32 v101, s2, 39
	v_lshl_add_u64 v[8:9], s[0:1], 0, v[8:9]
	s_mul_i32 s0, s67, 3
	v_writelane_b32 v101, s0, 40
	s_mul_i32 s0, s67, 5
	v_lshl_add_u64 v[0:1], v[0:1], 0, v[10:11]
	v_or_b32_e32 v12, 1, v74
	v_add_u32_e32 v13, 2, v74
	s_lshl_b32 s66, s68, 1
	v_add_u32_e32 v14, 3, v74
	v_add_u32_e32 v15, 4, v74
	;; [unrolled: 1-line block ×11, first 2 shown]
	s_ashr_i32 s3, s67, 31
	s_mov_b32 s2, s67
	v_lshlrev_b32_e32 v6, 2, v89
	v_mov_b32_e32 v7, 0
	v_writelane_b32 v101, s0, 41
	s_mul_i32 s0, s67, 6
	v_lshl_add_u64 v[0:1], v[0:1], 0, s[4:5]
	s_lshl_b64 s[2:3], s[2:3], 2
	v_lshl_add_u64 v[8:9], v[8:9], 0, v[6:7]
	s_lshl_b32 s88, s67, 1
	s_lshl_b32 s90, s67, 2
	v_writelane_b32 v101, s0, 42
	s_mul_i32 s93, s67, 7
	s_lshl_b32 s94, s67, 3
	s_mul_i32 s95, s67, 9
	s_mul_i32 s96, s67, 10
	s_mul_i32 s97, s67, 11
	s_mul_i32 s98, s67, 12
	s_mul_i32 s99, s67, 13
	s_mul_i32 s62, s67, 14
	s_mul_i32 s63, s67, 15
	s_lshl_b32 s28, s67, 4
	s_mul_i32 s29, s67, 17
	s_mul_i32 s60, s67, 18
	;; [unrolled: 1-line block ×15, first 2 shown]
	s_lshl_b32 s14, s67, 5
	s_mul_i32 s15, s67, 33
	s_mul_i32 s16, s67, 34
	;; [unrolled: 1-line block ×11, first 2 shown]
	v_cmp_gt_i32_e64 s[0:1], s65, v74
	s_mul_i32 s26, s67, 44
	s_mul_i32 s27, s67, 45
	v_accvgpr_write_b32 a15, 0
	v_accvgpr_write_b32 a14, 0
	;; [unrolled: 1-line block ×16, first 2 shown]
	s_mul_i32 s70, s67, 46
	s_mul_i32 s71, s67, 47
	;; [unrolled: 1-line block ×18, first 2 shown]
	v_cmp_gt_i32_e64 s[30:31], s65, v12
	v_cmp_gt_i32_e64 s[34:35], s65, v13
	;; [unrolled: 1-line block ×13, first 2 shown]
	s_mov_b32 s65, s66
	s_mov_b64 s[66:67], 0
	s_mov_b64 s[76:77], 0x100
	s_branch .LBB76_154
.LBB76_152:                             ;   in Loop: Header=BB76_154 Depth=1
	v_mul_lo_u32 v6, v6, s73
	s_mul_i32 vcc_lo, s68, 13
	v_add_u32_e32 v6, vcc_lo, v6
	v_add_u32_e32 v94, v6, v89
	v_ashrrev_i32_e32 v95, 31, v94
	v_lshl_add_u64 v[94:95], v[94:95], 2, v[4:5]
	global_load_dword v6, v[94:95], off
.LBB76_153:                             ;   in Loop: Header=BB76_154 Depth=1
	v_add_u32_e32 v94, 0xc00, v92
	s_waitcnt vmcnt(0)
	ds_write2_b32 v94, v6, v7 offset0:106 offset1:172
	ds_write_b32 v92, v7 offset:4024
	ds_read2_b64 v[94:97], v93 offset0:8 offset1:12
	v_add_u32_e32 v89, 64, v89
	v_cmp_le_i32_e32 vcc, s64, v89
	v_lshl_add_u64 v[8:9], v[8:9], 0, s[76:77]
	s_or_b64 s[66:67], vcc, s[66:67]
	s_waitcnt lgkmcnt(0)
	v_mfma_f32_16x16x8_xf32 a[12:15], v[16:17], v[94:95], a[12:15]
	v_mfma_f32_16x16x8_xf32 a[8:11], v[42:43], v[94:95], a[8:11]
	;; [unrolled: 1-line block ×5, first 2 shown]
	ds_read2_b64 v[14:17], v93 offset0:16 offset1:20
	v_mfma_f32_16x16x8_xf32 a[8:11], v[38:39], v[96:97], a[8:11]
	v_mfma_f32_16x16x8_xf32 a[4:7], v[54:55], v[96:97], a[4:7]
	;; [unrolled: 1-line block ×3, first 2 shown]
	s_waitcnt lgkmcnt(0)
	v_mfma_f32_16x16x8_xf32 a[12:15], v[12:13], v[14:15], a[12:15]
	v_mfma_f32_16x16x8_xf32 a[8:11], v[36:37], v[14:15], a[8:11]
	;; [unrolled: 1-line block ×5, first 2 shown]
	ds_read2_b64 v[10:13], v93 offset0:24 offset1:28
	v_mfma_f32_16x16x8_xf32 a[8:11], v[34:35], v[16:17], a[8:11]
	v_mfma_f32_16x16x8_xf32 a[4:7], v[50:51], v[16:17], a[4:7]
	;; [unrolled: 1-line block ×3, first 2 shown]
	s_waitcnt lgkmcnt(0)
	v_mfma_f32_16x16x8_xf32 a[12:15], v[24:25], v[10:11], a[12:15]
	v_mfma_f32_16x16x8_xf32 a[8:11], v[32:33], v[10:11], a[8:11]
	v_mfma_f32_16x16x8_xf32 a[4:7], v[48:49], v[10:11], a[4:7]
	v_mfma_f32_16x16x8_xf32 a[0:3], v[68:69], v[10:11], a[0:3]
	v_mfma_f32_16x16x8_xf32 a[12:15], v[22:23], v[12:13], a[12:15]
	v_mfma_f32_16x16x8_xf32 a[8:11], v[30:31], v[12:13], a[8:11]
	v_mfma_f32_16x16x8_xf32 a[4:7], v[46:47], v[12:13], a[4:7]
	v_mfma_f32_16x16x8_xf32 a[0:3], v[64:65], v[12:13], a[0:3]
	ds_read2_b64 v[10:13], v93 offset0:32 offset1:36
	s_waitcnt lgkmcnt(0)
	v_mfma_f32_16x16x8_xf32 a[12:15], v[20:21], v[10:11], a[12:15]
	v_mfma_f32_16x16x8_xf32 a[8:11], v[28:29], v[10:11], a[8:11]
	;; [unrolled: 1-line block ×8, first 2 shown]
	s_andn2_b64 exec, exec, s[66:67]
	s_cbranch_execz .LBB76_209
.LBB76_154:                             ; =>This Inner Loop Header: Depth=1
	v_readlane_b32 vcc_lo, v101, 40
	v_lshl_add_u64 v[10:11], v[8:9], 0, s[2:3]
	global_load_dword v6, v[8:9], off
	global_load_dword v26, v[10:11], off
	v_add_u32_e32 v12, vcc_lo, v89
	v_readlane_b32 vcc_lo, v101, 41
	v_add_u32_e32 v10, s88, v89
	v_add_u32_e32 v14, s90, v89
	v_add_u32_e32 v16, vcc_lo, v89
	v_readlane_b32 vcc_lo, v101, 42
	v_add_u32_e32 v22, s94, v89
	v_ashrrev_i32_e32 v11, 31, v10
	v_ashrrev_i32_e32 v15, 31, v14
	;; [unrolled: 1-line block ×3, first 2 shown]
	v_add_u32_e32 v18, vcc_lo, v89
	v_add_u32_e32 v20, s93, v89
	v_ashrrev_i32_e32 v23, 31, v22
	v_add_u32_e32 v24, s95, v89
	v_lshl_add_u64 v[10:11], v[10:11], 2, v[0:1]
	v_ashrrev_i32_e32 v13, 31, v12
	v_lshl_add_u64 v[14:15], v[14:15], 2, v[0:1]
	v_lshl_add_u64 v[16:17], v[16:17], 2, v[0:1]
	v_ashrrev_i32_e32 v19, 31, v18
	v_ashrrev_i32_e32 v21, 31, v20
	v_lshl_add_u64 v[22:23], v[22:23], 2, v[0:1]
	v_ashrrev_i32_e32 v25, 31, v24
	v_lshl_add_u64 v[12:13], v[12:13], 2, v[0:1]
	v_lshl_add_u64 v[18:19], v[18:19], 2, v[0:1]
	;; [unrolled: 1-line block ×4, first 2 shown]
	global_load_dword v27, v[10:11], off
	global_load_dword v28, v[12:13], off
	;; [unrolled: 1-line block ×6, first 2 shown]
	s_nop 0
	global_load_dword v22, v[22:23], off
	s_nop 0
	global_load_dword v23, v[24:25], off
	v_add_u32_e32 v10, s96, v89
	v_add_u32_e32 v14, s98, v89
	;; [unrolled: 1-line block ×3, first 2 shown]
	v_ashrrev_i32_e32 v11, 31, v10
	v_add_u32_e32 v12, s97, v89
	v_ashrrev_i32_e32 v15, 31, v14
	v_ashrrev_i32_e32 v17, 31, v16
	v_add_u32_e32 v18, s62, v89
	v_add_u32_e32 v20, s63, v89
	v_lshl_add_u64 v[10:11], v[10:11], 2, v[0:1]
	v_ashrrev_i32_e32 v13, 31, v12
	v_lshl_add_u64 v[14:15], v[14:15], 2, v[0:1]
	v_lshl_add_u64 v[16:17], v[16:17], 2, v[0:1]
	v_ashrrev_i32_e32 v19, 31, v18
	v_ashrrev_i32_e32 v21, 31, v20
	v_lshl_add_u64 v[12:13], v[12:13], 2, v[0:1]
	v_lshl_add_u64 v[18:19], v[18:19], 2, v[0:1]
	;; [unrolled: 1-line block ×3, first 2 shown]
	global_load_dword v24, v[10:11], off
	global_load_dword v25, v[12:13], off
	s_nop 0
	global_load_dword v14, v[14:15], off
	s_nop 0
	;; [unrolled: 2-line block ×3, first 2 shown]
	global_load_dword v16, v[18:19], off
	global_load_dword v17, v[20:21], off
	v_add_u32_e32 v10, s28, v89
	v_add_u32_e32 v12, s29, v89
	v_ashrrev_i32_e32 v11, 31, v10
	v_ashrrev_i32_e32 v13, 31, v12
	v_lshl_add_u64 v[10:11], v[10:11], 2, v[0:1]
	v_add_u32_e32 v18, s60, v89
	v_lshl_add_u64 v[12:13], v[12:13], 2, v[0:1]
	global_load_dword v34, v[10:11], off
	global_load_dword v35, v[12:13], off
	v_ashrrev_i32_e32 v19, 31, v18
	v_add_u32_e32 v20, s61, v89
	v_lshl_add_u64 v[18:19], v[18:19], 2, v[0:1]
	v_ashrrev_i32_e32 v21, 31, v20
	v_lshl_add_u64 v[20:21], v[20:21], 2, v[0:1]
	s_andn2_b64 vcc, exec, s[0:1]
	s_waitcnt vmcnt(17)
	ds_write_b32 v92, v6 offset:64
	s_waitcnt vmcnt(16)
	ds_write_b32 v92, v26 offset:328
	;; [unrolled: 2-line block ×16, first 2 shown]
	v_add_u32_e32 v22, s58, v89
	v_add_u32_e32 v24, s59, v89
	;; [unrolled: 1-line block ×6, first 2 shown]
	v_ashrrev_i32_e32 v23, 31, v22
	v_ashrrev_i32_e32 v25, 31, v24
	;; [unrolled: 1-line block ×6, first 2 shown]
	ds_read_b64 v[16:17], v93 offset:64
	ds_read_b64 v[14:15], v93 offset:96
	;; [unrolled: 1-line block ×4, first 2 shown]
	v_lshl_add_u64 v[22:23], v[22:23], 2, v[0:1]
	v_lshl_add_u64 v[24:25], v[24:25], 2, v[0:1]
	v_lshl_add_u64 v[26:27], v[26:27], 2, v[0:1]
	v_lshl_add_u64 v[28:29], v[28:29], 2, v[0:1]
	v_lshl_add_u64 v[30:31], v[30:31], 2, v[0:1]
	v_lshl_add_u64 v[32:33], v[32:33], 2, v[0:1]
	global_load_dword v6, v[18:19], off
	global_load_dword v36, v[20:21], off
	global_load_dword v37, v[22:23], off
	global_load_dword v38, v[24:25], off
	global_load_dword v39, v[26:27], off
	global_load_dword v40, v[28:29], off
	global_load_dword v41, v[30:31], off
	global_load_dword v42, v[32:33], off
	v_add_u32_e32 v18, s10, v89
	v_ashrrev_i32_e32 v19, 31, v18
	v_add_u32_e32 v20, s11, v89
	v_add_u32_e32 v22, s78, v89
	v_add_u32_e32 v24, s12, v89
	v_add_u32_e32 v26, s13, v89
	v_add_u32_e32 v28, s5, v89
	v_add_u32_e32 v30, s14, v89
	v_add_u32_e32 v32, s15, v89
	v_lshl_add_u64 v[18:19], v[18:19], 2, v[0:1]
	v_ashrrev_i32_e32 v21, 31, v20
	v_ashrrev_i32_e32 v23, 31, v22
	v_ashrrev_i32_e32 v25, 31, v24
	v_ashrrev_i32_e32 v27, 31, v26
	v_ashrrev_i32_e32 v29, 31, v28
	v_ashrrev_i32_e32 v31, 31, v30
	v_ashrrev_i32_e32 v33, 31, v32
	v_lshl_add_u64 v[20:21], v[20:21], 2, v[0:1]
	v_lshl_add_u64 v[22:23], v[22:23], 2, v[0:1]
	v_lshl_add_u64 v[24:25], v[24:25], 2, v[0:1]
	v_lshl_add_u64 v[26:27], v[26:27], 2, v[0:1]
	v_lshl_add_u64 v[28:29], v[28:29], 2, v[0:1]
	v_lshl_add_u64 v[30:31], v[30:31], 2, v[0:1]
	v_lshl_add_u64 v[32:33], v[32:33], 2, v[0:1]
	global_load_dword v43, v[18:19], off
	global_load_dword v44, v[20:21], off
	global_load_dword v45, v[22:23], off
	global_load_dword v46, v[24:25], off
	global_load_dword v47, v[26:27], off
	global_load_dword v48, v[28:29], off
	global_load_dword v49, v[30:31], off
	global_load_dword v50, v[32:33], off
	v_add_u32_e32 v18, s16, v89
	v_ashrrev_i32_e32 v19, 31, v18
	v_add_u32_e32 v20, s17, v89
	v_add_u32_e32 v22, s18, v89
	v_add_u32_e32 v24, s19, v89
	v_add_u32_e32 v26, s20, v89
	v_add_u32_e32 v28, s21, v89
	v_add_u32_e32 v30, s22, v89
	v_add_u32_e32 v32, s23, v89
	v_lshl_add_u64 v[18:19], v[18:19], 2, v[0:1]
	v_ashrrev_i32_e32 v21, 31, v20
	v_ashrrev_i32_e32 v23, 31, v22
	v_ashrrev_i32_e32 v25, 31, v24
	v_ashrrev_i32_e32 v27, 31, v26
	v_ashrrev_i32_e32 v29, 31, v28
	v_ashrrev_i32_e32 v31, 31, v30
	v_ashrrev_i32_e32 v33, 31, v32
	v_lshl_add_u64 v[20:21], v[20:21], 2, v[0:1]
	;; [unrolled: 32-line block ×4, first 2 shown]
	v_lshl_add_u64 v[22:23], v[22:23], 2, v[0:1]
	v_lshl_add_u64 v[24:25], v[24:25], 2, v[0:1]
	;; [unrolled: 1-line block ×6, first 2 shown]
	global_load_dword v67, v[18:19], off
	global_load_dword v68, v[20:21], off
	;; [unrolled: 1-line block ×8, first 2 shown]
	v_add_u32_e32 v18, s4, v89
	v_ashrrev_i32_e32 v19, 31, v18
	v_add_u32_e32 v20, s75, v89
	v_add_u32_e32 v22, s82, v89
	;; [unrolled: 1-line block ×5, first 2 shown]
	v_lshl_add_u64 v[18:19], v[18:19], 2, v[0:1]
	v_ashrrev_i32_e32 v21, 31, v20
	v_ashrrev_i32_e32 v23, 31, v22
	;; [unrolled: 1-line block ×5, first 2 shown]
	v_lshl_add_u64 v[20:21], v[20:21], 2, v[0:1]
	v_lshl_add_u64 v[22:23], v[22:23], 2, v[0:1]
	;; [unrolled: 1-line block ×5, first 2 shown]
	global_load_dword v95, v[18:19], off
	global_load_dword v96, v[20:21], off
	;; [unrolled: 1-line block ×6, first 2 shown]
	ds_read_b64 v[24:25], v93 offset:192
	ds_read_b64 v[22:23], v93 offset:224
	ds_read_b64 v[20:21], v93 offset:256
	ds_read_b64 v[18:19], v93 offset:288
	s_waitcnt vmcnt(47)
	ds_write_b32 v92, v34 offset:64
	s_waitcnt vmcnt(46)
	ds_write_b32 v92, v35 offset:328
	s_waitcnt vmcnt(45)
	ds_write_b32 v92, v6 offset:592
	s_waitcnt vmcnt(44)
	ds_write_b32 v92, v36 offset:856
	s_waitcnt vmcnt(43)
	ds_write_b32 v92, v37 offset:1120
	s_waitcnt vmcnt(42)
	ds_write_b32 v92, v38 offset:1384
	s_waitcnt vmcnt(41)
	ds_write_b32 v92, v39 offset:1648
	s_waitcnt vmcnt(40)
	ds_write_b32 v92, v40 offset:1912
	s_waitcnt vmcnt(39)
	ds_write_b32 v92, v41 offset:2176
	s_waitcnt vmcnt(38)
	ds_write_b32 v92, v42 offset:2440
	s_waitcnt vmcnt(37)
	ds_write_b32 v92, v43 offset:2704
	s_waitcnt vmcnt(36)
	ds_write_b32 v92, v44 offset:2968
	s_waitcnt vmcnt(35)
	ds_write_b32 v92, v45 offset:3232
	s_waitcnt vmcnt(34)
	ds_write_b32 v92, v46 offset:3496
	s_waitcnt vmcnt(33)
	ds_write_b32 v92, v47 offset:3760
	s_waitcnt vmcnt(32)
	ds_write_b32 v92, v48 offset:4024
	ds_read_b64 v[42:43], v93 offset:64
	ds_read_b64 v[38:39], v93 offset:96
	ds_read_b64 v[36:37], v93 offset:128
	ds_read_b64 v[34:35], v93 offset:160
	ds_read_b64 v[32:33], v93 offset:192
	ds_read_b64 v[30:31], v93 offset:224
	ds_read_b64 v[28:29], v93 offset:256
	ds_read_b64 v[26:27], v93 offset:288
	s_waitcnt vmcnt(31)
	ds_write_b32 v92, v49 offset:64
	s_waitcnt vmcnt(30)
	ds_write_b32 v92, v50 offset:328
	s_waitcnt vmcnt(29)
	ds_write_b32 v92, v51 offset:592
	s_waitcnt vmcnt(28)
	ds_write_b32 v92, v52 offset:856
	s_waitcnt vmcnt(27)
	ds_write_b32 v92, v53 offset:1120
	s_waitcnt vmcnt(26)
	ds_write_b32 v92, v54 offset:1384
	s_waitcnt vmcnt(25)
	ds_write_b32 v92, v55 offset:1648
	s_waitcnt vmcnt(24)
	ds_write_b32 v92, v56 offset:1912
	s_waitcnt vmcnt(23)
	ds_write_b32 v92, v57 offset:2176
	s_waitcnt vmcnt(22)
	ds_write_b32 v92, v58 offset:2440
	s_waitcnt vmcnt(21)
	ds_write_b32 v92, v59 offset:2704
	s_waitcnt vmcnt(20)
	ds_write_b32 v92, v60 offset:2968
	s_waitcnt vmcnt(19)
	ds_write_b32 v92, v61 offset:3232
	s_waitcnt vmcnt(18)
	ds_write_b32 v92, v62 offset:3496
	s_waitcnt vmcnt(17)
	ds_write_b32 v92, v63 offset:3760
	s_waitcnt vmcnt(16)
	ds_write_b32 v92, v64 offset:4024
	ds_read_b64 v[56:57], v93 offset:64
	ds_read_b64 v[54:55], v93 offset:96
	ds_read_b64 v[52:53], v93 offset:128
	ds_read_b64 v[50:51], v93 offset:160
	ds_read_b64 v[48:49], v93 offset:192
	ds_read_b64 v[46:47], v93 offset:224
	ds_read_b64 v[44:45], v93 offset:256
	ds_read_b64 v[40:41], v93 offset:288
	s_waitcnt vmcnt(15)
	ds_write_b32 v92, v65 offset:64
	s_waitcnt vmcnt(14)
	ds_write_b32 v92, v66 offset:328
	s_waitcnt vmcnt(13)
	ds_write_b32 v92, v67 offset:592
	s_waitcnt vmcnt(12)
	ds_write_b32 v92, v68 offset:856
	s_waitcnt vmcnt(11)
	ds_write_b32 v92, v69 offset:1120
	s_waitcnt vmcnt(10)
	ds_write_b32 v92, v70 offset:1384
	s_waitcnt vmcnt(9)
	ds_write_b32 v92, v71 offset:1648
	s_waitcnt vmcnt(8)
	ds_write_b32 v92, v72 offset:1912
	s_waitcnt vmcnt(7)
	ds_write_b32 v92, v73 offset:2176
	s_waitcnt vmcnt(6)
	ds_write_b32 v92, v94 offset:2440
	s_waitcnt vmcnt(5)
	ds_write_b32 v92, v95 offset:2704
	s_waitcnt vmcnt(4)
	ds_write_b32 v92, v96 offset:2968
	s_waitcnt vmcnt(3)
	ds_write_b32 v92, v97 offset:3232
	s_waitcnt vmcnt(2)
	ds_write_b32 v92, v98 offset:3496
	s_waitcnt vmcnt(1)
	ds_write_b32 v92, v99 offset:3760
	s_waitcnt vmcnt(0)
	ds_write_b32 v92, v100 offset:4024
	ds_read_b64 v[72:73], v93 offset:64
	ds_read_b64 v[70:71], v93 offset:96
	ds_read_b64 v[66:67], v93 offset:128
	ds_read_b64 v[62:63], v93 offset:160
	ds_read_b64 v[68:69], v93 offset:192
	ds_read_b64 v[64:65], v93 offset:224
	;; [unrolled: 1-line block ×4, first 2 shown]
	v_mov_b32_e32 v6, 0
	s_cbranch_vccnz .LBB76_158
; %bb.155:                              ;   in Loop: Header=BB76_154 Depth=1
	ds_read_b32 v6, v91
	s_waitcnt lgkmcnt(0)
	v_cmp_gt_i32_e32 vcc, 0, v6
	s_cbranch_vccnz .LBB76_157
; %bb.156:                              ;   in Loop: Header=BB76_154 Depth=1
	v_mul_lo_u32 v6, v6, s73
	v_add_u32_e32 v94, v89, v6
	v_ashrrev_i32_e32 v95, 31, v94
	v_lshl_add_u64 v[94:95], v[94:95], 2, v[4:5]
	global_load_dword v6, v[94:95], off
	s_branch .LBB76_158
.LBB76_157:                             ;   in Loop: Header=BB76_154 Depth=1
	v_mov_b32_e32 v6, 0
.LBB76_158:                             ;   in Loop: Header=BB76_154 Depth=1
	s_waitcnt vmcnt(0)
	ds_write_b32 v92, v6 offset:64
	s_andn2_b64 vcc, exec, s[30:31]
	v_mov_b32_e32 v6, 0
	v_mov_b32_e32 v94, 0
	s_cbranch_vccnz .LBB76_161
; %bb.159:                              ;   in Loop: Header=BB76_154 Depth=1
	ds_read_b32 v94, v91 offset:4
	s_waitcnt lgkmcnt(0)
	v_cmp_gt_i32_e32 vcc, 0, v94
	s_cbranch_vccnz .LBB76_164
; %bb.160:                              ;   in Loop: Header=BB76_154 Depth=1
	v_mul_lo_u32 v94, v94, s73
	v_add_u32_e32 v94, s68, v94
	v_add_u32_e32 v94, v94, v89
	v_ashrrev_i32_e32 v95, 31, v94
	v_lshl_add_u64 v[94:95], v[94:95], 2, v[4:5]
	global_load_dword v94, v[94:95], off
.LBB76_161:                             ;   in Loop: Header=BB76_154 Depth=1
	s_andn2_b64 vcc, exec, s[34:35]
	s_waitcnt vmcnt(0)
	ds_write_b32 v92, v94 offset:328
	s_cbranch_vccnz .LBB76_166
.LBB76_162:                             ;   in Loop: Header=BB76_154 Depth=1
	ds_read_b32 v6, v91 offset:8
	s_waitcnt lgkmcnt(0)
	v_cmp_gt_i32_e32 vcc, 0, v6
	s_cbranch_vccnz .LBB76_165
; %bb.163:                              ;   in Loop: Header=BB76_154 Depth=1
	v_mul_lo_u32 v6, v6, s73
	v_add_u32_e32 v6, s65, v6
	v_add_u32_e32 v94, v6, v89
	v_ashrrev_i32_e32 v95, 31, v94
	v_lshl_add_u64 v[94:95], v[94:95], 2, v[4:5]
	global_load_dword v6, v[94:95], off
	s_branch .LBB76_166
.LBB76_164:                             ;   in Loop: Header=BB76_154 Depth=1
	v_mov_b32_e32 v94, 0
	s_andn2_b64 vcc, exec, s[34:35]
	ds_write_b32 v92, v94 offset:328
	s_cbranch_vccz .LBB76_162
	s_branch .LBB76_166
.LBB76_165:                             ;   in Loop: Header=BB76_154 Depth=1
	v_mov_b32_e32 v6, 0
.LBB76_166:                             ;   in Loop: Header=BB76_154 Depth=1
	s_waitcnt vmcnt(0)
	ds_write_b32 v92, v6 offset:592
	s_andn2_b64 vcc, exec, s[36:37]
	v_mov_b32_e32 v6, 0
	v_mov_b32_e32 v94, 0
	s_cbranch_vccnz .LBB76_169
; %bb.167:                              ;   in Loop: Header=BB76_154 Depth=1
	ds_read_b32 v94, v91 offset:12
	s_waitcnt lgkmcnt(0)
	v_cmp_gt_i32_e32 vcc, 0, v94
	s_cbranch_vccnz .LBB76_172
; %bb.168:                              ;   in Loop: Header=BB76_154 Depth=1
	v_mul_lo_u32 v94, v94, s73
	s_mul_i32 vcc_lo, s68, 3
	v_add_u32_e32 v94, vcc_lo, v94
	v_add_u32_e32 v94, v94, v89
	v_ashrrev_i32_e32 v95, 31, v94
	v_lshl_add_u64 v[94:95], v[94:95], 2, v[4:5]
	global_load_dword v94, v[94:95], off
.LBB76_169:                             ;   in Loop: Header=BB76_154 Depth=1
	s_andn2_b64 vcc, exec, s[38:39]
	s_waitcnt vmcnt(0)
	ds_write_b32 v92, v94 offset:856
	s_cbranch_vccnz .LBB76_174
.LBB76_170:                             ;   in Loop: Header=BB76_154 Depth=1
	ds_read_b32 v6, v91 offset:16
	s_waitcnt lgkmcnt(0)
	v_cmp_gt_i32_e32 vcc, 0, v6
	s_cbranch_vccnz .LBB76_173
; %bb.171:                              ;   in Loop: Header=BB76_154 Depth=1
	v_mul_lo_u32 v6, v6, s73
	v_readlane_b32 vcc_lo, v101, 38
	s_nop 1
	v_add_u32_e32 v6, vcc_lo, v6
	v_add_u32_e32 v94, v6, v89
	v_ashrrev_i32_e32 v95, 31, v94
	v_lshl_add_u64 v[94:95], v[94:95], 2, v[4:5]
	global_load_dword v6, v[94:95], off
	s_branch .LBB76_174
.LBB76_172:                             ;   in Loop: Header=BB76_154 Depth=1
	v_mov_b32_e32 v94, 0
	s_andn2_b64 vcc, exec, s[38:39]
	ds_write_b32 v92, v94 offset:856
	s_cbranch_vccz .LBB76_170
	s_branch .LBB76_174
.LBB76_173:                             ;   in Loop: Header=BB76_154 Depth=1
	v_mov_b32_e32 v6, 0
.LBB76_174:                             ;   in Loop: Header=BB76_154 Depth=1
	s_waitcnt vmcnt(0)
	ds_write_b32 v92, v6 offset:1120
	s_andn2_b64 vcc, exec, s[40:41]
	v_mov_b32_e32 v6, 0
	v_mov_b32_e32 v94, 0
	s_cbranch_vccnz .LBB76_177
; %bb.175:                              ;   in Loop: Header=BB76_154 Depth=1
	ds_read_b32 v94, v91 offset:20
	s_waitcnt lgkmcnt(0)
	v_cmp_gt_i32_e32 vcc, 0, v94
	s_cbranch_vccnz .LBB76_180
; %bb.176:                              ;   in Loop: Header=BB76_154 Depth=1
	v_mul_lo_u32 v94, v94, s73
	s_mul_i32 vcc_lo, s68, 5
	v_add_u32_e32 v94, vcc_lo, v94
	v_add_u32_e32 v94, v94, v89
	v_ashrrev_i32_e32 v95, 31, v94
	v_lshl_add_u64 v[94:95], v[94:95], 2, v[4:5]
	global_load_dword v94, v[94:95], off
.LBB76_177:                             ;   in Loop: Header=BB76_154 Depth=1
	s_andn2_b64 vcc, exec, s[42:43]
	s_waitcnt vmcnt(0)
	ds_write_b32 v92, v94 offset:1384
	s_cbranch_vccnz .LBB76_182
.LBB76_178:                             ;   in Loop: Header=BB76_154 Depth=1
	ds_read_b32 v6, v91 offset:24
	s_waitcnt lgkmcnt(0)
	v_cmp_gt_i32_e32 vcc, 0, v6
	s_cbranch_vccnz .LBB76_181
; %bb.179:                              ;   in Loop: Header=BB76_154 Depth=1
	v_mul_lo_u32 v6, v6, s73
	s_mul_i32 vcc_lo, s68, 6
	v_add_u32_e32 v6, vcc_lo, v6
	v_add_u32_e32 v94, v6, v89
	v_ashrrev_i32_e32 v95, 31, v94
	v_lshl_add_u64 v[94:95], v[94:95], 2, v[4:5]
	global_load_dword v6, v[94:95], off
	s_branch .LBB76_182
.LBB76_180:                             ;   in Loop: Header=BB76_154 Depth=1
	v_mov_b32_e32 v94, 0
	s_andn2_b64 vcc, exec, s[42:43]
	ds_write_b32 v92, v94 offset:1384
	s_cbranch_vccz .LBB76_178
	s_branch .LBB76_182
.LBB76_181:                             ;   in Loop: Header=BB76_154 Depth=1
	v_mov_b32_e32 v6, 0
.LBB76_182:                             ;   in Loop: Header=BB76_154 Depth=1
	s_waitcnt vmcnt(0)
	ds_write_b32 v92, v6 offset:1648
	s_andn2_b64 vcc, exec, s[44:45]
	v_mov_b32_e32 v6, 0
	v_mov_b32_e32 v94, 0
	s_cbranch_vccnz .LBB76_185
; %bb.183:                              ;   in Loop: Header=BB76_154 Depth=1
	ds_read_b32 v94, v91 offset:28
	s_waitcnt lgkmcnt(0)
	v_cmp_gt_i32_e32 vcc, 0, v94
	s_cbranch_vccnz .LBB76_188
; %bb.184:                              ;   in Loop: Header=BB76_154 Depth=1
	v_mul_lo_u32 v94, v94, s73
	s_mul_i32 vcc_lo, s68, 7
	v_add_u32_e32 v94, vcc_lo, v94
	v_add_u32_e32 v94, v94, v89
	v_ashrrev_i32_e32 v95, 31, v94
	v_lshl_add_u64 v[94:95], v[94:95], 2, v[4:5]
	global_load_dword v94, v[94:95], off
.LBB76_185:                             ;   in Loop: Header=BB76_154 Depth=1
	s_andn2_b64 vcc, exec, s[46:47]
	s_waitcnt vmcnt(0)
	ds_write_b32 v92, v94 offset:1912
	s_cbranch_vccnz .LBB76_190
.LBB76_186:                             ;   in Loop: Header=BB76_154 Depth=1
	ds_read_b32 v6, v91 offset:32
	s_waitcnt lgkmcnt(0)
	v_cmp_gt_i32_e32 vcc, 0, v6
	s_cbranch_vccnz .LBB76_189
; %bb.187:                              ;   in Loop: Header=BB76_154 Depth=1
	v_mul_lo_u32 v6, v6, s73
	v_readlane_b32 vcc_lo, v101, 39
	s_nop 1
	v_add_u32_e32 v6, vcc_lo, v6
	v_add_u32_e32 v94, v6, v89
	v_ashrrev_i32_e32 v95, 31, v94
	v_lshl_add_u64 v[94:95], v[94:95], 2, v[4:5]
	global_load_dword v6, v[94:95], off
	s_branch .LBB76_190
.LBB76_188:                             ;   in Loop: Header=BB76_154 Depth=1
	v_mov_b32_e32 v94, 0
	s_andn2_b64 vcc, exec, s[46:47]
	ds_write_b32 v92, v94 offset:1912
	s_cbranch_vccz .LBB76_186
	s_branch .LBB76_190
.LBB76_189:                             ;   in Loop: Header=BB76_154 Depth=1
	v_mov_b32_e32 v6, 0
.LBB76_190:                             ;   in Loop: Header=BB76_154 Depth=1
	s_waitcnt vmcnt(0)
	ds_write_b32 v92, v6 offset:2176
	s_andn2_b64 vcc, exec, s[48:49]
	v_mov_b32_e32 v6, 0
	v_mov_b32_e32 v94, 0
	s_cbranch_vccnz .LBB76_193
; %bb.191:                              ;   in Loop: Header=BB76_154 Depth=1
	ds_read_b32 v94, v91 offset:36
	s_waitcnt lgkmcnt(0)
	v_cmp_gt_i32_e32 vcc, 0, v94
	s_cbranch_vccnz .LBB76_196
; %bb.192:                              ;   in Loop: Header=BB76_154 Depth=1
	v_mul_lo_u32 v94, v94, s73
	s_mul_i32 vcc_lo, s68, 9
	v_add_u32_e32 v94, vcc_lo, v94
	v_add_u32_e32 v94, v94, v89
	v_ashrrev_i32_e32 v95, 31, v94
	v_lshl_add_u64 v[94:95], v[94:95], 2, v[4:5]
	global_load_dword v94, v[94:95], off
.LBB76_193:                             ;   in Loop: Header=BB76_154 Depth=1
	s_andn2_b64 vcc, exec, s[50:51]
	s_waitcnt vmcnt(0)
	ds_write_b32 v92, v94 offset:2440
	s_cbranch_vccnz .LBB76_198
.LBB76_194:                             ;   in Loop: Header=BB76_154 Depth=1
	ds_read_b32 v6, v91 offset:40
	s_waitcnt lgkmcnt(0)
	v_cmp_gt_i32_e32 vcc, 0, v6
	s_cbranch_vccnz .LBB76_197
; %bb.195:                              ;   in Loop: Header=BB76_154 Depth=1
	v_mul_lo_u32 v6, v6, s73
	s_mul_i32 vcc_lo, s68, 10
	v_add_u32_e32 v6, vcc_lo, v6
	v_add_u32_e32 v94, v6, v89
	v_ashrrev_i32_e32 v95, 31, v94
	v_lshl_add_u64 v[94:95], v[94:95], 2, v[4:5]
	global_load_dword v6, v[94:95], off
	s_branch .LBB76_198
.LBB76_196:                             ;   in Loop: Header=BB76_154 Depth=1
	v_mov_b32_e32 v94, 0
	s_andn2_b64 vcc, exec, s[50:51]
	ds_write_b32 v92, v94 offset:2440
	s_cbranch_vccz .LBB76_194
	s_branch .LBB76_198
.LBB76_197:                             ;   in Loop: Header=BB76_154 Depth=1
	v_mov_b32_e32 v6, 0
.LBB76_198:                             ;   in Loop: Header=BB76_154 Depth=1
	s_waitcnt vmcnt(0)
	ds_write_b32 v92, v6 offset:2704
	s_andn2_b64 vcc, exec, s[52:53]
	v_mov_b32_e32 v6, 0
	v_mov_b32_e32 v94, 0
	s_cbranch_vccz .LBB76_201
; %bb.199:                              ;   in Loop: Header=BB76_154 Depth=1
	s_andn2_b64 vcc, exec, s[54:55]
	ds_write_b32 v92, v94 offset:2968
	s_cbranch_vccz .LBB76_204
.LBB76_200:                             ;   in Loop: Header=BB76_154 Depth=1
	ds_write_b32 v92, v6 offset:3232
	s_andn2_b64 vcc, exec, s[56:57]
	v_mov_b32_e32 v6, 0
	s_cbranch_vccnz .LBB76_153
	s_branch .LBB76_207
.LBB76_201:                             ;   in Loop: Header=BB76_154 Depth=1
	ds_read_b32 v94, v91 offset:44
	s_waitcnt lgkmcnt(0)
	v_cmp_gt_i32_e32 vcc, 0, v94
	s_cbranch_vccnz .LBB76_203
; %bb.202:                              ;   in Loop: Header=BB76_154 Depth=1
	v_mul_lo_u32 v94, v94, s73
	s_mul_i32 vcc_lo, s68, 11
	v_add_u32_e32 v94, vcc_lo, v94
	v_add_u32_e32 v94, v94, v89
	v_ashrrev_i32_e32 v95, 31, v94
	v_lshl_add_u64 v[94:95], v[94:95], 2, v[4:5]
	global_load_dword v94, v[94:95], off
	s_andn2_b64 vcc, exec, s[54:55]
	s_waitcnt vmcnt(0)
	ds_write_b32 v92, v94 offset:2968
	s_cbranch_vccnz .LBB76_200
	s_branch .LBB76_204
.LBB76_203:                             ;   in Loop: Header=BB76_154 Depth=1
	v_mov_b32_e32 v94, 0
	s_andn2_b64 vcc, exec, s[54:55]
	ds_write_b32 v92, v94 offset:2968
	s_cbranch_vccnz .LBB76_200
.LBB76_204:                             ;   in Loop: Header=BB76_154 Depth=1
	ds_read_b32 v6, v91 offset:48
	s_waitcnt lgkmcnt(0)
	v_cmp_gt_i32_e32 vcc, 0, v6
	s_cbranch_vccnz .LBB76_206
; %bb.205:                              ;   in Loop: Header=BB76_154 Depth=1
	v_mul_lo_u32 v6, v6, s73
	s_mul_i32 vcc_lo, s68, 12
	v_add_u32_e32 v6, vcc_lo, v6
	v_add_u32_e32 v94, v6, v89
	v_ashrrev_i32_e32 v95, 31, v94
	v_lshl_add_u64 v[94:95], v[94:95], 2, v[4:5]
	global_load_dword v6, v[94:95], off
	s_waitcnt vmcnt(0)
	ds_write_b32 v92, v6 offset:3232
	s_andn2_b64 vcc, exec, s[56:57]
	v_mov_b32_e32 v6, 0
	s_cbranch_vccnz .LBB76_153
	s_branch .LBB76_207
.LBB76_206:                             ;   in Loop: Header=BB76_154 Depth=1
	v_mov_b32_e32 v6, 0
	ds_write_b32 v92, v6 offset:3232
	s_andn2_b64 vcc, exec, s[56:57]
	v_mov_b32_e32 v6, 0
	s_cbranch_vccnz .LBB76_153
.LBB76_207:                             ;   in Loop: Header=BB76_154 Depth=1
	ds_read_b32 v6, v91 offset:52
	s_waitcnt lgkmcnt(0)
	v_cmp_gt_i32_e32 vcc, 0, v6
	s_cbranch_vccz .LBB76_152
; %bb.208:                              ;   in Loop: Header=BB76_154 Depth=1
	v_mov_b32_e32 v6, 0
	s_branch .LBB76_153
.LBB76_209:
	s_or_b64 exec, exec, s[66:67]
	v_readlane_b32 s46, v101, 30
	v_readlane_b32 s12, v101, 34
	;; [unrolled: 1-line block ×8, first 2 shown]
.LBB76_210:
	s_waitcnt lgkmcnt(0)
	v_readlane_b32 s0, v101, 28
	v_readlane_b32 s1, v101, 29
	s_or_b64 exec, exec, s[0:1]
	s_movk_i32 s0, 0x100
	v_lshlrev_b32_e32 v0, 2, v88
	v_add3_u32 v0, s0, v90, v0
	v_and_b32_e32 v4, 0x3f0, v2
	v_add_u32_e32 v5, v0, v4
	ds_write2_b32 v5, a12, a13 offset0:16 offset1:17
	v_or_b32_e32 v5, 12, v2
	v_add_u32_e32 v1, 64, v0
	v_and_b32_e32 v5, 0x3fc, v5
	v_add_u32_e32 v4, v1, v4
	v_add_u32_e32 v0, v0, v5
	ds_write_b32 v4, a14 offset:8
	ds_write_b32 v0, a15 offset:64
	ds_write2_b32 v4, a8, a9 offset0:16 offset1:17
	ds_write_b32 v4, a10 offset:72
	v_add_u32_e32 v0, v1, v5
	ds_write_b32 v0, a11 offset:64
	ds_write2_b32 v4, a4, a5 offset0:32 offset1:33
	ds_write_b32 v4, a6 offset:136
	ds_write_b32 v0, a7 offset:128
	ds_write2_b32 v4, a0, a1 offset0:48 offset1:49
	ds_write_b32 v4, a2 offset:200
	ds_write_b32 v0, a3 offset:192
	v_mov_b32_e32 v0, 0x100
	v_lshl_add_u32 v4, v2, 2, v0
	s_movk_i32 s0, 0x108
	v_mad_u32_u24 v1, v3, s0, v4
	ds_read_b32 v5, v1 offset:64
	v_cmp_gt_u32_e32 vcc, 14, v3
	v_mov_b32_e32 v6, -1
	s_and_saveexec_b64 s[0:1], vcc
	s_cbranch_execz .LBB76_212
; %bb.211:
	v_lshl_add_u32 v0, v3, 2, v0
	ds_read_b32 v6, v0
.LBB76_212:
	s_or_b64 exec, exec, s[0:1]
	s_mul_hi_i32 s1, s14, s28
	s_mul_i32 s0, s14, s28
	s_lshl_b64 s[0:1], s[0:1], 2
	v_readlane_b32 s2, v101, 26
	v_mul_hi_i32 v1, v74, s69
	v_mul_lo_u32 v0, v74, s69
	v_readlane_b32 s3, v101, 27
	s_add_u32 s0, s2, s0
	s_addc_u32 s1, s3, s1
	v_lshlrev_b64 v[0:1], 2, v[0:1]
	s_waitcnt lgkmcnt(0)
	v_cmp_lt_i32_e32 vcc, -1, v6
	v_mul_u32_u24_e32 v7, 0x108, v3
	v_add_u32_e32 v2, s8, v2
	v_lshl_add_u64 v[0:1], s[0:1], 0, v[0:1]
	s_and_b64 s[2:3], vcc, s[46:47]
	s_and_saveexec_b64 s[0:1], s[2:3]
	s_cbranch_execz .LBB76_214
; %bb.213:
	v_mul_lo_u32 v6, v6, s74
	v_mul_lo_u32 v8, v3, s69
	v_add3_u32 v8, v2, v8, v6
	v_mov_b32_e32 v9, 0
	v_add_f32_e32 v5, 0, v5
	v_lshl_add_u64 v[8:9], v[8:9], 2, v[0:1]
	global_store_dword v[8:9], v5, off
.LBB76_214:
	s_or_b64 exec, exec, s[0:1]
	v_add_u32_e32 v4, v7, v4
	ds_read_b32 v5, v4 offset:328
	v_cmp_gt_u32_e32 vcc, 13, v3
	v_mov_b32_e32 v6, -1
	s_and_saveexec_b64 s[0:1], vcc
	s_cbranch_execz .LBB76_216
; %bb.215:
	v_mov_b32_e32 v6, 0x100
	v_lshl_add_u32 v6, v3, 2, v6
	ds_read_b32 v6, v6 offset:4
.LBB76_216:
	s_or_b64 exec, exec, s[0:1]
	v_readlane_b32 s0, v101, 0
	s_waitcnt lgkmcnt(0)
	v_cmp_lt_i32_e32 vcc, -1, v6
	v_readlane_b32 s1, v101, 1
	s_and_b64 s[2:3], vcc, s[0:1]
	s_and_saveexec_b64 s[0:1], s[2:3]
	s_cbranch_execz .LBB76_218
; %bb.217:
	v_mul_lo_u32 v6, v6, s74
	v_mul_lo_u32 v7, v75, s69
	v_add3_u32 v6, v2, v7, v6
	v_mov_b32_e32 v7, 0
	v_add_f32_e32 v5, 0, v5
	v_lshl_add_u64 v[6:7], v[6:7], 2, v[0:1]
	global_store_dword v[6:7], v5, off
.LBB76_218:
	s_or_b64 exec, exec, s[0:1]
	ds_read_b32 v5, v4 offset:592
	v_cmp_gt_u32_e32 vcc, 12, v3
	v_mov_b32_e32 v6, -1
	s_and_saveexec_b64 s[0:1], vcc
	s_cbranch_execz .LBB76_220
; %bb.219:
	v_mov_b32_e32 v6, 0x100
	v_lshl_add_u32 v6, v3, 2, v6
	ds_read_b32 v6, v6 offset:8
.LBB76_220:
	s_or_b64 exec, exec, s[0:1]
	v_readlane_b32 s0, v101, 2
	s_waitcnt lgkmcnt(0)
	v_cmp_lt_i32_e32 vcc, -1, v6
	v_readlane_b32 s1, v101, 3
	s_and_b64 s[2:3], vcc, s[0:1]
	s_and_saveexec_b64 s[0:1], s[2:3]
	s_cbranch_execz .LBB76_222
; %bb.221:
	v_mul_lo_u32 v6, v6, s74
	v_mul_lo_u32 v7, v76, s69
	v_add3_u32 v6, v2, v7, v6
	v_mov_b32_e32 v7, 0
	v_add_f32_e32 v5, 0, v5
	v_lshl_add_u64 v[6:7], v[6:7], 2, v[0:1]
	global_store_dword v[6:7], v5, off
.LBB76_222:
	s_or_b64 exec, exec, s[0:1]
	;; [unrolled: 28-line block ×12, first 2 shown]
	ds_read_b32 v4, v4 offset:3496
	v_cmp_eq_u32_e32 vcc, 0, v3
	v_mov_b32_e32 v3, -1
	s_and_saveexec_b64 s[0:1], vcc
	s_cbranch_execz .LBB76_264
; %bb.263:
	v_mov_b32_e32 v3, 0x100
	ds_read_b32 v3, v3 offset:52
.LBB76_264:
	s_or_b64 exec, exec, s[0:1]
	v_readlane_b32 s0, v101, 24
	s_waitcnt lgkmcnt(0)
	v_cmp_lt_i32_e32 vcc, -1, v3
	v_readlane_b32 s1, v101, 25
	s_and_b64 s[0:1], vcc, s[0:1]
	s_and_saveexec_b64 s[2:3], s[0:1]
	s_cbranch_execz .LBB76_266
; %bb.265:
	v_mul_lo_u32 v3, v3, s74
	v_mul_lo_u32 v5, v87, s69
	v_add3_u32 v2, v2, v5, v3
	v_mov_b32_e32 v3, 0
	v_add_f32_e32 v4, 0, v4
	v_lshl_add_u64 v[0:1], v[2:3], 2, v[0:1]
	global_store_dword v[0:1], v4, off
.LBB76_266:
	s_endpgm
	.section	.rodata,"a",@progbits
	.p2align	6, 0x0
	.amdhsa_kernel _ZL9mul_mat_fIfLi64ELi14ELi1ELb1EEvPKT_PKfPKiPfiiiiiiiiiiiiiiii
		.amdhsa_group_segment_fixed_size 256
		.amdhsa_private_segment_fixed_size 0
		.amdhsa_kernarg_size 352
		.amdhsa_user_sgpr_count 2
		.amdhsa_user_sgpr_dispatch_ptr 0
		.amdhsa_user_sgpr_queue_ptr 0
		.amdhsa_user_sgpr_kernarg_segment_ptr 1
		.amdhsa_user_sgpr_dispatch_id 0
		.amdhsa_user_sgpr_kernarg_preload_length 0
		.amdhsa_user_sgpr_kernarg_preload_offset 0
		.amdhsa_user_sgpr_private_segment_size 0
		.amdhsa_uses_dynamic_stack 0
		.amdhsa_enable_private_segment 0
		.amdhsa_system_sgpr_workgroup_id_x 1
		.amdhsa_system_sgpr_workgroup_id_y 1
		.amdhsa_system_sgpr_workgroup_id_z 1
		.amdhsa_system_sgpr_workgroup_info 0
		.amdhsa_system_vgpr_workitem_id 2
		.amdhsa_next_free_vgpr 120
		.amdhsa_next_free_sgpr 100
		.amdhsa_accum_offset 104
		.amdhsa_reserve_vcc 1
		.amdhsa_float_round_mode_32 0
		.amdhsa_float_round_mode_16_64 0
		.amdhsa_float_denorm_mode_32 3
		.amdhsa_float_denorm_mode_16_64 3
		.amdhsa_dx10_clamp 1
		.amdhsa_ieee_mode 1
		.amdhsa_fp16_overflow 0
		.amdhsa_tg_split 0
		.amdhsa_exception_fp_ieee_invalid_op 0
		.amdhsa_exception_fp_denorm_src 0
		.amdhsa_exception_fp_ieee_div_zero 0
		.amdhsa_exception_fp_ieee_overflow 0
		.amdhsa_exception_fp_ieee_underflow 0
		.amdhsa_exception_fp_ieee_inexact 0
		.amdhsa_exception_int_div_zero 0
	.end_amdhsa_kernel
	.section	.text._ZL9mul_mat_fIfLi64ELi14ELi1ELb1EEvPKT_PKfPKiPfiiiiiiiiiiiiiiii,"axG",@progbits,_ZL9mul_mat_fIfLi64ELi14ELi1ELb1EEvPKT_PKfPKiPfiiiiiiiiiiiiiiii,comdat
.Lfunc_end76:
	.size	_ZL9mul_mat_fIfLi64ELi14ELi1ELb1EEvPKT_PKfPKiPfiiiiiiiiiiiiiiii, .Lfunc_end76-_ZL9mul_mat_fIfLi64ELi14ELi1ELb1EEvPKT_PKfPKiPfiiiiiiiiiiiiiiii
                                        ; -- End function
	.section	.AMDGPU.csdata,"",@progbits
; Kernel info:
; codeLenInByte = 12660
; NumSgprs: 106
; NumVgprs: 102
; NumAgprs: 16
; TotalNumVgprs: 120
; ScratchSize: 0
; MemoryBound: 0
; FloatMode: 240
; IeeeMode: 1
; LDSByteSize: 256 bytes/workgroup (compile time only)
; SGPRBlocks: 13
; VGPRBlocks: 14
; NumSGPRsForWavesPerEU: 106
; NumVGPRsForWavesPerEU: 120
; AccumOffset: 104
; Occupancy: 4
; WaveLimiterHint : 0
; COMPUTE_PGM_RSRC2:SCRATCH_EN: 0
; COMPUTE_PGM_RSRC2:USER_SGPR: 2
; COMPUTE_PGM_RSRC2:TRAP_HANDLER: 0
; COMPUTE_PGM_RSRC2:TGID_X_EN: 1
; COMPUTE_PGM_RSRC2:TGID_Y_EN: 1
; COMPUTE_PGM_RSRC2:TGID_Z_EN: 1
; COMPUTE_PGM_RSRC2:TIDIG_COMP_CNT: 2
; COMPUTE_PGM_RSRC3_GFX90A:ACCUM_OFFSET: 25
; COMPUTE_PGM_RSRC3_GFX90A:TG_SPLIT: 0
	.section	.text._ZL9mul_mat_fIfLi64ELi14ELi1ELb0EEvPKT_PKfPKiPfiiiiiiiiiiiiiiii,"axG",@progbits,_ZL9mul_mat_fIfLi64ELi14ELi1ELb0EEvPKT_PKfPKiPfiiiiiiiiiiiiiiii,comdat
	.globl	_ZL9mul_mat_fIfLi64ELi14ELi1ELb0EEvPKT_PKfPKiPfiiiiiiiiiiiiiiii ; -- Begin function _ZL9mul_mat_fIfLi64ELi14ELi1ELb0EEvPKT_PKfPKiPfiiiiiiiiiiiiiiii
	.p2align	8
	.type	_ZL9mul_mat_fIfLi64ELi14ELi1ELb0EEvPKT_PKfPKiPfiiiiiiiiiiiiiiii,@function
_ZL9mul_mat_fIfLi64ELi14ELi1ELb0EEvPKT_PKfPKiPfiiiiiiiiiiiiiiii: ; @_ZL9mul_mat_fIfLi64ELi14ELi1ELb0EEvPKT_PKfPKiPfiiiiiiiiiiiiiiii
; %bb.0:
	s_load_dword s5, s[0:1], 0x20
	s_load_dwordx4 s[16:19], s[0:1], 0x2c
	v_bfe_u32 v76, v0, 10, 10
	v_lshlrev_b32_e32 v78, 6, v76
	v_and_b32_e32 v77, 0x3ff, v0
	v_or_b32_e32 v79, v78, v77
	s_mov_b32 s20, 0
	s_waitcnt lgkmcnt(0)
	s_ashr_i32 s19, s4, 31
	v_cmp_le_i32_e32 vcc, s5, v79
	v_and_b32_e32 v1, 15, v77
                                        ; implicit-def: $vgpr80
	s_and_saveexec_b64 s[6:7], vcc
	s_xor_b64 s[6:7], exec, s[6:7]
; %bb.1:
	v_mul_u32_u24_e32 v80, 0x108, v1
                                        ; implicit-def: $vgpr79
                                        ; implicit-def: $vgpr1
; %bb.2:
	s_or_saveexec_b64 s[24:25], s[6:7]
	s_load_dwordx8 s[8:15], s[0:1], 0x40
	s_load_dwordx2 s[6:7], s[0:1], 0x18
	s_lshl_b32 s2, s2, 6
	v_accvgpr_write_b32 a4, s20
	v_accvgpr_write_b32 a5, s20
	;; [unrolled: 1-line block ×16, first 2 shown]
	v_lshlrev_b32_e32 v0, 2, v77
	s_xor_b64 exec, exec, s[24:25]
	s_cbranch_execz .LBB77_6
; %bb.3:
	s_waitcnt lgkmcnt(0)
	s_abs_i32 s26, s8
	v_cvt_f32_u32_e32 v2, s26
	s_abs_i32 s27, s12
	v_cvt_f32_u32_e32 v3, s27
	s_sub_i32 s20, 0, s26
	v_rcp_iflag_f32_e32 v2, v2
	s_abs_i32 s28, s3
	v_rcp_iflag_f32_e32 v3, v3
	s_sub_i32 s21, 0, s27
	v_mul_f32_e32 v2, 0x4f7ffffe, v2
	v_cvt_u32_f32_e32 v2, v2
	v_mul_f32_e32 v3, 0x4f7ffffe, v3
	v_cvt_u32_f32_e32 v3, v3
	s_abs_i32 s29, s4
	v_mul_lo_u32 v4, s20, v2
	v_mul_hi_u32 v4, v2, v4
	v_add_u32_e32 v2, v2, v4
	v_mul_hi_u32 v2, s28, v2
	v_mul_lo_u32 v5, s21, v3
	v_mul_lo_u32 v4, v2, s26
	v_mul_hi_u32 v5, v3, v5
	v_sub_u32_e32 v4, s28, v4
	v_add_u32_e32 v3, v3, v5
	v_add_u32_e32 v5, 1, v2
	v_subrev_u32_e32 v6, s26, v4
	v_cmp_le_u32_e32 vcc, s26, v4
	s_load_dwordx4 s[20:23], s[0:1], 0x0
	s_ashr_i32 s0, s3, 31
	v_cndmask_b32_e32 v2, v2, v5, vcc
	v_cndmask_b32_e32 v4, v4, v6, vcc
	s_ashr_i32 s1, s8, 31
	v_add_u32_e32 v5, 1, v2
	v_cmp_le_u32_e32 vcc, s26, v4
	s_xor_b32 s0, s0, s1
	v_mul_hi_u32 v3, s29, v3
	v_cndmask_b32_e32 v2, v2, v5, vcc
	v_xor_b32_e32 v2, s0, v2
	v_subrev_u32_e32 v4, s0, v2
	v_mul_lo_u32 v2, v3, s27
	v_sub_u32_e32 v2, s29, v2
	v_add_u32_e32 v5, 1, v3
	v_subrev_u32_e32 v6, s27, v2
	v_cmp_le_u32_e32 vcc, s27, v2
	s_ashr_i32 s8, s12, 31
	s_xor_b32 s0, s19, s8
	v_cndmask_b32_e32 v3, v3, v5, vcc
	v_cndmask_b32_e32 v2, v2, v6, vcc
	v_add_u32_e32 v5, 1, v3
	v_cmp_le_u32_e32 vcc, s27, v2
	v_mul_lo_u32 v4, v4, s9
	s_mul_i32 s12, s3, s10
	v_cndmask_b32_e32 v2, v3, v5, vcc
	v_xor_b32_e32 v2, s0, v2
	v_subrev_u32_e32 v2, s0, v2
	v_mul_hi_i32 v3, v2, s13
	v_mul_lo_u32 v2, v2, s13
	v_ashrrev_i32_e32 v5, 31, v4
	s_mul_i32 s0, s2, s16
	s_ashr_i32 s1, s0, 31
	v_lshlrev_b64 v[6:7], 2, v[2:3]
	v_lshlrev_b64 v[2:3], 2, v[4:5]
	s_mul_hi_i32 s9, s14, s4
	s_mul_i32 s8, s14, s4
	s_lshl_b64 s[0:1], s[0:1], 2
	s_waitcnt lgkmcnt(0)
	v_lshl_add_u64 v[2:3], s[20:21], 0, v[2:3]
	s_ashr_i32 s13, s12, 31
	v_lshl_add_u64 v[8:9], v[2:3], 0, s[0:1]
	s_lshl_b64 s[8:9], s[8:9], 2
	s_lshl_b64 s[0:1], s[12:13], 2
	s_add_u32 s12, s22, s0
	s_movk_i32 s10, 0x1080
	v_mul_u32_u24_e32 v80, 0x108, v1
	v_lshrrev_b32_e32 v1, 1, v77
	s_addc_u32 s13, s23, s1
	v_mad_u32_u24 v4, v76, s10, 0
	v_and_b32_e32 v1, 0x1f8, v1
	s_add_u32 s0, s12, s8
	v_add3_u32 v82, v4, v80, v1
	v_mov_b32_e32 v1, 0
	s_addc_u32 s1, s13, s9
	s_ashr_i32 s21, s16, 31
	s_mov_b32 s20, s16
	s_ashr_i32 s23, s17, 31
	s_mov_b32 s22, s17
	v_lshlrev_b32_e32 v10, 8, v76
	v_mov_b32_e32 v11, v1
	v_lshl_add_u64 v[2:3], v[8:9], 0, v[6:7]
	v_lshl_add_u64 v[6:7], v[6:7], 0, v[10:11]
	s_lshl_b64 s[20:21], s[20:21], 2
	v_lshl_add_u64 v[10:11], s[8:9], 0, v[10:11]
	s_lshl_b64 s[8:9], s[22:23], 2
	s_add_u32 s8, s12, s8
	v_add_u32_e32 v81, v4, v0
	v_lshl_add_u64 v[4:5], v[8:9], 0, s[20:21]
	s_addc_u32 s9, s13, s9
	v_lshl_add_u64 v[4:5], v[4:5], 0, v[6:7]
	v_lshl_add_u64 v[6:7], v[8:9], 0, v[6:7]
	;; [unrolled: 1-line block ×4, first 2 shown]
	s_lshl_b32 s10, s17, 1
	s_mul_i32 s14, s17, 3
	s_lshl_b32 s19, s17, 2
	s_mul_i32 s20, s17, 5
	s_mul_i32 s21, s17, 6
	;; [unrolled: 1-line block ×3, first 2 shown]
	s_lshl_b32 s23, s17, 3
	s_mul_i32 s26, s17, 9
	s_mul_i32 s27, s17, 10
	;; [unrolled: 1-line block ×5, first 2 shown]
	s_lshl_b32 s30, s16, 1
	s_mul_i32 s31, s16, 3
	s_lshl_b32 s33, s16, 2
	s_mul_i32 s34, s16, 5
	s_mul_i32 s35, s16, 6
	;; [unrolled: 1-line block ×3, first 2 shown]
	s_lshl_b32 s37, s16, 3
	s_mul_i32 s38, s16, 9
	s_mul_i32 s39, s16, 10
	;; [unrolled: 1-line block ×7, first 2 shown]
	s_lshl_b32 s45, s16, 4
	s_mul_i32 s46, s16, 17
	s_mul_i32 s47, s16, 18
	;; [unrolled: 1-line block ×15, first 2 shown]
	s_lshl_b32 s61, s16, 5
	s_mul_i32 s62, s16, 33
	s_mul_i32 s63, s16, 34
	s_mul_i32 s64, s16, 35
	s_mul_i32 s65, s16, 36
	s_mul_i32 s66, s16, 37
	s_mul_i32 s67, s16, 38
	s_mul_i32 s68, s16, 39
	s_mul_i32 s69, s16, 40
	s_mul_i32 s70, s16, 41
	s_mul_i32 s71, s16, 42
	s_mul_i32 s72, s16, 43
	s_mul_i32 s73, s16, 44
	s_mul_i32 s74, s16, 45
	s_mul_i32 s75, s16, 46
	s_mul_i32 s76, s16, 47
	s_mul_i32 s77, s16, 48
	v_mov_b32_e32 v83, 0
	v_accvgpr_write_b32 a15, 0
	v_accvgpr_write_b32 a14, 0
	;; [unrolled: 1-line block ×16, first 2 shown]
	s_mul_i32 s78, s16, 49
	s_mul_i32 s79, s16, 50
	;; [unrolled: 1-line block ×15, first 2 shown]
	s_mov_b64 s[8:9], 0
	s_mov_b64 s[12:13], 0x100
.LBB77_4:                               ; =>This Inner Loop Header: Depth=1
	v_add_u32_e32 v56, s30, v79
	v_add_u32_e32 v50, s31, v79
	;; [unrolled: 1-line block ×18, first 2 shown]
	v_ashrrev_i32_e32 v57, 31, v56
	v_ashrrev_i32_e32 v51, 31, v50
	;; [unrolled: 1-line block ×9, first 2 shown]
	v_lshl_add_u64 v[60:61], v[6:7], 0, v[0:1]
	v_lshl_add_u64 v[58:59], v[4:5], 0, v[0:1]
	v_add_u32_e32 v30, s47, v79
	v_add_u32_e32 v14, s50, v79
	;; [unrolled: 1-line block ×3, first 2 shown]
	v_lshl_add_u64 v[84:85], v[10:11], 0, v[0:1]
	v_lshl_add_u64 v[88:89], v[8:9], 0, v[0:1]
	;; [unrolled: 1-line block ×5, first 2 shown]
	v_ashrrev_i32_e32 v53, 31, v52
	v_lshl_add_u64 v[46:47], v[46:47], 2, v[2:3]
	v_ashrrev_i32_e32 v49, 31, v48
	v_lshl_add_u64 v[42:43], v[42:43], 2, v[2:3]
	;; [unrolled: 2-line block ×4, first 2 shown]
	v_lshl_add_u64 v[28:29], v[28:29], 2, v[2:3]
	v_lshl_add_u64 v[34:35], v[34:35], 2, v[2:3]
	v_ashrrev_i32_e32 v23, 31, v22
	v_ashrrev_i32_e32 v37, 31, v36
	;; [unrolled: 1-line block ×5, first 2 shown]
	v_add_u32_e32 v12, s52, v79
	v_add_u32_e32 v16, s53, v79
	global_load_dword v86, v[60:61], off
	global_load_dword v87, v[58:59], off
	s_nop 0
	global_load_dword v84, v[84:85], off
	v_lshl_add_u64 v[48:49], v[48:49], 2, v[2:3]
	global_load_dword v85, v[88:89], off
	v_lshl_add_u64 v[44:45], v[44:45], 2, v[2:3]
	global_load_dword v88, v[56:57], off
	global_load_dword v54, v[50:51], off
	;; [unrolled: 1-line block ×3, first 2 shown]
	v_lshl_add_u64 v[90:91], v[52:53], 2, v[2:3]
	global_load_dword v52, v[46:47], off
	global_load_dword v53, v[90:91], off
	s_nop 0
	global_load_dword v42, v[42:43], off
	s_nop 0
	;; [unrolled: 2-line block ×4, first 2 shown]
	global_load_dword v39, v[44:45], off
	v_lshl_add_u64 v[40:41], v[40:41], 2, v[2:3]
	global_load_dword v32, v[32:33], off
	s_nop 0
	global_load_dword v33, v[40:41], off
	s_nop 0
	;; [unrolled: 2-line block ×3, first 2 shown]
	global_load_dword v29, v[34:35], off
	v_lshl_add_u64 v[22:23], v[22:23], 2, v[2:3]
	v_lshl_add_u64 v[34:35], v[36:37], 2, v[2:3]
	v_ashrrev_i32_e32 v31, 31, v30
	v_lshl_add_u64 v[24:25], v[24:25], 2, v[2:3]
	v_lshl_add_u64 v[18:19], v[18:19], 2, v[2:3]
	v_lshl_add_u64 v[26:27], v[26:27], 2, v[2:3]
	v_ashrrev_i32_e32 v15, 31, v14
	v_ashrrev_i32_e32 v21, 31, v20
	v_add_u32_e32 v70, s54, v79
	v_add_u32_e32 v74, s55, v79
	global_load_dword v23, v[22:23], off
	s_nop 0
	global_load_dword v22, v[34:35], off
	v_lshl_add_u64 v[30:31], v[30:31], 2, v[2:3]
	global_load_dword v24, v[24:25], off
	s_nop 0
	global_load_dword v25, v[30:31], off
	global_load_dword v34, v[18:19], off
	;; [unrolled: 1-line block ×3, first 2 shown]
	v_lshl_add_u64 v[14:15], v[14:15], 2, v[2:3]
	v_lshl_add_u64 v[26:27], v[20:21], 2, v[2:3]
	v_ashrrev_i32_e32 v13, 31, v12
	v_ashrrev_i32_e32 v17, 31, v16
	v_add_u32_e32 v66, s56, v79
	v_add_u32_e32 v72, s57, v79
	v_add_u32_e32 v64, s58, v79
	v_add_u32_e32 v62, s60, v79
	v_add_u32_e32 v58, s62, v79
	v_add_u32_e32 v50, s64, v79
	v_add_u32_e32 v48, s66, v79
	v_add_u32_e32 v90, s67, v79
	global_load_dword v20, v[14:15], off
	global_load_dword v21, v[26:27], off
	v_lshl_add_u64 v[12:13], v[12:13], 2, v[2:3]
	v_lshl_add_u64 v[26:27], v[16:17], 2, v[2:3]
	v_ashrrev_i32_e32 v71, 31, v70
	v_ashrrev_i32_e32 v75, 31, v74
	v_add_u32_e32 v68, s59, v79
	v_add_u32_e32 v60, s61, v79
	;; [unrolled: 1-line block ×6, first 2 shown]
	global_load_dword v16, v[12:13], off
	global_load_dword v17, v[26:27], off
	v_lshl_add_u64 v[26:27], v[70:71], 2, v[2:3]
	v_lshl_add_u64 v[44:45], v[74:75], 2, v[2:3]
	v_ashrrev_i32_e32 v67, 31, v66
	v_ashrrev_i32_e32 v73, 31, v72
	;; [unrolled: 1-line block ×8, first 2 shown]
	v_add_u32_e32 v94, s70, v79
	v_add_u32_e32 v18, s72, v79
	global_load_dword v36, v[26:27], off
	global_load_dword v37, v[44:45], off
	v_lshl_add_u64 v[44:45], v[66:67], 2, v[2:3]
	v_lshl_add_u64 v[66:67], v[72:73], 2, v[2:3]
	v_ashrrev_i32_e32 v69, 31, v68
	v_lshl_add_u64 v[64:65], v[64:65], 2, v[2:3]
	v_ashrrev_i32_e32 v61, 31, v60
	;; [unrolled: 2-line block ×4, first 2 shown]
	v_lshl_add_u64 v[50:51], v[50:51], 2, v[2:3]
	v_lshl_add_u64 v[48:49], v[48:49], 2, v[2:3]
	;; [unrolled: 1-line block ×3, first 2 shown]
	v_ashrrev_i32_e32 v41, 31, v40
	v_ashrrev_i32_e32 v93, 31, v92
	v_add_u32_e32 v30, s71, v79
	v_add_u32_e32 v14, s73, v79
	v_add_u32_e32 v12, s74, v79
	v_add_u32_e32 v26, s75, v79
	global_load_dword v44, v[44:45], off
	s_nop 0
	global_load_dword v45, v[66:67], off
	v_lshl_add_u64 v[68:69], v[68:69], 2, v[2:3]
	global_load_dword v64, v[64:65], off
	s_nop 0
	global_load_dword v65, v[68:69], off
	v_lshl_add_u64 v[70:71], v[60:61], 2, v[2:3]
	global_load_dword v61, v[62:63], off
	global_load_dword v60, v[70:71], off
	v_lshl_add_u64 v[56:57], v[56:57], 2, v[2:3]
	global_load_dword v62, v[58:59], off
	;; [unrolled: 3-line block ×3, first 2 shown]
	global_load_dword v47, v[58:59], off
	s_nop 0
	global_load_dword v50, v[48:49], off
	global_load_dword v51, v[72:73], off
	v_lshl_add_u64 v[40:41], v[40:41], 2, v[2:3]
	v_lshl_add_u64 v[72:73], v[92:93], 2, v[2:3]
	v_ashrrev_i32_e32 v95, 31, v94
	v_ashrrev_i32_e32 v19, 31, v18
	v_add_u32_e32 v66, s76, v79
	v_add_u32_e32 v68, s77, v79
	global_load_dword v74, v[40:41], off
	global_load_dword v75, v[72:73], off
	v_ashrrev_i32_e32 v31, 31, v30
	v_lshl_add_u64 v[72:73], v[94:95], 2, v[2:3]
	v_ashrrev_i32_e32 v15, 31, v14
	v_lshl_add_u64 v[18:19], v[18:19], 2, v[2:3]
	v_ashrrev_i32_e32 v13, 31, v12
	v_ashrrev_i32_e32 v27, 31, v26
	v_add_u32_e32 v70, s78, v79
	v_add_u32_e32 v56, s79, v79
	v_lshl_add_u64 v[30:31], v[30:31], 2, v[2:3]
	global_load_dword v72, v[72:73], off
	s_nop 0
	global_load_dword v73, v[30:31], off
	v_lshl_add_u64 v[14:15], v[14:15], 2, v[2:3]
	global_load_dword v90, v[18:19], off
	global_load_dword v91, v[14:15], off
	v_lshl_add_u64 v[12:13], v[12:13], 2, v[2:3]
	v_lshl_add_u64 v[18:19], v[26:27], 2, v[2:3]
	v_ashrrev_i32_e32 v67, 31, v66
	v_ashrrev_i32_e32 v69, 31, v68
	v_add_u32_e32 v58, s80, v79
	v_add_u32_e32 v48, s81, v79
	;; [unrolled: 1-line block ×4, first 2 shown]
	global_load_dword v92, v[12:13], off
	global_load_dword v93, v[18:19], off
	v_add_u32_e32 v12, s85, v79
	v_lshl_add_u64 v[18:19], v[66:67], 2, v[2:3]
	v_lshl_add_u64 v[26:27], v[68:69], 2, v[2:3]
	v_ashrrev_i32_e32 v71, 31, v70
	v_ashrrev_i32_e32 v57, 31, v56
	v_add_u32_e32 v30, s83, v79
	global_load_dword v68, v[18:19], off
	global_load_dword v69, v[26:27], off
	v_add_u32_e32 v18, s86, v79
	v_lshl_add_u64 v[26:27], v[70:71], 2, v[2:3]
	v_lshl_add_u64 v[56:57], v[56:57], 2, v[2:3]
	v_ashrrev_i32_e32 v59, 31, v58
	v_ashrrev_i32_e32 v49, 31, v48
	;; [unrolled: 1-line block ×5, first 2 shown]
	global_load_dword v94, v[26:27], off
	global_load_dword v95, v[56:57], off
	v_add_u32_e32 v26, s87, v79
	v_lshl_add_u64 v[56:57], v[58:59], 2, v[2:3]
	v_lshl_add_u64 v[48:49], v[48:49], 2, v[2:3]
	v_ashrrev_i32_e32 v31, 31, v30
	v_lshl_add_u64 v[40:41], v[40:41], 2, v[2:3]
	v_lshl_add_u64 v[14:15], v[14:15], 2, v[2:3]
	;; [unrolled: 1-line block ×3, first 2 shown]
	v_ashrrev_i32_e32 v19, 31, v18
	global_load_dword v96, v[56:57], off
	global_load_dword v97, v[48:49], off
	v_add_u32_e32 v48, s88, v79
	v_lshl_add_u64 v[30:31], v[30:31], 2, v[2:3]
	global_load_dword v98, v[40:41], off
	global_load_dword v99, v[30:31], off
	;; [unrolled: 1-line block ×4, first 2 shown]
	v_add_u32_e32 v12, s90, v79
	v_ashrrev_i32_e32 v27, 31, v26
	v_lshl_add_u64 v[14:15], v[18:19], 2, v[2:3]
	v_add_u32_e32 v30, s89, v79
	v_lshl_add_u64 v[18:19], v[26:27], 2, v[2:3]
	global_load_dword v102, v[14:15], off
	global_load_dword v103, v[18:19], off
	v_add_u32_e32 v14, s91, v79
	v_ashrrev_i32_e32 v49, 31, v48
	v_ashrrev_i32_e32 v13, 31, v12
	;; [unrolled: 1-line block ×3, first 2 shown]
	v_lshl_add_u64 v[18:19], v[48:49], 2, v[2:3]
	v_ashrrev_i32_e32 v15, 31, v14
	v_lshl_add_u64 v[12:13], v[12:13], 2, v[2:3]
	v_lshl_add_u64 v[26:27], v[30:31], 2, v[2:3]
	global_load_dword v104, v[18:19], off
	global_load_dword v105, v[26:27], off
	v_add_u32_e32 v18, s16, v79
	v_lshl_add_u64 v[14:15], v[14:15], 2, v[2:3]
	global_load_dword v106, v[12:13], off
	global_load_dword v107, v[14:15], off
	v_add_u32_e32 v12, s10, v79
	v_ashrrev_i32_e32 v19, 31, v18
	v_ashrrev_i32_e32 v13, 31, v12
	v_lshl_add_u64 v[14:15], v[18:19], 2, v[2:3]
	v_lshl_add_u64 v[12:13], v[12:13], 2, s[0:1]
	global_load_dword v108, v[14:15], off
	global_load_dword v109, v[12:13], off
	v_add_u32_e32 v12, s14, v79
	v_ashrrev_i32_e32 v13, 31, v12
	v_lshl_add_u64 v[12:13], v[12:13], 2, s[0:1]
	global_load_dword v110, v[12:13], off
	v_add_u32_e32 v12, s19, v79
	v_ashrrev_i32_e32 v13, 31, v12
	v_lshl_add_u64 v[12:13], v[12:13], 2, s[0:1]
	;; [unrolled: 4-line block ×11, first 2 shown]
	global_load_dword v119, v[12:13], off
	s_waitcnt vmcnt(62)
	ds_write_b32 v81, v86
	ds_write_b32 v81, v87 offset:264
	ds_write_b32 v81, v88 offset:528
	;; [unrolled: 1-line block ×13, first 2 shown]
	s_waitcnt vmcnt(61)
	ds_write_b32 v81, v29 offset:3696
	s_waitcnt vmcnt(60)
	ds_write_b32 v81, v23 offset:3960
	ds_read_b64 v[58:59], v82
	ds_read_b64 v[48:49], v82 offset:32
	ds_read_b64 v[40:41], v82 offset:64
	ds_read_b64 v[30:31], v82 offset:96
	ds_read_b64 v[26:27], v82 offset:128
	ds_read_b64 v[18:19], v82 offset:160
	ds_read_b64 v[14:15], v82 offset:192
	ds_read_b64 v[12:13], v82 offset:224
	s_waitcnt vmcnt(59)
	ds_write_b32 v81, v22
	s_waitcnt vmcnt(58)
	ds_write_b32 v81, v24 offset:264
	s_waitcnt vmcnt(57)
	ds_write_b32 v81, v25 offset:528
	s_waitcnt vmcnt(56)
	ds_write_b32 v81, v34 offset:792
	s_waitcnt vmcnt(55)
	ds_write_b32 v81, v35 offset:1056
	s_waitcnt vmcnt(54)
	ds_write_b32 v81, v20 offset:1320
	s_waitcnt vmcnt(53)
	ds_write_b32 v81, v21 offset:1584
	s_waitcnt vmcnt(52)
	ds_write_b32 v81, v16 offset:1848
	s_waitcnt vmcnt(51)
	ds_write_b32 v81, v17 offset:2112
	s_waitcnt vmcnt(50)
	ds_write_b32 v81, v36 offset:2376
	s_waitcnt vmcnt(49)
	ds_write_b32 v81, v37 offset:2640
	s_waitcnt vmcnt(48)
	ds_write_b32 v81, v44 offset:2904
	s_waitcnt vmcnt(47)
	ds_write_b32 v81, v45 offset:3168
	s_waitcnt vmcnt(46)
	ds_write_b32 v81, v64 offset:3432
	s_waitcnt vmcnt(45)
	ds_write_b32 v81, v65 offset:3696
	s_waitcnt vmcnt(44)
	ds_write_b32 v81, v61 offset:3960
	ds_read_b64 v[66:67], v82
	ds_read_b64 v[56:57], v82 offset:32
	ds_read_b64 v[52:53], v82 offset:64
	ds_read_b64 v[38:39], v82 offset:96
	ds_read_b64 v[36:37], v82 offset:128
	ds_read_b64 v[24:25], v82 offset:160
	ds_read_b64 v[20:21], v82 offset:192
	ds_read_b64 v[16:17], v82 offset:224
	s_waitcnt vmcnt(43)
	ds_write_b32 v81, v60
	s_waitcnt vmcnt(42)
	ds_write_b32 v81, v62 offset:264
	s_waitcnt vmcnt(41)
	ds_write_b32 v81, v63 offset:528
	s_waitcnt vmcnt(40)
	ds_write_b32 v81, v46 offset:792
	s_waitcnt vmcnt(39)
	ds_write_b32 v81, v47 offset:1056
	s_waitcnt vmcnt(38)
	ds_write_b32 v81, v50 offset:1320
	s_waitcnt vmcnt(37)
	ds_write_b32 v81, v51 offset:1584
	s_waitcnt vmcnt(36)
	ds_write_b32 v81, v74 offset:1848
	s_waitcnt vmcnt(35)
	ds_write_b32 v81, v75 offset:2112
	s_waitcnt vmcnt(34)
	ds_write_b32 v81, v72 offset:2376
	s_waitcnt vmcnt(33)
	ds_write_b32 v81, v73 offset:2640
	s_waitcnt vmcnt(32)
	ds_write_b32 v81, v90 offset:2904
	s_waitcnt vmcnt(31)
	ds_write_b32 v81, v91 offset:3168
	s_waitcnt vmcnt(30)
	ds_write_b32 v81, v92 offset:3432
	;; [unrolled: 40-line block ×3, first 2 shown]
	s_waitcnt vmcnt(13)
	ds_write_b32 v81, v107 offset:3696
	s_waitcnt vmcnt(12)
	ds_write_b32 v81, v108 offset:3960
	ds_read_b64 v[74:75], v82
	ds_read_b64 v[72:73], v82 offset:32
	ds_read_b64 v[68:69], v82 offset:64
	;; [unrolled: 1-line block ×7, first 2 shown]
	ds_write_b32 v81, v84
	ds_write_b32 v81, v85 offset:264
	s_waitcnt vmcnt(11)
	ds_write_b32 v81, v109 offset:528
	s_waitcnt vmcnt(10)
	;; [unrolled: 2-line block ×12, first 2 shown]
	ds_write_b32 v81, v119 offset:3432
	ds_write_b32 v81, v83 offset:3696
	;; [unrolled: 1-line block ×3, first 2 shown]
	ds_read_b64 v[84:85], v82
	s_waitcnt lgkmcnt(0)
	v_mfma_f32_16x16x8_xf32 a[12:15], v[58:59], v[84:85], a[12:15]
	ds_read_b64 v[58:59], v82 offset:32
	v_add_u32_e32 v79, 64, v79
	v_cmp_le_i32_e32 vcc, s5, v79
	s_waitcnt lgkmcnt(0)
	v_mfma_f32_16x16x8_xf32 a[12:15], v[48:49], v[58:59], a[12:15]
	ds_read_b64 v[48:49], v82 offset:64
	v_lshl_add_u64 v[4:5], v[4:5], 0, s[12:13]
	v_lshl_add_u64 v[6:7], v[6:7], 0, s[12:13]
	v_mfma_f32_16x16x8_xf32 a[8:11], v[66:67], v[84:85], a[8:11]
	v_lshl_add_u64 v[8:9], v[8:9], 0, s[12:13]
	s_or_b64 s[8:9], vcc, s[8:9]
	v_lshl_add_u64 v[10:11], v[10:11], 0, s[12:13]
	v_mfma_f32_16x16x8_xf32 a[0:3], v[70:71], v[84:85], a[0:3]
	v_mfma_f32_16x16x8_xf32 a[4:7], v[74:75], v[84:85], a[4:7]
	s_waitcnt lgkmcnt(0)
	v_mfma_f32_16x16x8_xf32 a[12:15], v[40:41], v[48:49], a[12:15]
	ds_read_b64 v[40:41], v82 offset:96
	v_mfma_f32_16x16x8_xf32 a[8:11], v[56:57], v[58:59], a[8:11]
	v_mfma_f32_16x16x8_xf32 a[0:3], v[64:65], v[58:59], a[0:3]
	;; [unrolled: 1-line block ×6, first 2 shown]
	s_waitcnt lgkmcnt(0)
	v_mfma_f32_16x16x8_xf32 a[12:15], v[30:31], v[40:41], a[12:15]
	ds_read_b64 v[30:31], v82 offset:128
	v_mfma_f32_16x16x8_xf32 a[8:11], v[38:39], v[40:41], a[8:11]
	v_mfma_f32_16x16x8_xf32 a[0:3], v[50:51], v[40:41], a[0:3]
	v_mfma_f32_16x16x8_xf32 a[4:7], v[60:61], v[40:41], a[4:7]
	s_waitcnt lgkmcnt(0)
	v_mfma_f32_16x16x8_xf32 a[12:15], v[26:27], v[30:31], a[12:15]
	ds_read_b64 v[26:27], v82 offset:160
	v_mfma_f32_16x16x8_xf32 a[8:11], v[36:37], v[30:31], a[8:11]
	v_mfma_f32_16x16x8_xf32 a[0:3], v[46:47], v[30:31], a[0:3]
	v_mfma_f32_16x16x8_xf32 a[4:7], v[54:55], v[30:31], a[4:7]
	;; [unrolled: 6-line block ×4, first 2 shown]
	s_waitcnt lgkmcnt(0)
	v_mfma_f32_16x16x8_xf32 a[12:15], v[12:13], v[14:15], a[12:15]
	v_mfma_f32_16x16x8_xf32 a[8:11], v[16:17], v[14:15], a[8:11]
	v_mfma_f32_16x16x8_xf32 a[0:3], v[22:23], v[14:15], a[0:3]
	v_mfma_f32_16x16x8_xf32 a[4:7], v[28:29], v[14:15], a[4:7]
	s_andn2_b64 exec, exec, s[8:9]
	s_cbranch_execnz .LBB77_4
; %bb.5:
	s_or_b64 exec, exec, s[8:9]
.LBB77_6:
	s_or_b64 exec, exec, s[24:25]
	v_lshlrev_b32_e32 v1, 2, v78
	v_or_b32_e32 v3, 12, v77
	v_add3_u32 v1, 0, v80, v1
	v_and_b32_e32 v2, 0x3f0, v77
	v_and_b32_e32 v3, 0x3fc, v3
	v_add_u32_e32 v2, v1, v2
	v_add_u32_e32 v1, v1, v3
	s_waitcnt lgkmcnt(0)
	s_mul_hi_i32 s1, s15, s4
	s_mul_i32 s0, s15, s4
	ds_write2_b32 v2, a12, a13 offset1:1
	ds_write_b32 v2, a14 offset:8
	ds_write_b32 v1, a15
	ds_write2_b32 v2, a8, a9 offset0:16 offset1:17
	ds_write_b32 v2, a10 offset:72
	ds_write_b32 v1, a11 offset:64
	ds_write2_b32 v2, a0, a1 offset0:32 offset1:33
	ds_write_b32 v2, a2 offset:136
	ds_write_b32 v1, a3 offset:128
	;; [unrolled: 3-line block ×3, first 2 shown]
	v_mul_u32_u24_e32 v1, 0x108, v76
	s_lshl_b64 s[0:1], s[0:1], 2
	v_add3_u32 v6, 0, v0, v1
	s_add_u32 s4, s6, s0
	s_mul_i32 s0, s3, s11
	ds_read2_b32 v[0:1], v6 offset1:66
	s_addc_u32 s5, s7, s1
	s_ashr_i32 s1, s0, 31
	s_lshl_b64 s[0:1], s[0:1], 2
	s_add_u32 s0, s4, s0
	v_mul_lo_u32 v2, v76, s18
	s_addc_u32 s1, s5, s1
	v_add3_u32 v2, s2, v77, v2
	v_mov_b32_e32 v3, 0
	s_waitcnt lgkmcnt(0)
	v_add_f32_e32 v0, 0, v0
	v_lshl_add_u64 v[4:5], v[2:3], 2, s[0:1]
	global_store_dword v[4:5], v0, off
	ds_read2_b32 v[4:5], v6 offset0:132 offset1:198
	v_add_u32_e32 v2, s18, v2
	v_add_f32_e32 v7, 0, v1
	v_lshl_add_u64 v[0:1], v[2:3], 2, s[0:1]
	v_add_u32_e32 v2, s18, v2
	global_store_dword v[0:1], v7, off
	s_waitcnt lgkmcnt(0)
	v_add_f32_e32 v4, 0, v4
	v_lshl_add_u64 v[0:1], v[2:3], 2, s[0:1]
	v_add_u32_e32 v7, 0x400, v6
	global_store_dword v[0:1], v4, off
	ds_read2_b32 v[0:1], v7 offset0:8 offset1:74
	v_add_u32_e32 v2, s18, v2
	v_add_f32_e32 v8, 0, v5
	v_lshl_add_u64 v[4:5], v[2:3], 2, s[0:1]
	v_add_u32_e32 v2, s18, v2
	global_store_dword v[4:5], v8, off
	s_waitcnt lgkmcnt(0)
	v_add_f32_e32 v0, 0, v0
	v_lshl_add_u64 v[4:5], v[2:3], 2, s[0:1]
	global_store_dword v[4:5], v0, off
	ds_read2_b32 v[4:5], v7 offset0:140 offset1:206
	v_add_u32_e32 v2, s18, v2
	v_add_f32_e32 v7, 0, v1
	v_lshl_add_u64 v[0:1], v[2:3], 2, s[0:1]
	v_add_u32_e32 v2, s18, v2
	global_store_dword v[0:1], v7, off
	s_waitcnt lgkmcnt(0)
	v_add_f32_e32 v4, 0, v4
	v_lshl_add_u64 v[0:1], v[2:3], 2, s[0:1]
	v_add_u32_e32 v7, 0x800, v6
	global_store_dword v[0:1], v4, off
	ds_read2_b32 v[0:1], v7 offset0:16 offset1:82
	v_add_u32_e32 v2, s18, v2
	v_add_f32_e32 v8, 0, v5
	v_lshl_add_u64 v[4:5], v[2:3], 2, s[0:1]
	v_add_u32_e32 v2, s18, v2
	global_store_dword v[4:5], v8, off
	s_waitcnt lgkmcnt(0)
	v_add_f32_e32 v0, 0, v0
	v_lshl_add_u64 v[4:5], v[2:3], 2, s[0:1]
	global_store_dword v[4:5], v0, off
	ds_read2_b32 v[4:5], v7 offset0:148 offset1:214
	v_add_u32_e32 v2, s18, v2
	v_add_f32_e32 v7, 0, v1
	v_lshl_add_u64 v[0:1], v[2:3], 2, s[0:1]
	v_add_u32_e32 v2, s18, v2
	global_store_dword v[0:1], v7, off
	s_waitcnt lgkmcnt(0)
	v_add_f32_e32 v4, 0, v4
	v_lshl_add_u64 v[0:1], v[2:3], 2, s[0:1]
	global_store_dword v[0:1], v4, off
	v_add_u32_e32 v0, 0xc00, v6
	ds_read2_b32 v[0:1], v0 offset0:24 offset1:90
	v_add_u32_e32 v2, s18, v2
	v_add_f32_e32 v6, 0, v5
	v_lshl_add_u64 v[4:5], v[2:3], 2, s[0:1]
	v_add_u32_e32 v2, s18, v2
	global_store_dword v[4:5], v6, off
	s_waitcnt lgkmcnt(0)
	v_add_f32_e32 v0, 0, v0
	v_lshl_add_u64 v[4:5], v[2:3], 2, s[0:1]
	v_add_u32_e32 v2, s18, v2
	global_store_dword v[4:5], v0, off
	v_add_f32_e32 v4, 0, v1
	v_lshl_add_u64 v[0:1], v[2:3], 2, s[0:1]
	global_store_dword v[0:1], v4, off
	s_endpgm
	.section	.rodata,"a",@progbits
	.p2align	6, 0x0
	.amdhsa_kernel _ZL9mul_mat_fIfLi64ELi14ELi1ELb0EEvPKT_PKfPKiPfiiiiiiiiiiiiiiii
		.amdhsa_group_segment_fixed_size 0
		.amdhsa_private_segment_fixed_size 0
		.amdhsa_kernarg_size 96
		.amdhsa_user_sgpr_count 2
		.amdhsa_user_sgpr_dispatch_ptr 0
		.amdhsa_user_sgpr_queue_ptr 0
		.amdhsa_user_sgpr_kernarg_segment_ptr 1
		.amdhsa_user_sgpr_dispatch_id 0
		.amdhsa_user_sgpr_kernarg_preload_length 0
		.amdhsa_user_sgpr_kernarg_preload_offset 0
		.amdhsa_user_sgpr_private_segment_size 0
		.amdhsa_uses_dynamic_stack 0
		.amdhsa_enable_private_segment 0
		.amdhsa_system_sgpr_workgroup_id_x 1
		.amdhsa_system_sgpr_workgroup_id_y 1
		.amdhsa_system_sgpr_workgroup_id_z 1
		.amdhsa_system_sgpr_workgroup_info 0
		.amdhsa_system_vgpr_workitem_id 1
		.amdhsa_next_free_vgpr 136
		.amdhsa_next_free_sgpr 92
		.amdhsa_accum_offset 120
		.amdhsa_reserve_vcc 1
		.amdhsa_float_round_mode_32 0
		.amdhsa_float_round_mode_16_64 0
		.amdhsa_float_denorm_mode_32 3
		.amdhsa_float_denorm_mode_16_64 3
		.amdhsa_dx10_clamp 1
		.amdhsa_ieee_mode 1
		.amdhsa_fp16_overflow 0
		.amdhsa_tg_split 0
		.amdhsa_exception_fp_ieee_invalid_op 0
		.amdhsa_exception_fp_denorm_src 0
		.amdhsa_exception_fp_ieee_div_zero 0
		.amdhsa_exception_fp_ieee_overflow 0
		.amdhsa_exception_fp_ieee_underflow 0
		.amdhsa_exception_fp_ieee_inexact 0
		.amdhsa_exception_int_div_zero 0
	.end_amdhsa_kernel
	.section	.text._ZL9mul_mat_fIfLi64ELi14ELi1ELb0EEvPKT_PKfPKiPfiiiiiiiiiiiiiiii,"axG",@progbits,_ZL9mul_mat_fIfLi64ELi14ELi1ELb0EEvPKT_PKfPKiPfiiiiiiiiiiiiiiii,comdat
.Lfunc_end77:
	.size	_ZL9mul_mat_fIfLi64ELi14ELi1ELb0EEvPKT_PKfPKiPfiiiiiiiiiiiiiiii, .Lfunc_end77-_ZL9mul_mat_fIfLi64ELi14ELi1ELb0EEvPKT_PKfPKiPfiiiiiiiiiiiiiiii
                                        ; -- End function
	.section	.AMDGPU.csdata,"",@progbits
; Kernel info:
; codeLenInByte = 5320
; NumSgprs: 98
; NumVgprs: 120
; NumAgprs: 16
; TotalNumVgprs: 136
; ScratchSize: 0
; MemoryBound: 0
; FloatMode: 240
; IeeeMode: 1
; LDSByteSize: 0 bytes/workgroup (compile time only)
; SGPRBlocks: 12
; VGPRBlocks: 16
; NumSGPRsForWavesPerEU: 98
; NumVGPRsForWavesPerEU: 136
; AccumOffset: 120
; Occupancy: 3
; WaveLimiterHint : 0
; COMPUTE_PGM_RSRC2:SCRATCH_EN: 0
; COMPUTE_PGM_RSRC2:USER_SGPR: 2
; COMPUTE_PGM_RSRC2:TRAP_HANDLER: 0
; COMPUTE_PGM_RSRC2:TGID_X_EN: 1
; COMPUTE_PGM_RSRC2:TGID_Y_EN: 1
; COMPUTE_PGM_RSRC2:TGID_Z_EN: 1
; COMPUTE_PGM_RSRC2:TIDIG_COMP_CNT: 1
; COMPUTE_PGM_RSRC3_GFX90A:ACCUM_OFFSET: 29
; COMPUTE_PGM_RSRC3_GFX90A:TG_SPLIT: 0
	.section	.text._ZL13mul_mat_f_idsIfLi64ELi14ELi2EEvPKT_PKfPKiS6_S6_Pfiiiiiiiiiiiiii15HIP_vector_typeIjLj3EES9_,"axG",@progbits,_ZL13mul_mat_f_idsIfLi64ELi14ELi2EEvPKT_PKfPKiS6_S6_Pfiiiiiiiiiiiiii15HIP_vector_typeIjLj3EES9_,comdat
	.globl	_ZL13mul_mat_f_idsIfLi64ELi14ELi2EEvPKT_PKfPKiS6_S6_Pfiiiiiiiiiiiiii15HIP_vector_typeIjLj3EES9_ ; -- Begin function _ZL13mul_mat_f_idsIfLi64ELi14ELi2EEvPKT_PKfPKiS6_S6_Pfiiiiiiiiiiiiii15HIP_vector_typeIjLj3EES9_
	.p2align	8
	.type	_ZL13mul_mat_f_idsIfLi64ELi14ELi2EEvPKT_PKfPKiS6_S6_Pfiiiiiiiiiiiiii15HIP_vector_typeIjLj3EES9_,@function
_ZL13mul_mat_f_idsIfLi64ELi14ELi2EEvPKT_PKfPKiS6_S6_Pfiiiiiiiiiiiiii15HIP_vector_typeIjLj3EES9_: ; @_ZL13mul_mat_f_idsIfLi64ELi14ELi2EEvPKT_PKfPKiS6_S6_Pfiiiiiiiiiiiiii15HIP_vector_typeIjLj3EES9_
; %bb.0:
	s_load_dwordx2 s[6:7], s[0:1], 0x20
	s_mov_b32 s34, s3
	s_ashr_i32 s35, s3, 31
	s_lshl_b64 s[8:9], s[34:35], 2
	s_waitcnt lgkmcnt(0)
	s_add_u32 s6, s6, s8
	s_addc_u32 s7, s7, s9
	s_load_dwordx2 s[26:27], s[6:7], 0x0
	s_waitcnt lgkmcnt(0)
	s_sub_i32 s33, s27, s26
	s_add_i32 s3, s33, 13
	s_mul_hi_i32 s5, s3, 0x92492493
	s_add_i32 s5, s5, s3
	s_lshr_b32 s3, s5, 31
	s_ashr_i32 s5, s5, 3
	s_add_i32 s5, s5, s3
	s_cmp_ge_i32 s4, s5
	s_cbranch_scc1 .LBB78_70
; %bb.1:
	v_bfe_u32 v2, v0, 10, 10
	v_lshlrev_b32_e32 v68, 6, v2
	v_and_b32_e32 v3, 0x3ff, v0
	s_load_dwordx4 s[12:15], s[0:1], 0x30
	s_load_dwordx2 s[20:21], s[0:1], 0x40
	s_load_dwordx4 s[8:11], s[0:1], 0x4c
	s_load_dwordx4 s[16:19], s[0:1], 0x68
	s_load_dwordx2 s[24:25], s[0:1], 0x78
	v_add_u32_e32 v70, v68, v3
	s_ashr_i32 s27, s26, 31
	s_waitcnt lgkmcnt(0)
	v_cmp_le_i32_e32 vcc, s12, v70
	v_and_b32_e32 v69, 15, v3
                                        ; implicit-def: $sgpr3
	s_and_saveexec_b64 s[6:7], vcc
	s_xor_b64 s[6:7], exec, s[6:7]
; %bb.2:
	v_and_b32_e32 v69, 15, v3
	s_mov_b32 s3, 0
                                        ; implicit-def: $vgpr70
; %bb.3:
	s_or_saveexec_b64 s[28:29], s[6:7]
	s_load_dwordx2 s[22:23], s[0:1], 0x18
	s_load_dwordx2 s[6:7], s[0:1], 0x28
                                        ; implicit-def: $vgpr90 : SGPR spill to VGPR lane
	s_lshl_b32 s11, s2, 6
	s_mul_i32 s2, s4, 14
	v_accvgpr_write_b32 a0, s3
	v_accvgpr_write_b32 a1, s3
	s_waitcnt lgkmcnt(0)
	v_writelane_b32 v90, s6, 0
	v_accvgpr_write_b32 a2, s3
	v_accvgpr_write_b32 a3, s3
	;; [unrolled: 1-line block ×14, first 2 shown]
	v_writelane_b32 v90, s7, 1
	s_xor_b64 exec, exec, s[28:29]
	s_cbranch_execz .LBB78_49
; %bb.4:
	v_writelane_b32 v90, s28, 2
	s_movk_i32 s3, 0x1080
	v_mad_u32_u24 v0, v2, s3, 0
	v_writelane_b32 v90, s29, 3
	v_writelane_b32 v90, s22, 4
	v_lshrrev_b32_e32 v6, 1, v3
	v_lshlrev_b32_e32 v4, 2, v3
	v_writelane_b32 v90, s23, 5
	v_writelane_b32 v90, s24, 6
	s_load_dwordx4 s[4:7], s[0:1], 0x0
	s_load_dwordx2 s[22:23], s[0:1], 0x10
	v_writelane_b32 v90, s25, 7
	s_mul_i32 s0, s34, s8
	s_mul_i32 s24, s11, s15
	s_ashr_i32 s1, s0, 31
	s_ashr_i32 s25, s24, 31
	s_lshl_b64 s[24:25], s[24:25], 2
	s_lshl_b64 s[0:1], s[0:1], 2
	s_add_u32 s24, s0, s24
	v_writelane_b32 v90, s11, 8
	s_addc_u32 s25, s1, s25
	s_waitcnt lgkmcnt(0)
	s_add_u32 s0, s24, s4
	v_writelane_b32 v90, s26, 9
	s_addc_u32 s1, s25, s5
	v_mul_u32_u24_e32 v5, 0x108, v69
	v_writelane_b32 v90, s27, 10
	s_lshl_b64 s[26:27], s[26:27], 2
	s_add_u32 s8, s22, s26
	s_addc_u32 s11, s23, s27
	s_cmp_lt_i32 s2, s33
	s_cselect_b64 s[34:35], -1, 0
	s_ashr_i32 s3, s2, 31
	s_lshl_b64 s[22:23], s[2:3], 2
	s_add_u32 s36, s8, s22
	s_addc_u32 s37, s11, s23
	s_or_b32 s3, s2, 1
	s_cmp_lt_i32 s3, s33
	s_cselect_b64 s[38:39], -1, 0
	s_add_i32 s3, s2, 2
	s_cmp_lt_i32 s3, s33
	s_cselect_b64 s[40:41], -1, 0
	s_add_i32 s3, s2, 3
	s_cmp_lt_i32 s3, s33
	v_and_b32_e32 v6, 0x1f8, v6
	s_cselect_b64 s[42:43], -1, 0
	s_add_i32 s3, s2, 4
	v_mov_b32_e32 v1, 0
	v_add_u32_e32 v71, v0, v4
	v_add3_u32 v72, v0, v5, v6
	s_cmp_lt_i32 s3, s33
	v_lshlrev_b32_e32 v0, 8, v2
	s_cselect_b64 s[44:45], -1, 0
	s_add_i32 s3, s2, 5
	v_lshl_add_u64 v[6:7], s[24:25], 0, v[0:1]
	v_mov_b32_e32 v5, v1
	s_cmp_lt_i32 s3, s33
	v_lshl_add_u64 v[0:1], v[6:7], 0, v[4:5]
	s_cselect_b64 s[46:47], -1, 0
	s_add_i32 s3, s2, 6
	v_lshl_add_u64 v[0:1], s[4:5], 0, v[0:1]
	s_mul_i32 s4, s15, 3
	s_cmp_lt_i32 s3, s33
	v_writelane_b32 v90, s4, 11
	s_mul_i32 s4, s15, 5
	s_cselect_b64 s[48:49], -1, 0
	s_add_i32 s3, s2, 7
	v_writelane_b32 v90, s4, 12
	s_mul_i32 s4, s15, 6
	s_cmp_lt_i32 s3, s33
	v_writelane_b32 v90, s4, 13
	s_mul_i32 s4, s15, 7
	s_cselect_b64 s[50:51], -1, 0
	s_add_i32 s3, s2, 8
	v_writelane_b32 v90, s4, 14
	;; [unrolled: 7-line block ×7, first 2 shown]
	s_mul_i32 s4, s15, 20
	s_cmp_lt_i32 s3, s33
	v_writelane_b32 v90, s4, 25
	s_mul_i32 s4, s15, 21
	s_cselect_b64 s[62:63], -1, 0
	s_ashr_i32 s23, s15, 31
	s_mov_b32 s22, s15
	v_writelane_b32 v90, s4, 26
	s_mul_i32 s4, s15, 22
	s_lshl_b64 s[64:65], s[22:23], 2
	s_lshl_b32 s3, s15, 1
	s_lshl_b32 s68, s15, 2
	;; [unrolled: 1-line block ×4, first 2 shown]
	v_writelane_b32 v90, s4, 27
	s_mul_i32 s87, s15, 23
	s_mul_i32 s88, s15, 24
	;; [unrolled: 1-line block ×5, first 2 shown]
	v_mov_b32_e32 v73, 0
	v_accvgpr_write_b32 a15, 0
	v_accvgpr_write_b32 a14, 0
	;; [unrolled: 1-line block ×16, first 2 shown]
	s_mul_i32 s92, s15, 28
	s_mul_i32 s93, s15, 29
	;; [unrolled: 1-line block ×4, first 2 shown]
	s_lshl_b32 s96, s15, 5
	s_mul_i32 s97, s15, 33
	s_mul_i32 s98, s15, 34
	;; [unrolled: 1-line block ×31, first 2 shown]
	s_mov_b64 s[4:5], 0
	s_mov_b64 s[66:67], 0x200
	s_branch .LBB78_6
.LBB78_5:                               ;   in Loop: Header=BB78_6 Depth=1
	s_waitcnt vmcnt(0)
	ds_write2_b32 v71, v74, v76 offset1:66
	ds_write2_b32 v71, v75, v78 offset0:132 offset1:198
	v_add_u32_e32 v74, 0x400, v71
	ds_write2_b32 v74, v77, v80 offset0:8 offset1:74
	ds_write2_b32 v74, v79, v82 offset0:140 offset1:206
	v_add_u32_e32 v74, 0x800, v71
	ds_write2_b32 v74, v81, v84 offset0:16 offset1:82
	;; [unrolled: 3-line block ×3, first 2 shown]
	ds_write2_b32 v74, v73, v73 offset0:156 offset1:222
	ds_read2_b64 v[74:77], v72 offset1:4
	v_add_u32_e32 v70, 0x80, v70
	s_waitcnt lgkmcnt(0)
	v_mfma_f32_16x16x8_xf32 a[0:3], v[10:11], v[74:75], a[0:3]
	v_cmp_le_i32_e32 vcc, s12, v70
	v_lshl_add_u64 v[0:1], v[0:1], 0, s[66:67]
	s_or_b64 s[4:5], vcc, s[4:5]
	v_mfma_f32_16x16x8_xf32 a[4:7], v[36:37], v[74:75], a[4:7]
	v_mfma_f32_16x16x8_xf32 a[8:11], v[50:51], v[74:75], a[8:11]
	;; [unrolled: 1-line block ×4, first 2 shown]
	ds_read2_b64 v[8:11], v72 offset0:8 offset1:12
	v_mfma_f32_16x16x8_xf32 a[4:7], v[32:33], v[76:77], a[4:7]
	v_mfma_f32_16x16x8_xf32 a[8:11], v[48:49], v[76:77], a[8:11]
	;; [unrolled: 1-line block ×3, first 2 shown]
	s_waitcnt lgkmcnt(0)
	v_mfma_f32_16x16x8_xf32 a[0:3], v[6:7], v[8:9], a[0:3]
	v_mfma_f32_16x16x8_xf32 a[4:7], v[30:31], v[8:9], a[4:7]
	;; [unrolled: 1-line block ×5, first 2 shown]
	ds_read2_b64 v[4:7], v72 offset0:16 offset1:20
	v_mfma_f32_16x16x8_xf32 a[4:7], v[28:29], v[10:11], a[4:7]
	v_mfma_f32_16x16x8_xf32 a[8:11], v[44:45], v[10:11], a[8:11]
	;; [unrolled: 1-line block ×3, first 2 shown]
	s_waitcnt lgkmcnt(0)
	v_mfma_f32_16x16x8_xf32 a[0:3], v[18:19], v[4:5], a[0:3]
	v_mfma_f32_16x16x8_xf32 a[4:7], v[26:27], v[4:5], a[4:7]
	;; [unrolled: 1-line block ×8, first 2 shown]
	ds_read2_b64 v[4:7], v72 offset0:24 offset1:28
	s_waitcnt lgkmcnt(0)
	v_mfma_f32_16x16x8_xf32 a[0:3], v[14:15], v[4:5], a[0:3]
	v_mfma_f32_16x16x8_xf32 a[4:7], v[22:23], v[4:5], a[4:7]
	;; [unrolled: 1-line block ×8, first 2 shown]
	s_andn2_b64 exec, exec, s[4:5]
	s_cbranch_execz .LBB78_48
.LBB78_6:                               ; =>This Inner Loop Header: Depth=1
	v_readlane_b32 s86, v90, 11
	v_lshl_add_u64 v[4:5], v[0:1], 0, s[64:65]
	global_load_dword v20, v[0:1], off
	global_load_dword v21, v[4:5], off
	v_add_u32_e32 v6, s86, v70
	v_readlane_b32 s86, v90, 12
	v_add_u32_e32 v4, s3, v70
	v_add_u32_e32 v16, s72, v70
	;; [unrolled: 1-line block ×3, first 2 shown]
	v_readlane_b32 s86, v90, 13
	v_ashrrev_i32_e32 v5, 31, v4
	v_add_u32_e32 v8, s68, v70
	v_add_u32_e32 v12, s86, v70
	v_readlane_b32 s86, v90, 14
	v_ashrrev_i32_e32 v17, 31, v16
	v_lshl_add_u64 v[4:5], v[4:5], 2, s[0:1]
	v_add_u32_e32 v14, s86, v70
	v_readlane_b32 s86, v90, 15
	v_ashrrev_i32_e32 v7, 31, v6
	v_ashrrev_i32_e32 v9, 31, v8
	v_add_u32_e32 v18, s86, v70
	v_ashrrev_i32_e32 v11, 31, v10
	v_ashrrev_i32_e32 v13, 31, v12
	;; [unrolled: 1-line block ×3, first 2 shown]
	v_lshl_add_u64 v[16:17], v[16:17], 2, s[0:1]
	v_ashrrev_i32_e32 v19, 31, v18
	v_readlane_b32 s86, v90, 16
	v_lshl_add_u64 v[6:7], v[6:7], 2, s[0:1]
	v_lshl_add_u64 v[8:9], v[8:9], 2, s[0:1]
	;; [unrolled: 1-line block ×6, first 2 shown]
	global_load_dword v22, v[4:5], off
	global_load_dword v23, v[6:7], off
	;; [unrolled: 1-line block ×6, first 2 shown]
	s_nop 0
	global_load_dword v16, v[16:17], off
	s_nop 0
	global_load_dword v17, v[18:19], off
	v_add_u32_e32 v4, s86, v70
	v_readlane_b32 s86, v90, 17
	v_ashrrev_i32_e32 v5, 31, v4
	v_lshl_add_u64 v[4:5], v[4:5], 2, s[0:1]
	v_add_u32_e32 v6, s86, v70
	v_readlane_b32 s86, v90, 18
	v_ashrrev_i32_e32 v7, 31, v6
	v_lshl_add_u64 v[6:7], v[6:7], 2, s[0:1]
	;; [unrolled: 4-line block ×5, first 2 shown]
	v_add_u32_e32 v14, s86, v70
	v_ashrrev_i32_e32 v15, 31, v14
	v_lshl_add_u64 v[14:15], v[14:15], 2, s[0:1]
	global_load_dword v18, v[4:5], off
	global_load_dword v19, v[6:7], off
	s_nop 0
	global_load_dword v8, v[8:9], off
	s_nop 0
	;; [unrolled: 2-line block ×3, first 2 shown]
	global_load_dword v10, v[12:13], off
	global_load_dword v11, v[14:15], off
	v_readlane_b32 s86, v90, 22
	v_add_u32_e32 v4, s80, v70
	v_ashrrev_i32_e32 v5, 31, v4
	v_add_u32_e32 v6, s86, v70
	v_readlane_b32 s86, v90, 23
	v_ashrrev_i32_e32 v7, 31, v6
	v_lshl_add_u64 v[4:5], v[4:5], 2, s[0:1]
	v_add_u32_e32 v12, s86, v70
	v_readlane_b32 s86, v90, 24
	v_lshl_add_u64 v[6:7], v[6:7], 2, s[0:1]
	global_load_dword v28, v[4:5], off
	global_load_dword v29, v[6:7], off
	v_add_u32_e32 v14, s86, v70
	v_readlane_b32 s86, v90, 25
	v_ashrrev_i32_e32 v13, 31, v12
	v_lshl_add_u64 v[12:13], v[12:13], 2, s[0:1]
	v_ashrrev_i32_e32 v15, 31, v14
	v_lshl_add_u64 v[14:15], v[14:15], 2, s[0:1]
	s_andn2_b64 vcc, exec, s[34:35]
	s_waitcnt vmcnt(17)
	ds_write_b32 v71, v20
	s_waitcnt vmcnt(16)
	ds_write_b32 v71, v21 offset:264
	s_waitcnt vmcnt(15)
	ds_write_b32 v71, v22 offset:528
	;; [unrolled: 2-line block ×15, first 2 shown]
	v_add_u32_e32 v16, s86, v70
	v_readlane_b32 s86, v90, 26
	v_add_u32_e32 v22, s87, v70
	v_add_u32_e32 v24, s88, v70
	;; [unrolled: 1-line block ×3, first 2 shown]
	v_readlane_b32 s86, v90, 27
	v_add_u32_e32 v26, s89, v70
	v_ashrrev_i32_e32 v17, 31, v16
	v_add_u32_e32 v20, s86, v70
	v_ashrrev_i32_e32 v19, 31, v18
	v_ashrrev_i32_e32 v21, 31, v20
	;; [unrolled: 1-line block ×5, first 2 shown]
	ds_read_b64 v[10:11], v72
	ds_read_b64 v[8:9], v72 offset:32
	ds_read_b64 v[6:7], v72 offset:64
	;; [unrolled: 1-line block ×3, first 2 shown]
	v_lshl_add_u64 v[16:17], v[16:17], 2, s[0:1]
	v_lshl_add_u64 v[18:19], v[18:19], 2, s[0:1]
	v_lshl_add_u64 v[20:21], v[20:21], 2, s[0:1]
	v_lshl_add_u64 v[22:23], v[22:23], 2, s[0:1]
	v_lshl_add_u64 v[24:25], v[24:25], 2, s[0:1]
	v_lshl_add_u64 v[26:27], v[26:27], 2, s[0:1]
	global_load_dword v30, v[12:13], off
	global_load_dword v31, v[14:15], off
	global_load_dword v32, v[16:17], off
	global_load_dword v33, v[18:19], off
	global_load_dword v34, v[20:21], off
	global_load_dword v35, v[22:23], off
	global_load_dword v36, v[24:25], off
	global_load_dword v37, v[26:27], off
	v_add_u32_e32 v12, s90, v70
	v_ashrrev_i32_e32 v13, 31, v12
	v_add_u32_e32 v14, s91, v70
	v_add_u32_e32 v16, s92, v70
	v_add_u32_e32 v18, s93, v70
	v_add_u32_e32 v20, s94, v70
	v_add_u32_e32 v22, s95, v70
	v_add_u32_e32 v24, s96, v70
	v_add_u32_e32 v26, s97, v70
	v_lshl_add_u64 v[12:13], v[12:13], 2, s[0:1]
	v_ashrrev_i32_e32 v15, 31, v14
	v_ashrrev_i32_e32 v17, 31, v16
	v_ashrrev_i32_e32 v19, 31, v18
	v_ashrrev_i32_e32 v21, 31, v20
	v_ashrrev_i32_e32 v23, 31, v22
	v_ashrrev_i32_e32 v25, 31, v24
	v_ashrrev_i32_e32 v27, 31, v26
	v_lshl_add_u64 v[14:15], v[14:15], 2, s[0:1]
	v_lshl_add_u64 v[16:17], v[16:17], 2, s[0:1]
	v_lshl_add_u64 v[18:19], v[18:19], 2, s[0:1]
	v_lshl_add_u64 v[20:21], v[20:21], 2, s[0:1]
	v_lshl_add_u64 v[22:23], v[22:23], 2, s[0:1]
	v_lshl_add_u64 v[24:25], v[24:25], 2, s[0:1]
	v_lshl_add_u64 v[26:27], v[26:27], 2, s[0:1]
	global_load_dword v38, v[12:13], off
	global_load_dword v39, v[14:15], off
	global_load_dword v40, v[16:17], off
	global_load_dword v41, v[18:19], off
	global_load_dword v42, v[20:21], off
	global_load_dword v43, v[22:23], off
	global_load_dword v44, v[24:25], off
	global_load_dword v45, v[26:27], off
	v_add_u32_e32 v12, s98, v70
	v_ashrrev_i32_e32 v13, 31, v12
	v_add_u32_e32 v14, s99, v70
	v_add_u32_e32 v16, s24, v70
	v_add_u32_e32 v18, s25, v70
	v_add_u32_e32 v20, s28, v70
	v_add_u32_e32 v22, s29, v70
	v_add_u32_e32 v24, s11, v70
	v_add_u32_e32 v26, s22, v70
	v_lshl_add_u64 v[12:13], v[12:13], 2, s[0:1]
	v_ashrrev_i32_e32 v15, 31, v14
	v_ashrrev_i32_e32 v17, 31, v16
	v_ashrrev_i32_e32 v19, 31, v18
	v_ashrrev_i32_e32 v21, 31, v20
	v_ashrrev_i32_e32 v23, 31, v22
	v_ashrrev_i32_e32 v25, 31, v24
	v_ashrrev_i32_e32 v27, 31, v26
	v_lshl_add_u64 v[14:15], v[14:15], 2, s[0:1]
	;; [unrolled: 32-line block ×4, first 2 shown]
	v_lshl_add_u64 v[16:17], v[16:17], 2, s[0:1]
	v_lshl_add_u64 v[18:19], v[18:19], 2, s[0:1]
	;; [unrolled: 1-line block ×6, first 2 shown]
	global_load_dword v62, v[12:13], off
	global_load_dword v63, v[14:15], off
	global_load_dword v64, v[16:17], off
	global_load_dword v65, v[18:19], off
	global_load_dword v66, v[20:21], off
	global_load_dword v67, v[22:23], off
	global_load_dword v74, v[24:25], off
	global_load_dword v75, v[26:27], off
	v_add_u32_e32 v12, s81, v70
	v_ashrrev_i32_e32 v13, 31, v12
	v_add_u32_e32 v14, s82, v70
	v_add_u32_e32 v16, s83, v70
	;; [unrolled: 1-line block ×5, first 2 shown]
	v_lshl_add_u64 v[12:13], v[12:13], 2, s[0:1]
	v_ashrrev_i32_e32 v15, 31, v14
	v_ashrrev_i32_e32 v17, 31, v16
	;; [unrolled: 1-line block ×5, first 2 shown]
	v_lshl_add_u64 v[14:15], v[14:15], 2, s[0:1]
	v_lshl_add_u64 v[16:17], v[16:17], 2, s[0:1]
	;; [unrolled: 1-line block ×5, first 2 shown]
	global_load_dword v76, v[12:13], off
	global_load_dword v77, v[14:15], off
	;; [unrolled: 1-line block ×6, first 2 shown]
	ds_read_b64 v[18:19], v72 offset:128
	ds_read_b64 v[16:17], v72 offset:160
	ds_read_b64 v[14:15], v72 offset:192
	ds_read_b64 v[12:13], v72 offset:224
	s_waitcnt vmcnt(47)
	ds_write_b32 v71, v28
	s_waitcnt vmcnt(46)
	ds_write_b32 v71, v29 offset:264
	s_waitcnt vmcnt(45)
	ds_write_b32 v71, v30 offset:528
	s_waitcnt vmcnt(44)
	ds_write_b32 v71, v31 offset:792
	s_waitcnt vmcnt(43)
	ds_write_b32 v71, v32 offset:1056
	s_waitcnt vmcnt(42)
	ds_write_b32 v71, v33 offset:1320
	s_waitcnt vmcnt(41)
	ds_write_b32 v71, v34 offset:1584
	s_waitcnt vmcnt(40)
	ds_write_b32 v71, v35 offset:1848
	s_waitcnt vmcnt(39)
	ds_write_b32 v71, v36 offset:2112
	s_waitcnt vmcnt(38)
	ds_write_b32 v71, v37 offset:2376
	s_waitcnt vmcnt(37)
	ds_write_b32 v71, v38 offset:2640
	s_waitcnt vmcnt(36)
	ds_write_b32 v71, v39 offset:2904
	s_waitcnt vmcnt(35)
	ds_write_b32 v71, v40 offset:3168
	s_waitcnt vmcnt(34)
	ds_write_b32 v71, v41 offset:3432
	s_waitcnt vmcnt(33)
	ds_write_b32 v71, v42 offset:3696
	s_waitcnt vmcnt(32)
	ds_write_b32 v71, v43 offset:3960
	ds_read_b64 v[36:37], v72
	ds_read_b64 v[32:33], v72 offset:32
	ds_read_b64 v[30:31], v72 offset:64
	ds_read_b64 v[28:29], v72 offset:96
	ds_read_b64 v[26:27], v72 offset:128
	ds_read_b64 v[24:25], v72 offset:160
	ds_read_b64 v[22:23], v72 offset:192
	ds_read_b64 v[20:21], v72 offset:224
	s_waitcnt vmcnt(31)
	ds_write_b32 v71, v44
	s_waitcnt vmcnt(30)
	ds_write_b32 v71, v45 offset:264
	s_waitcnt vmcnt(29)
	ds_write_b32 v71, v46 offset:528
	s_waitcnt vmcnt(28)
	ds_write_b32 v71, v47 offset:792
	s_waitcnt vmcnt(27)
	ds_write_b32 v71, v48 offset:1056
	s_waitcnt vmcnt(26)
	ds_write_b32 v71, v49 offset:1320
	s_waitcnt vmcnt(25)
	ds_write_b32 v71, v50 offset:1584
	s_waitcnt vmcnt(24)
	ds_write_b32 v71, v51 offset:1848
	s_waitcnt vmcnt(23)
	ds_write_b32 v71, v52 offset:2112
	s_waitcnt vmcnt(22)
	ds_write_b32 v71, v53 offset:2376
	s_waitcnt vmcnt(21)
	ds_write_b32 v71, v54 offset:2640
	s_waitcnt vmcnt(20)
	ds_write_b32 v71, v55 offset:2904
	s_waitcnt vmcnt(19)
	ds_write_b32 v71, v56 offset:3168
	s_waitcnt vmcnt(18)
	ds_write_b32 v71, v57 offset:3432
	s_waitcnt vmcnt(17)
	ds_write_b32 v71, v58 offset:3696
	s_waitcnt vmcnt(16)
	ds_write_b32 v71, v59 offset:3960
	ds_read_b64 v[50:51], v72
	ds_read_b64 v[48:49], v72 offset:32
	ds_read_b64 v[46:47], v72 offset:64
	ds_read_b64 v[44:45], v72 offset:96
	;; [unrolled: 40-line block ×3, first 2 shown]
	ds_read_b64 v[62:63], v72 offset:128
	ds_read_b64 v[58:59], v72 offset:160
	;; [unrolled: 1-line block ×4, first 2 shown]
	v_mov_b32_e32 v74, 0
	s_cbranch_vccnz .LBB78_9
; %bb.7:                                ;   in Loop: Header=BB78_6 Depth=1
	s_load_dword vcc_lo, s[36:37], 0x0
	v_mov_b32_e32 v74, 0
	s_waitcnt lgkmcnt(0)
	s_mul_hi_u32 vcc_hi, vcc_lo, s16
	s_add_i32 vcc_hi, vcc_lo, vcc_hi
	s_lshr_b32 s86, vcc_hi, s17
	s_cmp_ge_i32 s86, s13
	s_cbranch_scc1 .LBB78_9
; %bb.8:                                ;   in Loop: Header=BB78_6 Depth=1
	s_mul_i32 vcc_hi, s86, s18
	s_sub_i32 vcc_lo, vcc_lo, vcc_hi
	s_mul_i32 vcc_lo, vcc_lo, s9
	s_mul_i32 s86, s86, s20
	s_add_i32 s86, s86, vcc_lo
	v_add_u32_e32 v74, s86, v70
	v_ashrrev_i32_e32 v75, 31, v74
	v_lshl_add_u64 v[74:75], v[74:75], 2, s[6:7]
	global_load_dword v74, v[74:75], off
.LBB78_9:                               ;   in Loop: Header=BB78_6 Depth=1
	s_andn2_b64 vcc, exec, s[38:39]
	v_mov_b32_e32 v75, 0
	v_mov_b32_e32 v76, 0
	s_cbranch_vccnz .LBB78_12
; %bb.10:                               ;   in Loop: Header=BB78_6 Depth=1
	s_load_dword vcc_lo, s[36:37], 0x4
	v_mov_b32_e32 v76, 0
	s_waitcnt lgkmcnt(0)
	s_mul_hi_u32 s86, vcc_lo, s16
	s_add_i32 s86, vcc_lo, s86
	s_lshr_b32 vcc_hi, s86, s17
	s_cmp_ge_i32 vcc_hi, s13
	s_cbranch_scc1 .LBB78_12
; %bb.11:                               ;   in Loop: Header=BB78_6 Depth=1
	s_mul_i32 s86, vcc_hi, s18
	s_sub_i32 s86, vcc_lo, s86
	s_mul_i32 s86, s86, s9
	s_mul_i32 vcc_lo, vcc_hi, s20
	s_add_i32 vcc_lo, vcc_lo, s86
	v_add_u32_e32 v76, vcc_lo, v70
	v_ashrrev_i32_e32 v77, 31, v76
	v_lshl_add_u64 v[76:77], v[76:77], 2, s[6:7]
	global_load_dword v76, v[76:77], off
.LBB78_12:                              ;   in Loop: Header=BB78_6 Depth=1
	s_andn2_b64 vcc, exec, s[40:41]
	s_cbranch_vccnz .LBB78_15
; %bb.13:                               ;   in Loop: Header=BB78_6 Depth=1
	s_load_dword vcc_lo, s[36:37], 0x8
	v_mov_b32_e32 v75, 0
	s_waitcnt lgkmcnt(0)
	s_mul_hi_u32 s86, vcc_lo, s16
	s_add_i32 s86, vcc_lo, s86
	s_lshr_b32 vcc_hi, s86, s17
	s_cmp_ge_i32 vcc_hi, s13
	s_cbranch_scc1 .LBB78_15
; %bb.14:                               ;   in Loop: Header=BB78_6 Depth=1
	s_mul_i32 s86, vcc_hi, s18
	s_sub_i32 s86, vcc_lo, s86
	s_mul_i32 s86, s86, s9
	s_mul_i32 vcc_lo, vcc_hi, s20
	s_add_i32 vcc_lo, vcc_lo, s86
	v_add_u32_e32 v78, vcc_lo, v70
	v_ashrrev_i32_e32 v79, 31, v78
	v_lshl_add_u64 v[78:79], v[78:79], 2, s[6:7]
	global_load_dword v75, v[78:79], off
.LBB78_15:                              ;   in Loop: Header=BB78_6 Depth=1
	s_andn2_b64 vcc, exec, s[42:43]
	v_mov_b32_e32 v77, 0
	v_mov_b32_e32 v78, 0
	s_cbranch_vccnz .LBB78_18
; %bb.16:                               ;   in Loop: Header=BB78_6 Depth=1
	s_load_dword vcc_lo, s[36:37], 0xc
	v_mov_b32_e32 v78, 0
	s_waitcnt lgkmcnt(0)
	s_mul_hi_u32 s86, vcc_lo, s16
	s_add_i32 s86, vcc_lo, s86
	s_lshr_b32 vcc_hi, s86, s17
	s_cmp_ge_i32 vcc_hi, s13
	s_cbranch_scc1 .LBB78_18
; %bb.17:                               ;   in Loop: Header=BB78_6 Depth=1
	s_mul_i32 s86, vcc_hi, s18
	s_sub_i32 s86, vcc_lo, s86
	s_mul_i32 s86, s86, s9
	s_mul_i32 vcc_lo, vcc_hi, s20
	s_add_i32 vcc_lo, vcc_lo, s86
	v_add_u32_e32 v78, vcc_lo, v70
	v_ashrrev_i32_e32 v79, 31, v78
	v_lshl_add_u64 v[78:79], v[78:79], 2, s[6:7]
	global_load_dword v78, v[78:79], off
.LBB78_18:                              ;   in Loop: Header=BB78_6 Depth=1
	s_andn2_b64 vcc, exec, s[44:45]
	s_cbranch_vccnz .LBB78_21
; %bb.19:                               ;   in Loop: Header=BB78_6 Depth=1
	s_load_dword vcc_lo, s[36:37], 0x10
	v_mov_b32_e32 v77, 0
	s_waitcnt lgkmcnt(0)
	s_mul_hi_u32 s86, vcc_lo, s16
	s_add_i32 s86, vcc_lo, s86
	s_lshr_b32 vcc_hi, s86, s17
	s_cmp_ge_i32 vcc_hi, s13
	s_cbranch_scc1 .LBB78_21
; %bb.20:                               ;   in Loop: Header=BB78_6 Depth=1
	s_mul_i32 s86, vcc_hi, s18
	s_sub_i32 s86, vcc_lo, s86
	s_mul_i32 s86, s86, s9
	s_mul_i32 vcc_lo, vcc_hi, s20
	s_add_i32 vcc_lo, vcc_lo, s86
	v_add_u32_e32 v80, vcc_lo, v70
	v_ashrrev_i32_e32 v81, 31, v80
	v_lshl_add_u64 v[80:81], v[80:81], 2, s[6:7]
	global_load_dword v77, v[80:81], off
.LBB78_21:                              ;   in Loop: Header=BB78_6 Depth=1
	;; [unrolled: 46-line block ×6, first 2 shown]
	s_andn2_b64 vcc, exec, s[62:63]
	v_mov_b32_e32 v87, 0
	s_cbranch_vccnz .LBB78_5
; %bb.46:                               ;   in Loop: Header=BB78_6 Depth=1
	s_load_dword vcc_lo, s[36:37], 0x34
	v_mov_b32_e32 v87, 0
	s_waitcnt lgkmcnt(0)
	s_mul_hi_u32 s86, vcc_lo, s16
	s_add_i32 s86, vcc_lo, s86
	s_lshr_b32 vcc_hi, s86, s17
	s_cmp_ge_i32 vcc_hi, s13
	s_cbranch_scc1 .LBB78_5
; %bb.47:                               ;   in Loop: Header=BB78_6 Depth=1
	s_mul_i32 s86, vcc_hi, s18
	s_sub_i32 s86, vcc_lo, s86
	s_mul_i32 s86, s86, s9
	s_mul_i32 vcc_lo, vcc_hi, s20
	s_add_i32 vcc_lo, vcc_lo, s86
	v_add_u32_e32 v88, vcc_lo, v70
	v_ashrrev_i32_e32 v89, 31, v88
	v_lshl_add_u64 v[88:89], v[88:89], 2, s[6:7]
	global_load_dword v87, v[88:89], off
	s_branch .LBB78_5
.LBB78_48:
	s_or_b64 exec, exec, s[4:5]
	v_readlane_b32 s24, v90, 6
	v_readlane_b32 s26, v90, 9
	;; [unrolled: 1-line block ×9, first 2 shown]
.LBB78_49:
	s_or_b64 exec, exec, s[28:29]
	s_lshl_b64 s[0:1], s[26:27], 2
	v_mul_u32_u24_e32 v0, 0x208, v69
	v_lshlrev_b32_e32 v1, 2, v68
	v_or_b32_e32 v4, 12, v3
	s_add_u32 s4, s22, s0
	v_add3_u32 v0, 0, v0, v1
	v_and_b32_e32 v1, 0x3f0, v3
	v_and_b32_e32 v4, 0x3fc, v4
	s_addc_u32 s5, s23, s1
	v_add_u32_e32 v1, v0, v1
	v_add_u32_e32 v0, v0, v4
	s_barrier
	ds_write2_b32 v1, a0, a1 offset1:1
	ds_write_b32 v1, a2 offset:8
	ds_write_b32 v0, a3
	ds_write2_b32 v1, a4, a5 offset0:16 offset1:17
	ds_write_b32 v1, a6 offset:72
	ds_write_b32 v0, a7 offset:64
	ds_write2_b32 v1, a8, a9 offset0:32 offset1:33
	ds_write_b32 v1, a10 offset:136
	ds_write_b32 v0, a11 offset:128
	;; [unrolled: 3-line block ×3, first 2 shown]
	s_cmp_gt_i32 s14, 0
	v_add_u32_e32 v0, s2, v2
	s_cselect_b64 s[6:7], -1, 0
	v_cmp_gt_i32_e64 s[0:1], s33, v0
	v_cmp_gt_u32_e32 vcc, 14, v2
	s_and_b64 s[0:1], s[6:7], s[0:1]
	v_lshl_add_u32 v5, v3, 2, 0
	v_add_u32_e32 v4, s11, v3
	v_mul_u32_u24_e32 v6, 0x208, v2
	s_and_b64 s[8:9], vcc, s[0:1]
	s_waitcnt lgkmcnt(0)
	s_barrier
	s_and_saveexec_b64 s[0:1], s[8:9]
	v_readlane_b32 s14, v90, 0
	v_readlane_b32 s15, v90, 1
	s_cbranch_execz .LBB78_52
; %bb.50:
	v_ashrrev_i32_e32 v1, 31, v0
	v_lshl_add_u64 v[8:9], v[0:1], 2, s[4:5]
	global_load_dword v1, v[8:9], off
	s_waitcnt vmcnt(0)
	v_mul_hi_u32 v3, v1, s19
	v_add_u32_e32 v3, v1, v3
	v_lshrrev_b32_e32 v3, s24, v3
	v_cmp_gt_i32_e32 vcc, s13, v3
	s_and_b64 exec, exec, vcc
	s_cbranch_execz .LBB78_52
; %bb.51:
	v_add_u32_e32 v7, v5, v6
	ds_read2st64_b32 v[8:9], v7 offset1:1
	v_mul_lo_u32 v7, v3, s25
	v_sub_u32_e32 v1, v1, v7
	v_mul_lo_u32 v3, v3, s21
	v_mul_lo_u32 v1, v1, s10
	s_waitcnt lgkmcnt(0)
	v_add_f32_e32 v7, 0, v8
	v_add_f32_e32 v7, v7, v9
	v_add3_u32 v8, v4, v3, v1
	v_mov_b32_e32 v9, 0
	v_lshl_add_u64 v[8:9], v[8:9], 2, s[14:15]
	global_store_dword v[8:9], v7, off
.LBB78_52:
	s_or_b64 exec, exec, s[0:1]
	v_add_u32_e32 v1, 2, v0
	v_cmp_gt_i32_e64 s[0:1], s33, v1
	v_cmp_gt_u32_e32 vcc, 12, v2
	s_and_b64 s[0:1], s[6:7], s[0:1]
	s_and_b64 s[8:9], vcc, s[0:1]
	s_and_saveexec_b64 s[0:1], s[8:9]
	s_cbranch_execz .LBB78_55
; %bb.53:
	s_ashr_i32 s3, s2, 31
	v_mov_b32_e32 v3, 0
	v_lshl_add_u64 v[8:9], v[2:3], 0, s[2:3]
	v_lshl_add_u64 v[8:9], v[8:9], 2, s[4:5]
	global_load_dword v1, v[8:9], off offset:8
	s_waitcnt vmcnt(0)
	v_mul_hi_u32 v7, v1, s19
	v_add_u32_e32 v7, v1, v7
	v_lshrrev_b32_e32 v7, s24, v7
	v_cmp_gt_i32_e32 vcc, s13, v7
	s_and_b64 exec, exec, vcc
	s_cbranch_execz .LBB78_55
; %bb.54:
	v_add_u32_e32 v8, v6, v5
	v_add_u32_e32 v8, 16, v8
	ds_read2st64_b32 v[8:9], v8 offset0:4 offset1:5
	v_mul_lo_u32 v10, v7, s25
	v_sub_u32_e32 v1, v1, v10
	v_mul_lo_u32 v7, v7, s21
	v_mul_lo_u32 v1, v1, s10
	s_waitcnt lgkmcnt(0)
	v_add_f32_e32 v8, 0, v8
	v_add_f32_e32 v10, v8, v9
	v_add3_u32 v8, v4, v7, v1
	v_mov_b32_e32 v9, v3
	v_lshl_add_u64 v[8:9], v[8:9], 2, s[14:15]
	global_store_dword v[8:9], v10, off
.LBB78_55:
	s_or_b64 exec, exec, s[0:1]
	v_add_u32_e32 v1, 4, v0
	v_cmp_gt_i32_e64 s[0:1], s33, v1
	v_cmp_gt_u32_e32 vcc, 10, v2
	s_and_b64 s[0:1], s[6:7], s[0:1]
	s_and_b64 s[8:9], vcc, s[0:1]
	s_and_saveexec_b64 s[0:1], s[8:9]
	s_cbranch_execz .LBB78_58
; %bb.56:
	s_ashr_i32 s3, s2, 31
	v_mov_b32_e32 v3, 0
	v_lshl_add_u64 v[8:9], v[2:3], 0, s[2:3]
	v_lshl_add_u64 v[8:9], v[8:9], 2, s[4:5]
	global_load_dword v1, v[8:9], off offset:16
	s_waitcnt vmcnt(0)
	v_mul_hi_u32 v7, v1, s19
	v_add_u32_e32 v7, v1, v7
	v_lshrrev_b32_e32 v7, s24, v7
	v_cmp_gt_i32_e32 vcc, s13, v7
	s_and_b64 exec, exec, vcc
	s_cbranch_execz .LBB78_58
; %bb.57:
	v_add_u32_e32 v8, v5, v6
	v_add_u32_e32 v8, 32, v8
	ds_read2st64_b32 v[8:9], v8 offset0:8 offset1:9
	v_mul_lo_u32 v10, v7, s25
	v_sub_u32_e32 v1, v1, v10
	v_mul_lo_u32 v7, v7, s21
	v_mul_lo_u32 v1, v1, s10
	s_waitcnt lgkmcnt(0)
	v_add_f32_e32 v8, 0, v8
	v_add_f32_e32 v10, v8, v9
	v_add3_u32 v8, v4, v7, v1
	v_mov_b32_e32 v9, v3
	v_lshl_add_u64 v[8:9], v[8:9], 2, s[14:15]
	global_store_dword v[8:9], v10, off
.LBB78_58:
	;; [unrolled: 37-line block ×5, first 2 shown]
	s_or_b64 exec, exec, s[0:1]
	v_add_u32_e32 v0, 12, v0
	v_cmp_gt_i32_e64 s[0:1], s33, v0
	v_cmp_gt_u32_e32 vcc, 2, v2
	s_and_b64 s[0:1], s[6:7], s[0:1]
	s_and_b64 s[0:1], vcc, s[0:1]
	s_and_saveexec_b64 s[6:7], s[0:1]
	s_cbranch_execz .LBB78_70
; %bb.68:
	s_ashr_i32 s3, s2, 31
	v_mov_b32_e32 v3, 0
	v_lshl_add_u64 v[0:1], v[2:3], 0, s[2:3]
	v_lshl_add_u64 v[0:1], v[0:1], 2, s[4:5]
	global_load_dword v0, v[0:1], off offset:48
	s_waitcnt vmcnt(0)
	v_mul_hi_u32 v1, v0, s19
	v_add_u32_e32 v1, v0, v1
	v_lshrrev_b32_e32 v1, s24, v1
	v_cmp_gt_i32_e32 vcc, s13, v1
	s_and_b64 exec, exec, vcc
	s_cbranch_execz .LBB78_70
; %bb.69:
	v_add_u32_e32 v2, v5, v6
	v_add_u32_e32 v2, 0x60, v2
	ds_read2st64_b32 v[6:7], v2 offset0:24 offset1:25
	v_mul_lo_u32 v2, v1, s25
	v_sub_u32_e32 v0, v0, v2
	v_mul_lo_u32 v1, v1, s21
	v_mul_lo_u32 v0, v0, s10
	s_waitcnt lgkmcnt(0)
	v_add_f32_e32 v2, 0, v6
	v_add_f32_e32 v5, v2, v7
	v_add3_u32 v2, v4, v1, v0
	v_lshl_add_u64 v[0:1], v[2:3], 2, s[14:15]
	global_store_dword v[0:1], v5, off
.LBB78_70:
	s_endpgm
	.section	.rodata,"a",@progbits
	.p2align	6, 0x0
	.amdhsa_kernel _ZL13mul_mat_f_idsIfLi64ELi14ELi2EEvPKT_PKfPKiS6_S6_Pfiiiiiiiiiiiiii15HIP_vector_typeIjLj3EES9_
		.amdhsa_group_segment_fixed_size 0
		.amdhsa_private_segment_fixed_size 0
		.amdhsa_kernarg_size 128
		.amdhsa_user_sgpr_count 2
		.amdhsa_user_sgpr_dispatch_ptr 0
		.amdhsa_user_sgpr_queue_ptr 0
		.amdhsa_user_sgpr_kernarg_segment_ptr 1
		.amdhsa_user_sgpr_dispatch_id 0
		.amdhsa_user_sgpr_kernarg_preload_length 0
		.amdhsa_user_sgpr_kernarg_preload_offset 0
		.amdhsa_user_sgpr_private_segment_size 0
		.amdhsa_uses_dynamic_stack 0
		.amdhsa_enable_private_segment 0
		.amdhsa_system_sgpr_workgroup_id_x 1
		.amdhsa_system_sgpr_workgroup_id_y 1
		.amdhsa_system_sgpr_workgroup_id_z 1
		.amdhsa_system_sgpr_workgroup_info 0
		.amdhsa_system_vgpr_workitem_id 1
		.amdhsa_next_free_vgpr 108
		.amdhsa_next_free_sgpr 100
		.amdhsa_accum_offset 92
		.amdhsa_reserve_vcc 1
		.amdhsa_float_round_mode_32 0
		.amdhsa_float_round_mode_16_64 0
		.amdhsa_float_denorm_mode_32 3
		.amdhsa_float_denorm_mode_16_64 3
		.amdhsa_dx10_clamp 1
		.amdhsa_ieee_mode 1
		.amdhsa_fp16_overflow 0
		.amdhsa_tg_split 0
		.amdhsa_exception_fp_ieee_invalid_op 0
		.amdhsa_exception_fp_denorm_src 0
		.amdhsa_exception_fp_ieee_div_zero 0
		.amdhsa_exception_fp_ieee_overflow 0
		.amdhsa_exception_fp_ieee_underflow 0
		.amdhsa_exception_fp_ieee_inexact 0
		.amdhsa_exception_int_div_zero 0
	.end_amdhsa_kernel
	.section	.text._ZL13mul_mat_f_idsIfLi64ELi14ELi2EEvPKT_PKfPKiS6_S6_Pfiiiiiiiiiiiiii15HIP_vector_typeIjLj3EES9_,"axG",@progbits,_ZL13mul_mat_f_idsIfLi64ELi14ELi2EEvPKT_PKfPKiS6_S6_Pfiiiiiiiiiiiiii15HIP_vector_typeIjLj3EES9_,comdat
.Lfunc_end78:
	.size	_ZL13mul_mat_f_idsIfLi64ELi14ELi2EEvPKT_PKfPKiS6_S6_Pfiiiiiiiiiiiiii15HIP_vector_typeIjLj3EES9_, .Lfunc_end78-_ZL13mul_mat_f_idsIfLi64ELi14ELi2EEvPKT_PKfPKiS6_S6_Pfiiiiiiiiiiiiii15HIP_vector_typeIjLj3EES9_
                                        ; -- End function
	.section	.AMDGPU.csdata,"",@progbits
; Kernel info:
; codeLenInByte = 7296
; NumSgprs: 106
; NumVgprs: 91
; NumAgprs: 16
; TotalNumVgprs: 108
; ScratchSize: 0
; MemoryBound: 0
; FloatMode: 240
; IeeeMode: 1
; LDSByteSize: 0 bytes/workgroup (compile time only)
; SGPRBlocks: 13
; VGPRBlocks: 13
; NumSGPRsForWavesPerEU: 106
; NumVGPRsForWavesPerEU: 108
; AccumOffset: 92
; Occupancy: 4
; WaveLimiterHint : 1
; COMPUTE_PGM_RSRC2:SCRATCH_EN: 0
; COMPUTE_PGM_RSRC2:USER_SGPR: 2
; COMPUTE_PGM_RSRC2:TRAP_HANDLER: 0
; COMPUTE_PGM_RSRC2:TGID_X_EN: 1
; COMPUTE_PGM_RSRC2:TGID_Y_EN: 1
; COMPUTE_PGM_RSRC2:TGID_Z_EN: 1
; COMPUTE_PGM_RSRC2:TIDIG_COMP_CNT: 1
; COMPUTE_PGM_RSRC3_GFX90A:ACCUM_OFFSET: 22
; COMPUTE_PGM_RSRC3_GFX90A:TG_SPLIT: 0
	.section	.text._ZL9mul_mat_fIfLi64ELi14ELi2ELb1EEvPKT_PKfPKiPfiiiiiiiiiiiiiiii,"axG",@progbits,_ZL9mul_mat_fIfLi64ELi14ELi2ELb1EEvPKT_PKfPKiPfiiiiiiiiiiiiiiii,comdat
	.globl	_ZL9mul_mat_fIfLi64ELi14ELi2ELb1EEvPKT_PKfPKiPfiiiiiiiiiiiiiiii ; -- Begin function _ZL9mul_mat_fIfLi64ELi14ELi2ELb1EEvPKT_PKfPKiPfiiiiiiiiiiiiiiii
	.p2align	8
	.type	_ZL9mul_mat_fIfLi64ELi14ELi2ELb1EEvPKT_PKfPKiPfiiiiiiiiiiiiiiii,@function
_ZL9mul_mat_fIfLi64ELi14ELi2ELb1EEvPKT_PKfPKiPfiiiiiiiiiiiiiiii: ; @_ZL9mul_mat_fIfLi64ELi14ELi2ELb1EEvPKT_PKfPKiPfiiiiiiiiiiiiiiii
; %bb.0:
	s_load_dwordx8 s[52:59], s[0:1], 0x20
	s_mov_b32 s28, s4
	s_load_dwordx2 s[8:9], s[0:1], 0x10
	v_bfe_u32 v74, v0, 10, 10
	s_waitcnt lgkmcnt(0)
	s_add_i32 s4, s53, 13
	s_mul_hi_i32 s5, s4, 0x92492493
	s_add_i32 s5, s5, s4
	s_lshr_b32 s4, s5, 31
	s_ashr_i32 s5, s5, 3
	s_add_i32 s5, s5, s4
	v_cvt_f32_u32_e32 v1, s5
	s_load_dword s4, s[0:1], 0x64
	s_add_u32 s18, s0, 0x60
	s_addc_u32 s19, s1, 0
	v_rcp_iflag_f32_e32 v1, v1
	s_sub_i32 s6, 0, s5
	v_mul_f32_e32 v1, 0x4f7ffffe, v1
	v_cvt_u32_f32_e32 v1, v1
	v_mul_lo_u32 v2, s6, v1
	v_mul_hi_u32 v2, v1, v2
	v_add_u32_e32 v1, v1, v2
	s_waitcnt lgkmcnt(0)
	v_mul_hi_u32 v1, s4, v1
	v_mul_lo_u32 v2, v1, s5
	v_sub_u32_e32 v2, s4, v2
	v_add_u32_e32 v3, 1, v1
	v_subrev_u32_e32 v4, s5, v2
	v_cmp_le_u32_e32 vcc, s5, v2
	s_nop 1
	v_cndmask_b32_e32 v1, v1, v3, vcc
	v_cndmask_b32_e32 v2, v2, v4, vcc
	v_add_u32_e32 v3, 1, v1
	v_cmp_le_u32_e32 vcc, s5, v2
	s_nop 1
	v_cndmask_b32_e32 v1, v1, v3, vcc
	v_cvt_f32_u32_e32 v2, v1
	v_sub_u32_e32 v4, 0, v1
	v_rcp_iflag_f32_e32 v2, v2
	s_nop 0
	v_mul_f32_e32 v2, 0x4f7ffffe, v2
	v_cvt_u32_f32_e32 v3, v2
	v_and_b32_e32 v2, 0x3ff, v0
	v_cmp_eq_u32_e32 vcc, 0, v2
	v_mul_lo_u32 v4, v4, v3
	v_mul_hi_u32 v4, v3, v4
	v_add_u32_e32 v3, v3, v4
	v_mul_hi_u32 v3, s3, v3
	s_and_saveexec_b64 s[6:7], vcc
	s_cbranch_execz .LBB79_2
; %bb.1:
	v_mov_b32_e32 v4, 0x100
	v_lshl_add_u32 v4, v74, 2, v4
	v_mov_b32_e32 v5, -1
	ds_write_b32 v4, v5
.LBB79_2:
	s_or_b64 exec, exec, s[6:7]
	v_mul_lo_u32 v4, v3, v1
	v_sub_u32_e32 v4, s3, v4
	v_add_u32_e32 v5, 1, v3
	v_sub_u32_e32 v6, v4, v1
	v_cmp_ge_u32_e64 s[6:7], v4, v1
	v_cmp_gt_i32_e64 s[14:15], s54, v2
	s_nop 0
	v_cndmask_b32_e64 v3, v3, v5, s[6:7]
	v_cndmask_b32_e64 v4, v4, v6, s[6:7]
	v_add_u32_e32 v5, 1, v3
	v_cmp_ge_u32_e64 s[6:7], v4, v1
	s_nop 1
	v_cndmask_b32_e64 v3, v3, v5, s[6:7]
	v_mul_lo_u32 v1, v3, v1
	v_mul_lo_u32 v3, v3, 14
	v_mul_hi_i32 v5, v3, s59
	v_mul_lo_u32 v4, v3, s59
	v_sub_u32_e32 v10, s3, v1
	v_lshlrev_b64 v[4:5], 2, v[4:5]
	v_add_u32_e32 v1, v74, v3
	v_lshl_add_u64 v[4:5], s[8:9], 0, v[4:5]
	v_cmp_gt_i32_e64 s[30:31], s53, v1
	v_mov_b32_e32 v1, 0
	s_and_saveexec_b64 s[10:11], s[30:31]
	s_cbranch_execz .LBB79_10
; %bb.3:
	v_mov_b32_e32 v1, 0
	s_and_saveexec_b64 s[12:13], s[14:15]
	s_cbranch_execz .LBB79_9
; %bb.4:
	v_mul_lo_u32 v6, v74, s59
	v_ashrrev_i32_e32 v7, 31, v6
	v_mov_b32_e32 v1, 0x100
	v_lshl_add_u64 v[6:7], v[6:7], 2, v[4:5]
	v_lshl_add_u32 v11, v74, 2, v1
	v_mul_lo_u32 v8, v2, s58
	s_lshl_b32 s3, s58, 6
	s_mov_b64 s[16:17], 0
	v_mov_b32_e32 v1, 0
	v_mov_b32_e32 v12, v2
	s_branch .LBB79_6
.LBB79_5:                               ;   in Loop: Header=BB79_6 Depth=1
	s_or_b64 exec, exec, s[20:21]
	v_add_u32_e32 v12, 64, v12
	v_cmp_le_i32_e64 s[8:9], s54, v12
	s_xor_b64 s[4:5], s[6:7], -1
	s_or_b64 s[4:5], s[4:5], s[8:9]
	s_and_b64 s[4:5], exec, s[4:5]
	s_or_b64 s[16:17], s[4:5], s[16:17]
	v_add_u32_e32 v8, s3, v8
	s_andn2_b64 exec, exec, s[16:17]
	s_cbranch_execz .LBB79_8
.LBB79_6:                               ; =>This Inner Loop Header: Depth=1
	v_ashrrev_i32_e32 v9, 31, v8
	v_lshl_add_u64 v[14:15], v[8:9], 2, v[6:7]
	global_load_dword v9, v[14:15], off
	s_waitcnt vmcnt(0)
	v_cmp_ne_u32_e64 s[6:7], v9, v10
	v_cmp_eq_u32_e64 s[8:9], v9, v10
	s_and_saveexec_b64 s[20:21], s[8:9]
	s_cbranch_execz .LBB79_5
; %bb.7:                                ;   in Loop: Header=BB79_6 Depth=1
	v_mov_b32_e32 v1, 1
	ds_write_b32 v11, v12
	s_branch .LBB79_5
.LBB79_8:
	s_or_b64 exec, exec, s[16:17]
.LBB79_9:
	s_or_b64 exec, exec, s[12:13]
.LBB79_10:
	s_or_b64 exec, exec, s[10:11]
	s_and_saveexec_b64 s[6:7], vcc
	s_cbranch_execz .LBB79_12
; %bb.11:
	v_mov_b32_e32 v6, 0x100
	v_lshl_add_u32 v6, v74, 2, v6
	v_mov_b32_e32 v7, -1
	ds_write_b32 v6, v7 offset:8
.LBB79_12:
	s_or_b64 exec, exec, s[6:7]
	v_add_u32_e32 v75, 2, v74
	v_add_u32_e32 v6, v75, v3
	v_cmp_gt_i32_e64 s[4:5], s53, v6
	s_mov_b64 s[10:11], exec
                                        ; implicit-def: $vgpr94 : SGPR spill to VGPR lane
	s_nop 0
	v_writelane_b32 v94, s4, 0
	s_nop 1
	v_writelane_b32 v94, s5, 1
	s_and_b64 s[4:5], s[10:11], s[4:5]
	s_mov_b64 exec, s[4:5]
	s_cbranch_execz .LBB79_20
; %bb.13:
	s_and_saveexec_b64 s[12:13], s[14:15]
	s_cbranch_execz .LBB79_19
; %bb.14:
	v_mul_lo_u32 v6, v75, s59
	v_ashrrev_i32_e32 v7, 31, v6
	v_mov_b32_e32 v8, 0x100
	v_lshl_add_u64 v[6:7], v[6:7], 2, v[4:5]
	v_lshl_add_u32 v11, v74, 2, v8
	v_mul_lo_u32 v8, v2, s58
	s_lshl_b32 s3, s58, 6
	s_mov_b64 s[16:17], 0
	v_mov_b32_e32 v12, v2
	s_branch .LBB79_16
.LBB79_15:                              ;   in Loop: Header=BB79_16 Depth=1
	s_or_b64 exec, exec, s[20:21]
	v_add_u32_e32 v12, 64, v12
	v_cmp_le_i32_e64 s[8:9], s54, v12
	s_xor_b64 s[4:5], s[6:7], -1
	s_or_b64 s[4:5], s[4:5], s[8:9]
	s_and_b64 s[4:5], exec, s[4:5]
	s_or_b64 s[16:17], s[4:5], s[16:17]
	v_add_u32_e32 v8, s3, v8
	s_andn2_b64 exec, exec, s[16:17]
	s_cbranch_execz .LBB79_18
.LBB79_16:                              ; =>This Inner Loop Header: Depth=1
	v_ashrrev_i32_e32 v9, 31, v8
	v_lshl_add_u64 v[14:15], v[8:9], 2, v[6:7]
	global_load_dword v9, v[14:15], off
	s_waitcnt vmcnt(0)
	v_cmp_ne_u32_e64 s[6:7], v9, v10
	v_cmp_eq_u32_e64 s[8:9], v9, v10
	s_and_saveexec_b64 s[20:21], s[8:9]
	s_cbranch_execz .LBB79_15
; %bb.17:                               ;   in Loop: Header=BB79_16 Depth=1
	v_mov_b32_e32 v1, 1
	ds_write_b32 v11, v12 offset:8
	s_branch .LBB79_15
.LBB79_18:
	s_or_b64 exec, exec, s[16:17]
.LBB79_19:
	s_or_b64 exec, exec, s[12:13]
.LBB79_20:
	s_or_b64 exec, exec, s[10:11]
	s_load_dwordx4 s[60:63], s[0:1], 0x44
	s_and_saveexec_b64 s[6:7], vcc
	s_cbranch_execz .LBB79_22
; %bb.21:
	v_mov_b32_e32 v6, 0x100
	v_lshl_add_u32 v6, v74, 2, v6
	v_mov_b32_e32 v7, -1
	ds_write_b32 v6, v7 offset:16
.LBB79_22:
	s_or_b64 exec, exec, s[6:7]
	v_add_u32_e32 v76, 4, v74
	v_add_u32_e32 v6, v76, v3
	v_cmp_gt_i32_e64 s[4:5], s53, v6
	s_mov_b64 s[10:11], exec
	s_nop 0
	v_writelane_b32 v94, s4, 2
	s_nop 1
	v_writelane_b32 v94, s5, 3
	s_and_b64 s[4:5], s[10:11], s[4:5]
	s_mov_b64 exec, s[4:5]
	s_cbranch_execz .LBB79_30
; %bb.23:
	s_and_saveexec_b64 s[12:13], s[14:15]
	s_cbranch_execz .LBB79_29
; %bb.24:
	v_mul_lo_u32 v6, v76, s59
	v_ashrrev_i32_e32 v7, 31, v6
	v_mov_b32_e32 v8, 0x100
	v_lshl_add_u64 v[6:7], v[6:7], 2, v[4:5]
	v_lshl_add_u32 v11, v74, 2, v8
	v_mul_lo_u32 v8, v2, s58
	s_lshl_b32 s3, s58, 6
	s_mov_b64 s[16:17], 0
	v_mov_b32_e32 v12, v2
	s_branch .LBB79_26
.LBB79_25:                              ;   in Loop: Header=BB79_26 Depth=1
	s_or_b64 exec, exec, s[20:21]
	v_add_u32_e32 v12, 64, v12
	v_cmp_le_i32_e64 s[8:9], s54, v12
	s_xor_b64 s[4:5], s[6:7], -1
	s_or_b64 s[4:5], s[4:5], s[8:9]
	s_and_b64 s[4:5], exec, s[4:5]
	s_or_b64 s[16:17], s[4:5], s[16:17]
	v_add_u32_e32 v8, s3, v8
	s_andn2_b64 exec, exec, s[16:17]
	s_cbranch_execz .LBB79_28
.LBB79_26:                              ; =>This Inner Loop Header: Depth=1
	v_ashrrev_i32_e32 v9, 31, v8
	v_lshl_add_u64 v[14:15], v[8:9], 2, v[6:7]
	global_load_dword v9, v[14:15], off
	s_waitcnt vmcnt(0)
	v_cmp_ne_u32_e64 s[6:7], v9, v10
	v_cmp_eq_u32_e64 s[8:9], v9, v10
	s_and_saveexec_b64 s[20:21], s[8:9]
	s_cbranch_execz .LBB79_25
; %bb.27:                               ;   in Loop: Header=BB79_26 Depth=1
	v_mov_b32_e32 v1, 1
	ds_write_b32 v11, v12 offset:16
	s_branch .LBB79_25
.LBB79_28:
	s_or_b64 exec, exec, s[16:17]
.LBB79_29:
	s_or_b64 exec, exec, s[12:13]
.LBB79_30:
	s_or_b64 exec, exec, s[10:11]
	s_waitcnt lgkmcnt(0)
	s_abs_i32 s3, s63
	s_and_saveexec_b64 s[6:7], vcc
	s_cbranch_execz .LBB79_32
; %bb.31:
	v_mov_b32_e32 v6, 0x100
	v_lshl_add_u32 v6, v74, 2, v6
	v_mov_b32_e32 v7, -1
	ds_write_b32 v6, v7 offset:24
.LBB79_32:
	s_or_b64 exec, exec, s[6:7]
	v_cvt_f32_u32_e32 v11, s3
	v_add_u32_e32 v77, 6, v74
	v_add_u32_e32 v6, v77, v3
	v_cmp_gt_i32_e64 s[4:5], s53, v6
	s_mov_b64 s[12:13], exec
	s_nop 0
	v_writelane_b32 v94, s4, 4
	s_nop 1
	v_writelane_b32 v94, s5, 5
	s_and_b64 s[4:5], s[12:13], s[4:5]
	s_mov_b64 exec, s[4:5]
	s_cbranch_execz .LBB79_40
; %bb.33:
	s_and_saveexec_b64 s[16:17], s[14:15]
	s_cbranch_execz .LBB79_39
; %bb.34:
	v_mul_lo_u32 v6, v77, s59
	v_ashrrev_i32_e32 v7, 31, v6
	v_mov_b32_e32 v8, 0x100
	v_lshl_add_u64 v[6:7], v[6:7], 2, v[4:5]
	v_lshl_add_u32 v12, v74, 2, v8
	v_mul_lo_u32 v8, v2, s58
	s_lshl_b32 s4, s58, 6
	s_mov_b64 s[20:21], 0
	v_mov_b32_e32 v13, v2
	s_branch .LBB79_36
.LBB79_35:                              ;   in Loop: Header=BB79_36 Depth=1
	s_or_b64 exec, exec, s[22:23]
	v_add_u32_e32 v13, 64, v13
	v_cmp_le_i32_e64 s[10:11], s54, v13
	s_xor_b64 s[6:7], s[8:9], -1
	s_or_b64 s[6:7], s[6:7], s[10:11]
	s_and_b64 s[6:7], exec, s[6:7]
	s_or_b64 s[20:21], s[6:7], s[20:21]
	v_add_u32_e32 v8, s4, v8
	s_andn2_b64 exec, exec, s[20:21]
	s_cbranch_execz .LBB79_38
.LBB79_36:                              ; =>This Inner Loop Header: Depth=1
	v_ashrrev_i32_e32 v9, 31, v8
	v_lshl_add_u64 v[14:15], v[8:9], 2, v[6:7]
	global_load_dword v9, v[14:15], off
	s_waitcnt vmcnt(0)
	v_cmp_ne_u32_e64 s[8:9], v9, v10
	v_cmp_eq_u32_e64 s[10:11], v9, v10
	s_and_saveexec_b64 s[22:23], s[10:11]
	s_cbranch_execz .LBB79_35
; %bb.37:                               ;   in Loop: Header=BB79_36 Depth=1
	v_mov_b32_e32 v1, 1
	ds_write_b32 v12, v13 offset:24
	s_branch .LBB79_35
.LBB79_38:
	s_or_b64 exec, exec, s[20:21]
.LBB79_39:
	s_or_b64 exec, exec, s[16:17]
.LBB79_40:
	s_or_b64 exec, exec, s[12:13]
	v_rcp_iflag_f32_e32 v6, v11
	s_and_saveexec_b64 s[8:9], vcc
	s_cbranch_execz .LBB79_42
; %bb.41:
	v_mov_b32_e32 v7, 0x100
	v_lshl_add_u32 v7, v74, 2, v7
	v_mov_b32_e32 v8, -1
	ds_write_b32 v7, v8 offset:32
.LBB79_42:
	s_or_b64 exec, exec, s[8:9]
	v_add_u32_e32 v78, 8, v74
	v_mul_f32_e32 v11, 0x4f7ffffe, v6
	v_add_u32_e32 v6, v78, v3
	v_cmp_gt_i32_e64 s[4:5], s53, v6
	s_mov_b64 s[16:17], exec
	s_nop 0
	v_writelane_b32 v94, s4, 6
	s_nop 1
	v_writelane_b32 v94, s5, 7
	s_and_b64 s[4:5], s[16:17], s[4:5]
	s_mov_b64 exec, s[4:5]
	s_cbranch_execz .LBB79_50
; %bb.43:
	s_and_saveexec_b64 s[20:21], s[14:15]
	s_cbranch_execz .LBB79_49
; %bb.44:
	v_mul_lo_u32 v6, v78, s59
	v_ashrrev_i32_e32 v7, 31, v6
	v_mov_b32_e32 v8, 0x100
	v_lshl_add_u64 v[6:7], v[6:7], 2, v[4:5]
	v_lshl_add_u32 v12, v74, 2, v8
	v_mul_lo_u32 v8, v2, s58
	s_lshl_b32 s4, s58, 6
	s_mov_b64 s[22:23], 0
	v_mov_b32_e32 v13, v2
	s_branch .LBB79_46
.LBB79_45:                              ;   in Loop: Header=BB79_46 Depth=1
	s_or_b64 exec, exec, s[24:25]
	v_add_u32_e32 v13, 64, v13
	v_cmp_le_i32_e64 s[12:13], s54, v13
	s_xor_b64 s[6:7], s[10:11], -1
	s_or_b64 s[6:7], s[6:7], s[12:13]
	s_and_b64 s[6:7], exec, s[6:7]
	s_or_b64 s[22:23], s[6:7], s[22:23]
	v_add_u32_e32 v8, s4, v8
	s_andn2_b64 exec, exec, s[22:23]
	s_cbranch_execz .LBB79_48
.LBB79_46:                              ; =>This Inner Loop Header: Depth=1
	v_ashrrev_i32_e32 v9, 31, v8
	v_lshl_add_u64 v[14:15], v[8:9], 2, v[6:7]
	global_load_dword v9, v[14:15], off
	s_waitcnt vmcnt(0)
	v_cmp_ne_u32_e64 s[10:11], v9, v10
	v_cmp_eq_u32_e64 s[12:13], v9, v10
	s_and_saveexec_b64 s[24:25], s[12:13]
	s_cbranch_execz .LBB79_45
; %bb.47:                               ;   in Loop: Header=BB79_46 Depth=1
	v_mov_b32_e32 v1, 1
	ds_write_b32 v12, v13 offset:32
	s_branch .LBB79_45
.LBB79_48:
	s_or_b64 exec, exec, s[22:23]
.LBB79_49:
	s_or_b64 exec, exec, s[20:21]
.LBB79_50:
	s_or_b64 exec, exec, s[16:17]
	v_cvt_u32_f32_e32 v11, v11
	s_sub_i32 s4, 0, s3
	s_and_saveexec_b64 s[10:11], vcc
	s_cbranch_execz .LBB79_52
; %bb.51:
	v_mov_b32_e32 v6, 0x100
	v_lshl_add_u32 v6, v74, 2, v6
	v_mov_b32_e32 v7, -1
	ds_write_b32 v6, v7 offset:40
.LBB79_52:
	s_or_b64 exec, exec, s[10:11]
	v_add_u32_e32 v79, 10, v74
	v_mul_lo_u32 v12, s4, v11
	v_add_u32_e32 v6, v79, v3
	v_cmp_gt_i32_e64 s[4:5], s53, v6
	s_mov_b64 s[20:21], exec
	s_nop 0
	v_writelane_b32 v94, s4, 8
	s_nop 1
	v_writelane_b32 v94, s5, 9
	s_and_b64 s[4:5], s[20:21], s[4:5]
	s_mov_b64 exec, s[4:5]
	s_cbranch_execz .LBB79_60
; %bb.53:
	s_and_saveexec_b64 s[22:23], s[14:15]
	s_cbranch_execz .LBB79_59
; %bb.54:
	v_mul_lo_u32 v6, v79, s59
	v_ashrrev_i32_e32 v7, 31, v6
	v_mov_b32_e32 v8, 0x100
	v_lshl_add_u64 v[6:7], v[6:7], 2, v[4:5]
	v_lshl_add_u32 v13, v74, 2, v8
	v_mul_lo_u32 v8, v2, s58
	s_lshl_b32 s4, s58, 6
	s_mov_b64 s[24:25], 0
	v_mov_b32_e32 v14, v2
	s_branch .LBB79_56
.LBB79_55:                              ;   in Loop: Header=BB79_56 Depth=1
	s_or_b64 exec, exec, s[26:27]
	v_add_u32_e32 v14, 64, v14
	v_cmp_le_i32_e64 s[16:17], s54, v14
	s_xor_b64 s[6:7], s[12:13], -1
	s_or_b64 s[6:7], s[6:7], s[16:17]
	s_and_b64 s[6:7], exec, s[6:7]
	s_or_b64 s[24:25], s[6:7], s[24:25]
	v_add_u32_e32 v8, s4, v8
	s_andn2_b64 exec, exec, s[24:25]
	s_cbranch_execz .LBB79_58
.LBB79_56:                              ; =>This Inner Loop Header: Depth=1
	v_ashrrev_i32_e32 v9, 31, v8
	v_lshl_add_u64 v[16:17], v[8:9], 2, v[6:7]
	global_load_dword v9, v[16:17], off
	s_waitcnt vmcnt(0)
	v_cmp_ne_u32_e64 s[12:13], v9, v10
	v_cmp_eq_u32_e64 s[16:17], v9, v10
	s_and_saveexec_b64 s[26:27], s[16:17]
	s_cbranch_execz .LBB79_55
; %bb.57:                               ;   in Loop: Header=BB79_56 Depth=1
	v_mov_b32_e32 v1, 1
	ds_write_b32 v13, v14 offset:40
	s_branch .LBB79_55
.LBB79_58:
	s_or_b64 exec, exec, s[24:25]
.LBB79_59:
	s_or_b64 exec, exec, s[22:23]
.LBB79_60:
	s_or_b64 exec, exec, s[20:21]
	v_mul_hi_u32 v6, v11, v12
	s_and_saveexec_b64 s[12:13], vcc
	s_cbranch_execz .LBB79_62
; %bb.61:
	v_mov_b32_e32 v7, 0x100
	v_lshl_add_u32 v7, v74, 2, v7
	v_mov_b32_e32 v8, -1
	ds_write_b32 v7, v8 offset:48
.LBB79_62:
	s_or_b64 exec, exec, s[12:13]
	s_load_dwordx4 s[36:39], s[0:1], 0x54
	v_add_u32_e32 v80, 12, v74
	s_abs_i32 s4, s28
	v_add_u32_e32 v8, v11, v6
	v_add_u32_e32 v6, v80, v3
	v_cmp_gt_i32_e64 s[6:7], s53, v6
	s_mov_b64 s[16:17], exec
	s_nop 0
	v_writelane_b32 v94, s6, 10
	s_nop 1
	v_writelane_b32 v94, s7, 11
	s_and_b64 s[6:7], s[16:17], s[6:7]
	s_mov_b64 exec, s[6:7]
	s_cbranch_execz .LBB79_70
; %bb.63:
	s_and_saveexec_b64 s[20:21], s[14:15]
	s_cbranch_execz .LBB79_69
; %bb.64:
	v_mul_lo_u32 v6, v80, s59
	v_ashrrev_i32_e32 v7, 31, v6
	v_lshl_add_u64 v[4:5], v[6:7], 2, v[4:5]
	v_mov_b32_e32 v6, 0x100
	v_lshl_add_u32 v9, v74, 2, v6
	v_mul_lo_u32 v6, v2, s58
	s_lshl_b32 s5, s58, 6
	s_mov_b64 s[22:23], 0
	v_mov_b32_e32 v11, v2
	s_branch .LBB79_66
.LBB79_65:                              ;   in Loop: Header=BB79_66 Depth=1
	s_or_b64 exec, exec, s[24:25]
	v_add_u32_e32 v11, 64, v11
	v_cmp_le_i32_e64 s[14:15], s54, v11
	s_xor_b64 s[6:7], vcc, -1
	s_or_b64 s[6:7], s[6:7], s[14:15]
	s_and_b64 s[6:7], exec, s[6:7]
	s_or_b64 s[22:23], s[6:7], s[22:23]
	v_add_u32_e32 v6, s5, v6
	s_andn2_b64 exec, exec, s[22:23]
	s_cbranch_execz .LBB79_68
.LBB79_66:                              ; =>This Inner Loop Header: Depth=1
	v_ashrrev_i32_e32 v7, 31, v6
	v_lshl_add_u64 v[12:13], v[6:7], 2, v[4:5]
	global_load_dword v7, v[12:13], off
	s_waitcnt vmcnt(0)
	v_cmp_ne_u32_e32 vcc, v7, v10
	v_cmp_eq_u32_e64 s[14:15], v7, v10
	s_and_saveexec_b64 s[24:25], s[14:15]
	s_cbranch_execz .LBB79_65
; %bb.67:                               ;   in Loop: Header=BB79_66 Depth=1
	v_mov_b32_e32 v1, 1
	ds_write_b32 v9, v11 offset:48
	s_branch .LBB79_65
.LBB79_68:
	s_or_b64 exec, exec, s[22:23]
.LBB79_69:
	s_or_b64 exec, exec, s[20:21]
.LBB79_70:
	s_or_b64 exec, exec, s[16:17]
	s_load_dwordx2 s[6:7], s[18:19], 0xc
	s_load_dwordx2 s[16:17], s[0:1], 0x8
	;; [unrolled: 1-line block ×3, first 2 shown]
	v_cmp_ne_u32_e32 vcc, 0, v1
	v_mul_hi_u32 v4, s4, v8
	s_waitcnt lgkmcnt(0)
	s_and_b32 s5, s7, 0xffff
	v_cndmask_b32_e64 v1, 0, 1, vcc
	v_writelane_b32 v94, s8, 12
	s_lshr_b32 s7, s6, 16
	v_or_b32_dpp v1, v1, v1 row_shl:1 row_mask:0xf bank_mask:0xf bound_ctrl:1
	s_and_b32 s6, s6, 0xffff
	v_writelane_b32 v94, s9, 13
	v_or_b32_dpp v1, v1, v1 row_shl:2 row_mask:0xf bank_mask:0xf bound_ctrl:1
	s_mul_i32 s8, s7, s6
	s_bfe_i32 s8, s8, 0x180000
	v_or_b32_dpp v1, v1, v1 row_shl:4 row_mask:0xf bank_mask:0xf bound_ctrl:1
	s_mul_i32 s5, s8, s5
	s_add_i32 s8, s5, 63
	v_or_b32_dpp v1, v1, v1 row_shl:8 row_mask:0xf bank_mask:0xf bound_ctrl:1
	s_bitcmp1_b32 exec_hi, 0
                                        ; kill: killed $sgpr18 killed $sgpr19
	s_nop 0
	v_mov_b32_dpp v5, v1 wave_shl:1 row_mask:0xf bank_mask:0xf bound_ctrl:1
	s_nop 1
	v_or_b32_dpp v1, v5, v1 row_mirror row_mask:0xf bank_mask:0xf bound_ctrl:1
	s_nop 0
	v_readlane_b32 s5, v1, 32
	s_cselect_b32 s5, s5, 0
	v_readlane_b32 s9, v1, 0
	s_or_b32 s5, s5, s9
	s_andn2_b32 s8, s8, 63
	s_cmp_lg_u32 s8, 64
	v_mov_b32_e32 v1, s5
	s_cbranch_scc0 .LBB79_77
; %bb.71:
	v_bfe_u32 v0, v0, 20, 10
	v_mbcnt_lo_u32_b32 v1, -1, 0
	v_mad_u32_u24 v0, v0, s7, v74
	v_mbcnt_hi_u32_b32 v5, -1, v1
	v_mad_u64_u32 v[0:1], s[6:7], v0, s6, v[2:3]
	v_lshrrev_b32_e32 v1, 6, v0
	v_or_b32_e32 v1, v5, v1
	v_cmp_eq_u32_e32 vcc, 0, v1
	s_and_saveexec_b64 s[14:15], vcc
	s_cbranch_execz .LBB79_73
; %bb.72:
	v_mov_b32_e32 v1, 0
	v_mov_b32_e32 v6, s5
	ds_write_b32 v1, v6
.LBB79_73:
	s_or_b64 exec, exec, s[14:15]
	v_cmp_eq_u32_e32 vcc, 0, v5
	v_cmp_lt_u32_e64 s[14:15], 63, v0
	s_and_b64 s[6:7], s[14:15], vcc
	s_waitcnt lgkmcnt(0)
	s_barrier
	s_and_saveexec_b64 s[14:15], s[6:7]
	s_cbranch_execz .LBB79_76
; %bb.74:
	v_mbcnt_lo_u32_b32 v0, exec_lo, 0
	v_mbcnt_hi_u32_b32 v0, exec_hi, v0
	v_cmp_eq_u32_e32 vcc, 0, v0
	s_and_b64 exec, exec, vcc
	s_cbranch_execz .LBB79_76
; %bb.75:
	v_mov_b32_e32 v0, 0
	v_mov_b32_e32 v1, s5
	ds_or_b32 v0, v1
.LBB79_76:
	s_or_b64 exec, exec, s[14:15]
	v_mov_b32_e32 v0, 0
	s_waitcnt lgkmcnt(0)
	s_barrier
	ds_read_b32 v1, v0
	s_waitcnt lgkmcnt(0)
	s_barrier
.LBB79_77:
	s_load_dwordx2 s[14:15], s[0:1], 0x0
	v_cmp_ne_u32_e32 vcc, 0, v1
	s_ashr_i32 s5, s28, 31
	s_ashr_i32 s6, s63, 31
	s_cbranch_vccz .LBB79_168
; %bb.78:
	v_lshlrev_b32_e32 v81, 6, v74
	v_add_u32_e32 v83, v81, v2
	v_cmp_le_i32_e32 vcc, s52, v83
	v_and_b32_e32 v82, 15, v2
                                        ; implicit-def: $sgpr7
	s_and_saveexec_b64 s[0:1], vcc
	s_xor_b64 s[0:1], exec, s[0:1]
; %bb.79:
	v_and_b32_e32 v82, 15, v2
	s_mov_b32 s7, 0
                                        ; implicit-def: $vgpr83
                                        ; implicit-def: $vgpr4
                                        ; implicit-def: $vgpr10
; %bb.80:
	s_or_saveexec_b64 s[0:1], s[0:1]
	s_lshl_b32 s8, s2, 6
	v_accvgpr_write_b32 a0, s7
	v_accvgpr_write_b32 a1, s7
	;; [unrolled: 1-line block ×16, first 2 shown]
	v_writelane_b32 v94, s0, 14
	s_nop 1
	v_writelane_b32 v94, s1, 15
	s_xor_b64 exec, exec, s[0:1]
	s_cbranch_execz .LBB79_140
; %bb.81:
	v_mul_lo_u32 v0, v4, s3
	v_sub_u32_e32 v0, s4, v0
	v_add_u32_e32 v1, 1, v4
	v_subrev_u32_e32 v5, s3, v0
	v_cmp_le_u32_e32 vcc, s3, v0
	v_writelane_b32 v94, s30, 16
	s_xor_b32 s0, s5, s6
	v_cndmask_b32_e32 v1, v4, v1, vcc
	v_cndmask_b32_e32 v0, v0, v5, vcc
	v_add_u32_e32 v4, 1, v1
	v_cmp_le_u32_e32 vcc, s3, v0
	v_writelane_b32 v94, s31, 17
	v_writelane_b32 v94, s8, 18
	v_cndmask_b32_e32 v0, v1, v4, vcc
	v_xor_b32_e32 v0, s0, v0
	v_subrev_u32_e32 v0, s0, v0
	s_mul_i32 s0, s8, s55
	s_movk_i32 s2, 0x1080
	v_mov_b32_e32 v84, 0x100
	v_writelane_b32 v94, s28, 19
	v_mul_hi_i32 v1, v0, s36
	v_mul_lo_u32 v0, v0, s36
	v_mul_lo_u32 v4, v10, s60
	s_ashr_i32 s1, s0, 31
	v_mad_u32_u24 v10, v74, s2, v84
	s_mul_hi_i32 s3, s37, s28
	v_writelane_b32 v94, s36, 20
	s_mul_i32 s2, s37, s28
	v_ashrrev_i32_e32 v5, 31, v4
	s_lshl_b64 s[0:1], s[0:1], 2
	s_lshl_b64 s[2:3], s[2:3], 2
	v_lshlrev_b64 v[8:9], 2, v[4:5]
	v_writelane_b32 v94, s37, 21
	v_mul_hi_i32 v5, v3, s56
	v_mul_lo_u32 v4, v3, s56
	s_add_u32 s2, s16, s2
	v_lshlrev_b64 v[6:7], 2, v[0:1]
	v_writelane_b32 v94, s38, 22
	s_addc_u32 s3, s17, s3
	v_lshlrev_b64 v[4:5], 2, v[4:5]
	s_waitcnt lgkmcnt(0)
	v_lshl_add_u64 v[0:1], s[14:15], 0, v[6:7]
	v_writelane_b32 v94, s39, 23
	v_lshl_add_u64 v[4:5], s[2:3], 0, v[4:5]
	s_lshl_b32 s2, s56, 2
	v_lshl_add_u64 v[0:1], v[0:1], 0, v[8:9]
	v_writelane_b32 v94, s2, 24
	s_lshl_b32 s2, s56, 3
	v_lshl_add_u64 v[0:1], v[0:1], 0, s[0:1]
	v_lshrrev_b32_e32 v12, 1, v2
	v_writelane_b32 v94, s2, 25
	v_lshl_add_u64 v[6:7], v[6:7], 0, s[0:1]
	s_mul_i32 s0, s55, 3
	v_mul_u32_u24_e32 v11, 0x108, v82
	v_and_b32_e32 v12, 0x1f8, v12
	v_lshl_add_u64 v[8:9], v[6:7], 0, v[8:9]
	v_writelane_b32 v94, s0, 26
	s_mul_i32 s0, s55, 5
	v_lshl_add_u32 v85, v2, 2, v10
	v_add3_u32 v86, v10, v11, v12
	v_or_b32_e32 v10, 1, v3
	v_add_u32_e32 v11, 2, v3
	s_lshl_b32 s54, s56, 1
	v_add_u32_e32 v12, 3, v3
	v_add_u32_e32 v13, 4, v3
	v_add_u32_e32 v14, 5, v3
	v_add_u32_e32 v15, 6, v3
	v_add_u32_e32 v16, 7, v3
	v_add_u32_e32 v17, 8, v3
	v_add_u32_e32 v18, 9, v3
	v_add_u32_e32 v19, 10, v3
	v_add_u32_e32 v20, 11, v3
	v_add_u32_e32 v21, 12, v3
	v_add_u32_e32 v22, 13, v3
	s_ashr_i32 s3, s55, 31
	s_mov_b32 s2, s55
	v_lshlrev_b32_e32 v6, 2, v83
	v_mov_b32_e32 v7, 0
	v_lshl_add_u64 v[8:9], s[14:15], 0, v[8:9]
	v_writelane_b32 v94, s0, 27
	s_mul_i32 s0, s55, 6
	s_lshl_b64 s[2:3], s[2:3], 2
	v_lshl_add_u64 v[8:9], v[8:9], 0, v[6:7]
	s_lshl_b32 s74, s55, 1
	s_lshl_b32 s76, s55, 2
	v_writelane_b32 v94, s0, 28
	s_mul_i32 s79, s55, 7
	s_lshl_b32 s80, s55, 3
	s_mul_i32 s81, s55, 9
	s_mul_i32 s82, s55, 10
	;; [unrolled: 1-line block ×7, first 2 shown]
	s_lshl_b32 s88, s55, 4
	s_mul_i32 s89, s55, 17
	s_mul_i32 s90, s55, 18
	s_mul_i32 s91, s55, 19
	s_mul_i32 s92, s55, 20
	s_mul_i32 s93, s55, 21
	s_mul_i32 s94, s55, 22
	s_mul_i32 s95, s55, 23
	s_mul_i32 s96, s55, 24
	s_mul_i32 s97, s55, 25
	s_mul_i32 s98, s55, 26
	s_mul_i32 s99, s55, 27
	s_mul_i32 s50, s55, 28
	s_mul_i32 s51, s55, 29
	s_mul_i32 s66, s55, 30
	s_mul_i32 s5, s55, 31
	s_lshl_b32 s44, s55, 5
	s_mul_i32 s45, s55, 33
	s_mul_i32 s48, s55, 34
	;; [unrolled: 1-line block ×11, first 2 shown]
	v_cmp_gt_i32_e64 s[14:15], s53, v3
	s_mul_i32 s60, s55, 44
	s_mul_i32 s64, s55, 45
	v_accvgpr_write_b32 a15, 0
	v_accvgpr_write_b32 a14, 0
	;; [unrolled: 1-line block ×16, first 2 shown]
	s_mul_i32 s65, s55, 46
	s_mul_i32 s67, s55, 47
	;; [unrolled: 1-line block ×18, first 2 shown]
	v_cmp_gt_i32_e64 s[16:17], s53, v10
	v_cmp_gt_i32_e64 s[18:19], s53, v11
	;; [unrolled: 1-line block ×13, first 2 shown]
	s_mov_b32 s53, s54
	s_mov_b64 s[54:55], 0
	s_mov_b64 s[58:59], 0x200
	s_branch .LBB79_84
.LBB79_82:                              ;   in Loop: Header=BB79_84 Depth=1
	v_mul_lo_u32 v6, v6, s61
	s_mul_i32 vcc_lo, s56, 13
	v_add_u32_e32 v6, vcc_lo, v6
	v_add_u32_e32 v88, v6, v83
	v_ashrrev_i32_e32 v89, 31, v88
	v_lshl_add_u64 v[88:89], v[88:89], 2, v[4:5]
	global_load_dword v6, v[88:89], off
.LBB79_83:                              ;   in Loop: Header=BB79_84 Depth=1
	v_add_u32_e32 v87, 0xc00, v85
	s_waitcnt vmcnt(0)
	ds_write2_b32 v87, v6, v7 offset0:106 offset1:172
	ds_write_b32 v85, v7 offset:4024
	ds_read2_b64 v[88:91], v86 offset0:8 offset1:12
	v_add_u32_e32 v83, 0x80, v83
	v_cmp_le_i32_e32 vcc, s52, v83
	v_lshl_add_u64 v[8:9], v[8:9], 0, s[58:59]
	s_or_b64 s[54:55], vcc, s[54:55]
	s_waitcnt lgkmcnt(0)
	v_mfma_f32_16x16x8_xf32 a[12:15], v[16:17], v[88:89], a[12:15]
	v_mfma_f32_16x16x8_xf32 a[8:11], v[42:43], v[88:89], a[8:11]
	;; [unrolled: 1-line block ×5, first 2 shown]
	ds_read2_b64 v[14:17], v86 offset0:16 offset1:20
	v_mfma_f32_16x16x8_xf32 a[8:11], v[38:39], v[90:91], a[8:11]
	v_mfma_f32_16x16x8_xf32 a[4:7], v[54:55], v[90:91], a[4:7]
	;; [unrolled: 1-line block ×3, first 2 shown]
	s_waitcnt lgkmcnt(0)
	v_mfma_f32_16x16x8_xf32 a[12:15], v[12:13], v[14:15], a[12:15]
	v_mfma_f32_16x16x8_xf32 a[8:11], v[36:37], v[14:15], a[8:11]
	;; [unrolled: 1-line block ×5, first 2 shown]
	ds_read2_b64 v[10:13], v86 offset0:24 offset1:28
	v_mfma_f32_16x16x8_xf32 a[8:11], v[34:35], v[16:17], a[8:11]
	v_mfma_f32_16x16x8_xf32 a[4:7], v[50:51], v[16:17], a[4:7]
	;; [unrolled: 1-line block ×3, first 2 shown]
	s_waitcnt lgkmcnt(0)
	v_mfma_f32_16x16x8_xf32 a[12:15], v[24:25], v[10:11], a[12:15]
	v_mfma_f32_16x16x8_xf32 a[8:11], v[32:33], v[10:11], a[8:11]
	;; [unrolled: 1-line block ×8, first 2 shown]
	ds_read2_b64 v[10:13], v86 offset0:32 offset1:36
	s_waitcnt lgkmcnt(0)
	v_mfma_f32_16x16x8_xf32 a[12:15], v[20:21], v[10:11], a[12:15]
	v_mfma_f32_16x16x8_xf32 a[8:11], v[28:29], v[10:11], a[8:11]
	;; [unrolled: 1-line block ×8, first 2 shown]
	s_andn2_b64 exec, exec, s[54:55]
	s_cbranch_execz .LBB79_139
.LBB79_84:                              ; =>This Inner Loop Header: Depth=1
	v_readlane_b32 vcc_lo, v94, 26
	v_lshl_add_u64 v[10:11], v[8:9], 0, s[2:3]
	global_load_dword v6, v[8:9], off
	global_load_dword v26, v[10:11], off
	v_add_u32_e32 v12, vcc_lo, v83
	v_readlane_b32 vcc_lo, v94, 27
	v_add_u32_e32 v10, s74, v83
	v_add_u32_e32 v14, s76, v83
	v_add_u32_e32 v16, vcc_lo, v83
	v_readlane_b32 vcc_lo, v94, 28
	v_add_u32_e32 v22, s80, v83
	v_ashrrev_i32_e32 v11, 31, v10
	v_ashrrev_i32_e32 v15, 31, v14
	;; [unrolled: 1-line block ×3, first 2 shown]
	v_add_u32_e32 v18, vcc_lo, v83
	v_add_u32_e32 v20, s79, v83
	v_ashrrev_i32_e32 v23, 31, v22
	v_add_u32_e32 v24, s81, v83
	v_lshl_add_u64 v[10:11], v[10:11], 2, v[0:1]
	v_ashrrev_i32_e32 v13, 31, v12
	v_lshl_add_u64 v[14:15], v[14:15], 2, v[0:1]
	v_lshl_add_u64 v[16:17], v[16:17], 2, v[0:1]
	v_ashrrev_i32_e32 v19, 31, v18
	v_ashrrev_i32_e32 v21, 31, v20
	v_lshl_add_u64 v[22:23], v[22:23], 2, v[0:1]
	v_ashrrev_i32_e32 v25, 31, v24
	v_lshl_add_u64 v[12:13], v[12:13], 2, v[0:1]
	v_lshl_add_u64 v[18:19], v[18:19], 2, v[0:1]
	;; [unrolled: 1-line block ×4, first 2 shown]
	global_load_dword v27, v[10:11], off
	global_load_dword v28, v[12:13], off
	;; [unrolled: 1-line block ×6, first 2 shown]
	s_nop 0
	global_load_dword v22, v[22:23], off
	s_nop 0
	global_load_dword v23, v[24:25], off
	v_add_u32_e32 v10, s82, v83
	v_add_u32_e32 v14, s84, v83
	;; [unrolled: 1-line block ×3, first 2 shown]
	v_ashrrev_i32_e32 v11, 31, v10
	v_add_u32_e32 v12, s83, v83
	v_ashrrev_i32_e32 v15, 31, v14
	v_ashrrev_i32_e32 v17, 31, v16
	v_add_u32_e32 v18, s86, v83
	v_add_u32_e32 v20, s87, v83
	v_lshl_add_u64 v[10:11], v[10:11], 2, v[0:1]
	v_ashrrev_i32_e32 v13, 31, v12
	v_lshl_add_u64 v[14:15], v[14:15], 2, v[0:1]
	v_lshl_add_u64 v[16:17], v[16:17], 2, v[0:1]
	v_ashrrev_i32_e32 v19, 31, v18
	v_ashrrev_i32_e32 v21, 31, v20
	v_lshl_add_u64 v[12:13], v[12:13], 2, v[0:1]
	v_lshl_add_u64 v[18:19], v[18:19], 2, v[0:1]
	;; [unrolled: 1-line block ×3, first 2 shown]
	global_load_dword v24, v[10:11], off
	global_load_dword v25, v[12:13], off
	s_nop 0
	global_load_dword v14, v[14:15], off
	s_nop 0
	;; [unrolled: 2-line block ×3, first 2 shown]
	global_load_dword v16, v[18:19], off
	global_load_dword v17, v[20:21], off
	v_add_u32_e32 v10, s88, v83
	v_add_u32_e32 v12, s89, v83
	v_ashrrev_i32_e32 v11, 31, v10
	v_ashrrev_i32_e32 v13, 31, v12
	v_lshl_add_u64 v[10:11], v[10:11], 2, v[0:1]
	v_add_u32_e32 v18, s90, v83
	v_lshl_add_u64 v[12:13], v[12:13], 2, v[0:1]
	global_load_dword v34, v[10:11], off
	global_load_dword v35, v[12:13], off
	v_ashrrev_i32_e32 v19, 31, v18
	v_add_u32_e32 v20, s91, v83
	v_lshl_add_u64 v[18:19], v[18:19], 2, v[0:1]
	v_ashrrev_i32_e32 v21, 31, v20
	v_lshl_add_u64 v[20:21], v[20:21], 2, v[0:1]
	s_andn2_b64 vcc, exec, s[14:15]
	s_waitcnt vmcnt(17)
	ds_write_b32 v85, v6 offset:64
	s_waitcnt vmcnt(16)
	ds_write_b32 v85, v26 offset:328
	;; [unrolled: 2-line block ×16, first 2 shown]
	v_add_u32_e32 v22, s92, v83
	v_add_u32_e32 v24, s93, v83
	;; [unrolled: 1-line block ×6, first 2 shown]
	v_ashrrev_i32_e32 v23, 31, v22
	v_ashrrev_i32_e32 v25, 31, v24
	;; [unrolled: 1-line block ×6, first 2 shown]
	ds_read_b64 v[16:17], v86 offset:64
	ds_read_b64 v[14:15], v86 offset:96
	ds_read_b64 v[12:13], v86 offset:128
	ds_read_b64 v[10:11], v86 offset:160
	v_lshl_add_u64 v[22:23], v[22:23], 2, v[0:1]
	v_lshl_add_u64 v[24:25], v[24:25], 2, v[0:1]
	v_lshl_add_u64 v[26:27], v[26:27], 2, v[0:1]
	v_lshl_add_u64 v[28:29], v[28:29], 2, v[0:1]
	v_lshl_add_u64 v[30:31], v[30:31], 2, v[0:1]
	v_lshl_add_u64 v[32:33], v[32:33], 2, v[0:1]
	global_load_dword v6, v[18:19], off
	global_load_dword v36, v[20:21], off
	global_load_dword v37, v[22:23], off
	global_load_dword v38, v[24:25], off
	global_load_dword v39, v[26:27], off
	global_load_dword v40, v[28:29], off
	global_load_dword v41, v[30:31], off
	global_load_dword v42, v[32:33], off
	v_add_u32_e32 v18, s98, v83
	v_ashrrev_i32_e32 v19, 31, v18
	v_add_u32_e32 v20, s99, v83
	v_add_u32_e32 v22, s50, v83
	v_add_u32_e32 v24, s51, v83
	v_add_u32_e32 v26, s66, v83
	v_add_u32_e32 v28, s5, v83
	v_add_u32_e32 v30, s44, v83
	v_add_u32_e32 v32, s45, v83
	v_lshl_add_u64 v[18:19], v[18:19], 2, v[0:1]
	v_ashrrev_i32_e32 v21, 31, v20
	v_ashrrev_i32_e32 v23, 31, v22
	v_ashrrev_i32_e32 v25, 31, v24
	v_ashrrev_i32_e32 v27, 31, v26
	v_ashrrev_i32_e32 v29, 31, v28
	v_ashrrev_i32_e32 v31, 31, v30
	v_ashrrev_i32_e32 v33, 31, v32
	v_lshl_add_u64 v[20:21], v[20:21], 2, v[0:1]
	v_lshl_add_u64 v[22:23], v[22:23], 2, v[0:1]
	v_lshl_add_u64 v[24:25], v[24:25], 2, v[0:1]
	v_lshl_add_u64 v[26:27], v[26:27], 2, v[0:1]
	v_lshl_add_u64 v[28:29], v[28:29], 2, v[0:1]
	v_lshl_add_u64 v[30:31], v[30:31], 2, v[0:1]
	v_lshl_add_u64 v[32:33], v[32:33], 2, v[0:1]
	global_load_dword v43, v[18:19], off
	global_load_dword v44, v[20:21], off
	global_load_dword v45, v[22:23], off
	global_load_dword v46, v[24:25], off
	global_load_dword v47, v[26:27], off
	global_load_dword v48, v[28:29], off
	global_load_dword v49, v[30:31], off
	global_load_dword v50, v[32:33], off
	v_add_u32_e32 v18, s48, v83
	v_ashrrev_i32_e32 v19, 31, v18
	v_add_u32_e32 v20, s49, v83
	v_add_u32_e32 v22, s46, v83
	v_add_u32_e32 v24, s47, v83
	v_add_u32_e32 v26, s6, v83
	v_add_u32_e32 v28, s7, v83
	v_add_u32_e32 v30, s8, v83
	v_add_u32_e32 v32, s9, v83
	v_lshl_add_u64 v[18:19], v[18:19], 2, v[0:1]
	v_ashrrev_i32_e32 v21, 31, v20
	v_ashrrev_i32_e32 v23, 31, v22
	v_ashrrev_i32_e32 v25, 31, v24
	v_ashrrev_i32_e32 v27, 31, v26
	v_ashrrev_i32_e32 v29, 31, v28
	v_ashrrev_i32_e32 v31, 31, v30
	v_ashrrev_i32_e32 v33, 31, v32
	v_lshl_add_u64 v[20:21], v[20:21], 2, v[0:1]
	;; [unrolled: 32-line block ×4, first 2 shown]
	v_lshl_add_u64 v[22:23], v[22:23], 2, v[0:1]
	v_lshl_add_u64 v[24:25], v[24:25], 2, v[0:1]
	;; [unrolled: 1-line block ×6, first 2 shown]
	global_load_dword v67, v[18:19], off
	global_load_dword v68, v[20:21], off
	;; [unrolled: 1-line block ×8, first 2 shown]
	v_add_u32_e32 v18, s4, v83
	v_ashrrev_i32_e32 v19, 31, v18
	v_add_u32_e32 v20, s63, v83
	v_add_u32_e32 v22, s68, v83
	;; [unrolled: 1-line block ×5, first 2 shown]
	v_lshl_add_u64 v[18:19], v[18:19], 2, v[0:1]
	v_ashrrev_i32_e32 v21, 31, v20
	v_ashrrev_i32_e32 v23, 31, v22
	;; [unrolled: 1-line block ×5, first 2 shown]
	v_lshl_add_u64 v[20:21], v[20:21], 2, v[0:1]
	v_lshl_add_u64 v[22:23], v[22:23], 2, v[0:1]
	;; [unrolled: 1-line block ×5, first 2 shown]
	global_load_dword v88, v[18:19], off
	global_load_dword v89, v[20:21], off
	;; [unrolled: 1-line block ×6, first 2 shown]
	ds_read_b64 v[24:25], v86 offset:192
	ds_read_b64 v[22:23], v86 offset:224
	ds_read_b64 v[20:21], v86 offset:256
	ds_read_b64 v[18:19], v86 offset:288
	s_waitcnt vmcnt(47)
	ds_write_b32 v85, v34 offset:64
	s_waitcnt vmcnt(46)
	ds_write_b32 v85, v35 offset:328
	s_waitcnt vmcnt(45)
	ds_write_b32 v85, v6 offset:592
	s_waitcnt vmcnt(44)
	ds_write_b32 v85, v36 offset:856
	s_waitcnt vmcnt(43)
	ds_write_b32 v85, v37 offset:1120
	s_waitcnt vmcnt(42)
	ds_write_b32 v85, v38 offset:1384
	s_waitcnt vmcnt(41)
	ds_write_b32 v85, v39 offset:1648
	s_waitcnt vmcnt(40)
	ds_write_b32 v85, v40 offset:1912
	s_waitcnt vmcnt(39)
	ds_write_b32 v85, v41 offset:2176
	s_waitcnt vmcnt(38)
	ds_write_b32 v85, v42 offset:2440
	s_waitcnt vmcnt(37)
	ds_write_b32 v85, v43 offset:2704
	s_waitcnt vmcnt(36)
	ds_write_b32 v85, v44 offset:2968
	s_waitcnt vmcnt(35)
	ds_write_b32 v85, v45 offset:3232
	s_waitcnt vmcnt(34)
	ds_write_b32 v85, v46 offset:3496
	s_waitcnt vmcnt(33)
	ds_write_b32 v85, v47 offset:3760
	s_waitcnt vmcnt(32)
	ds_write_b32 v85, v48 offset:4024
	ds_read_b64 v[42:43], v86 offset:64
	ds_read_b64 v[38:39], v86 offset:96
	ds_read_b64 v[36:37], v86 offset:128
	ds_read_b64 v[34:35], v86 offset:160
	ds_read_b64 v[32:33], v86 offset:192
	ds_read_b64 v[30:31], v86 offset:224
	ds_read_b64 v[28:29], v86 offset:256
	ds_read_b64 v[26:27], v86 offset:288
	s_waitcnt vmcnt(31)
	ds_write_b32 v85, v49 offset:64
	s_waitcnt vmcnt(30)
	ds_write_b32 v85, v50 offset:328
	s_waitcnt vmcnt(29)
	ds_write_b32 v85, v51 offset:592
	s_waitcnt vmcnt(28)
	ds_write_b32 v85, v52 offset:856
	s_waitcnt vmcnt(27)
	ds_write_b32 v85, v53 offset:1120
	s_waitcnt vmcnt(26)
	ds_write_b32 v85, v54 offset:1384
	s_waitcnt vmcnt(25)
	ds_write_b32 v85, v55 offset:1648
	s_waitcnt vmcnt(24)
	ds_write_b32 v85, v56 offset:1912
	s_waitcnt vmcnt(23)
	ds_write_b32 v85, v57 offset:2176
	s_waitcnt vmcnt(22)
	ds_write_b32 v85, v58 offset:2440
	s_waitcnt vmcnt(21)
	ds_write_b32 v85, v59 offset:2704
	s_waitcnt vmcnt(20)
	ds_write_b32 v85, v60 offset:2968
	s_waitcnt vmcnt(19)
	ds_write_b32 v85, v61 offset:3232
	s_waitcnt vmcnt(18)
	ds_write_b32 v85, v62 offset:3496
	s_waitcnt vmcnt(17)
	ds_write_b32 v85, v63 offset:3760
	s_waitcnt vmcnt(16)
	ds_write_b32 v85, v64 offset:4024
	ds_read_b64 v[56:57], v86 offset:64
	ds_read_b64 v[54:55], v86 offset:96
	ds_read_b64 v[52:53], v86 offset:128
	ds_read_b64 v[50:51], v86 offset:160
	;; [unrolled: 40-line block ×3, first 2 shown]
	ds_read_b64 v[68:69], v86 offset:192
	ds_read_b64 v[64:65], v86 offset:224
	;; [unrolled: 1-line block ×4, first 2 shown]
	v_mov_b32_e32 v6, 0
	s_cbranch_vccnz .LBB79_88
; %bb.85:                               ;   in Loop: Header=BB79_84 Depth=1
	ds_read_b32 v6, v84
	s_waitcnt lgkmcnt(0)
	v_cmp_gt_i32_e32 vcc, 0, v6
	s_cbranch_vccnz .LBB79_87
; %bb.86:                               ;   in Loop: Header=BB79_84 Depth=1
	v_mul_lo_u32 v6, v6, s61
	v_add_u32_e32 v88, v83, v6
	v_ashrrev_i32_e32 v89, 31, v88
	v_lshl_add_u64 v[88:89], v[88:89], 2, v[4:5]
	global_load_dword v6, v[88:89], off
	s_branch .LBB79_88
.LBB79_87:                              ;   in Loop: Header=BB79_84 Depth=1
	v_mov_b32_e32 v6, 0
.LBB79_88:                              ;   in Loop: Header=BB79_84 Depth=1
	s_waitcnt vmcnt(0)
	ds_write_b32 v85, v6 offset:64
	s_andn2_b64 vcc, exec, s[16:17]
	v_mov_b32_e32 v6, 0
	v_mov_b32_e32 v87, 0
	s_cbranch_vccnz .LBB79_91
; %bb.89:                               ;   in Loop: Header=BB79_84 Depth=1
	ds_read_b32 v87, v84 offset:4
	s_waitcnt lgkmcnt(0)
	v_cmp_gt_i32_e32 vcc, 0, v87
	s_cbranch_vccnz .LBB79_94
; %bb.90:                               ;   in Loop: Header=BB79_84 Depth=1
	v_mul_lo_u32 v87, v87, s61
	v_add_u32_e32 v87, s56, v87
	v_add_u32_e32 v88, v87, v83
	v_ashrrev_i32_e32 v89, 31, v88
	v_lshl_add_u64 v[88:89], v[88:89], 2, v[4:5]
	global_load_dword v87, v[88:89], off
.LBB79_91:                              ;   in Loop: Header=BB79_84 Depth=1
	s_andn2_b64 vcc, exec, s[18:19]
	s_waitcnt vmcnt(0)
	ds_write_b32 v85, v87 offset:328
	s_cbranch_vccnz .LBB79_96
.LBB79_92:                              ;   in Loop: Header=BB79_84 Depth=1
	ds_read_b32 v6, v84 offset:8
	s_waitcnt lgkmcnt(0)
	v_cmp_gt_i32_e32 vcc, 0, v6
	s_cbranch_vccnz .LBB79_95
; %bb.93:                               ;   in Loop: Header=BB79_84 Depth=1
	v_mul_lo_u32 v6, v6, s61
	v_add_u32_e32 v6, s53, v6
	v_add_u32_e32 v88, v6, v83
	v_ashrrev_i32_e32 v89, 31, v88
	v_lshl_add_u64 v[88:89], v[88:89], 2, v[4:5]
	global_load_dword v6, v[88:89], off
	s_branch .LBB79_96
.LBB79_94:                              ;   in Loop: Header=BB79_84 Depth=1
	v_mov_b32_e32 v87, 0
	s_andn2_b64 vcc, exec, s[18:19]
	ds_write_b32 v85, v87 offset:328
	s_cbranch_vccz .LBB79_92
	s_branch .LBB79_96
.LBB79_95:                              ;   in Loop: Header=BB79_84 Depth=1
	v_mov_b32_e32 v6, 0
.LBB79_96:                              ;   in Loop: Header=BB79_84 Depth=1
	s_waitcnt vmcnt(0)
	ds_write_b32 v85, v6 offset:592
	s_andn2_b64 vcc, exec, s[20:21]
	v_mov_b32_e32 v6, 0
	v_mov_b32_e32 v87, 0
	s_cbranch_vccnz .LBB79_99
; %bb.97:                               ;   in Loop: Header=BB79_84 Depth=1
	ds_read_b32 v87, v84 offset:12
	s_waitcnt lgkmcnt(0)
	v_cmp_gt_i32_e32 vcc, 0, v87
	s_cbranch_vccnz .LBB79_102
; %bb.98:                               ;   in Loop: Header=BB79_84 Depth=1
	v_mul_lo_u32 v87, v87, s61
	s_mul_i32 vcc_lo, s56, 3
	v_add_u32_e32 v87, vcc_lo, v87
	v_add_u32_e32 v88, v87, v83
	v_ashrrev_i32_e32 v89, 31, v88
	v_lshl_add_u64 v[88:89], v[88:89], 2, v[4:5]
	global_load_dword v87, v[88:89], off
.LBB79_99:                              ;   in Loop: Header=BB79_84 Depth=1
	s_andn2_b64 vcc, exec, s[22:23]
	s_waitcnt vmcnt(0)
	ds_write_b32 v85, v87 offset:856
	s_cbranch_vccnz .LBB79_104
.LBB79_100:                             ;   in Loop: Header=BB79_84 Depth=1
	ds_read_b32 v6, v84 offset:16
	s_waitcnt lgkmcnt(0)
	v_cmp_gt_i32_e32 vcc, 0, v6
	s_cbranch_vccnz .LBB79_103
; %bb.101:                              ;   in Loop: Header=BB79_84 Depth=1
	v_mul_lo_u32 v6, v6, s61
	v_readlane_b32 vcc_lo, v94, 24
	s_nop 1
	v_add_u32_e32 v6, vcc_lo, v6
	v_add_u32_e32 v88, v6, v83
	v_ashrrev_i32_e32 v89, 31, v88
	v_lshl_add_u64 v[88:89], v[88:89], 2, v[4:5]
	global_load_dword v6, v[88:89], off
	s_branch .LBB79_104
.LBB79_102:                             ;   in Loop: Header=BB79_84 Depth=1
	v_mov_b32_e32 v87, 0
	s_andn2_b64 vcc, exec, s[22:23]
	ds_write_b32 v85, v87 offset:856
	s_cbranch_vccz .LBB79_100
	s_branch .LBB79_104
.LBB79_103:                             ;   in Loop: Header=BB79_84 Depth=1
	v_mov_b32_e32 v6, 0
.LBB79_104:                             ;   in Loop: Header=BB79_84 Depth=1
	s_waitcnt vmcnt(0)
	ds_write_b32 v85, v6 offset:1120
	s_andn2_b64 vcc, exec, s[24:25]
	v_mov_b32_e32 v6, 0
	v_mov_b32_e32 v87, 0
	s_cbranch_vccnz .LBB79_107
; %bb.105:                              ;   in Loop: Header=BB79_84 Depth=1
	ds_read_b32 v87, v84 offset:20
	s_waitcnt lgkmcnt(0)
	v_cmp_gt_i32_e32 vcc, 0, v87
	s_cbranch_vccnz .LBB79_110
; %bb.106:                              ;   in Loop: Header=BB79_84 Depth=1
	v_mul_lo_u32 v87, v87, s61
	s_mul_i32 vcc_lo, s56, 5
	v_add_u32_e32 v87, vcc_lo, v87
	v_add_u32_e32 v88, v87, v83
	v_ashrrev_i32_e32 v89, 31, v88
	v_lshl_add_u64 v[88:89], v[88:89], 2, v[4:5]
	global_load_dword v87, v[88:89], off
.LBB79_107:                             ;   in Loop: Header=BB79_84 Depth=1
	s_andn2_b64 vcc, exec, s[26:27]
	s_waitcnt vmcnt(0)
	ds_write_b32 v85, v87 offset:1384
	s_cbranch_vccnz .LBB79_112
.LBB79_108:                             ;   in Loop: Header=BB79_84 Depth=1
	ds_read_b32 v6, v84 offset:24
	s_waitcnt lgkmcnt(0)
	v_cmp_gt_i32_e32 vcc, 0, v6
	s_cbranch_vccnz .LBB79_111
; %bb.109:                              ;   in Loop: Header=BB79_84 Depth=1
	v_mul_lo_u32 v6, v6, s61
	s_mul_i32 vcc_lo, s56, 6
	v_add_u32_e32 v6, vcc_lo, v6
	v_add_u32_e32 v88, v6, v83
	v_ashrrev_i32_e32 v89, 31, v88
	v_lshl_add_u64 v[88:89], v[88:89], 2, v[4:5]
	global_load_dword v6, v[88:89], off
	s_branch .LBB79_112
.LBB79_110:                             ;   in Loop: Header=BB79_84 Depth=1
	v_mov_b32_e32 v87, 0
	s_andn2_b64 vcc, exec, s[26:27]
	ds_write_b32 v85, v87 offset:1384
	s_cbranch_vccz .LBB79_108
	s_branch .LBB79_112
.LBB79_111:                             ;   in Loop: Header=BB79_84 Depth=1
	v_mov_b32_e32 v6, 0
.LBB79_112:                             ;   in Loop: Header=BB79_84 Depth=1
	s_waitcnt vmcnt(0)
	ds_write_b32 v85, v6 offset:1648
	s_andn2_b64 vcc, exec, s[28:29]
	v_mov_b32_e32 v6, 0
	v_mov_b32_e32 v87, 0
	s_cbranch_vccnz .LBB79_115
; %bb.113:                              ;   in Loop: Header=BB79_84 Depth=1
	ds_read_b32 v87, v84 offset:28
	s_waitcnt lgkmcnt(0)
	v_cmp_gt_i32_e32 vcc, 0, v87
	s_cbranch_vccnz .LBB79_118
; %bb.114:                              ;   in Loop: Header=BB79_84 Depth=1
	v_mul_lo_u32 v87, v87, s61
	s_mul_i32 vcc_lo, s56, 7
	v_add_u32_e32 v87, vcc_lo, v87
	v_add_u32_e32 v88, v87, v83
	v_ashrrev_i32_e32 v89, 31, v88
	v_lshl_add_u64 v[88:89], v[88:89], 2, v[4:5]
	global_load_dword v87, v[88:89], off
.LBB79_115:                             ;   in Loop: Header=BB79_84 Depth=1
	s_andn2_b64 vcc, exec, s[30:31]
	s_waitcnt vmcnt(0)
	ds_write_b32 v85, v87 offset:1912
	s_cbranch_vccnz .LBB79_120
.LBB79_116:                             ;   in Loop: Header=BB79_84 Depth=1
	ds_read_b32 v6, v84 offset:32
	s_waitcnt lgkmcnt(0)
	v_cmp_gt_i32_e32 vcc, 0, v6
	s_cbranch_vccnz .LBB79_119
; %bb.117:                              ;   in Loop: Header=BB79_84 Depth=1
	v_mul_lo_u32 v6, v6, s61
	v_readlane_b32 vcc_lo, v94, 25
	s_nop 1
	v_add_u32_e32 v6, vcc_lo, v6
	v_add_u32_e32 v88, v6, v83
	v_ashrrev_i32_e32 v89, 31, v88
	v_lshl_add_u64 v[88:89], v[88:89], 2, v[4:5]
	global_load_dword v6, v[88:89], off
	s_branch .LBB79_120
.LBB79_118:                             ;   in Loop: Header=BB79_84 Depth=1
	v_mov_b32_e32 v87, 0
	s_andn2_b64 vcc, exec, s[30:31]
	ds_write_b32 v85, v87 offset:1912
	s_cbranch_vccz .LBB79_116
	s_branch .LBB79_120
.LBB79_119:                             ;   in Loop: Header=BB79_84 Depth=1
	v_mov_b32_e32 v6, 0
.LBB79_120:                             ;   in Loop: Header=BB79_84 Depth=1
	s_waitcnt vmcnt(0)
	ds_write_b32 v85, v6 offset:2176
	s_andn2_b64 vcc, exec, s[34:35]
	v_mov_b32_e32 v6, 0
	v_mov_b32_e32 v87, 0
	s_cbranch_vccnz .LBB79_123
; %bb.121:                              ;   in Loop: Header=BB79_84 Depth=1
	ds_read_b32 v87, v84 offset:36
	s_waitcnt lgkmcnt(0)
	v_cmp_gt_i32_e32 vcc, 0, v87
	s_cbranch_vccnz .LBB79_126
; %bb.122:                              ;   in Loop: Header=BB79_84 Depth=1
	v_mul_lo_u32 v87, v87, s61
	s_mul_i32 vcc_lo, s56, 9
	v_add_u32_e32 v87, vcc_lo, v87
	v_add_u32_e32 v88, v87, v83
	v_ashrrev_i32_e32 v89, 31, v88
	v_lshl_add_u64 v[88:89], v[88:89], 2, v[4:5]
	global_load_dword v87, v[88:89], off
.LBB79_123:                             ;   in Loop: Header=BB79_84 Depth=1
	s_andn2_b64 vcc, exec, s[36:37]
	s_waitcnt vmcnt(0)
	ds_write_b32 v85, v87 offset:2440
	s_cbranch_vccnz .LBB79_128
.LBB79_124:                             ;   in Loop: Header=BB79_84 Depth=1
	ds_read_b32 v6, v84 offset:40
	s_waitcnt lgkmcnt(0)
	v_cmp_gt_i32_e32 vcc, 0, v6
	s_cbranch_vccnz .LBB79_127
; %bb.125:                              ;   in Loop: Header=BB79_84 Depth=1
	v_mul_lo_u32 v6, v6, s61
	s_mul_i32 vcc_lo, s56, 10
	v_add_u32_e32 v6, vcc_lo, v6
	v_add_u32_e32 v88, v6, v83
	v_ashrrev_i32_e32 v89, 31, v88
	v_lshl_add_u64 v[88:89], v[88:89], 2, v[4:5]
	global_load_dword v6, v[88:89], off
	s_branch .LBB79_128
.LBB79_126:                             ;   in Loop: Header=BB79_84 Depth=1
	v_mov_b32_e32 v87, 0
	s_andn2_b64 vcc, exec, s[36:37]
	ds_write_b32 v85, v87 offset:2440
	s_cbranch_vccz .LBB79_124
	s_branch .LBB79_128
.LBB79_127:                             ;   in Loop: Header=BB79_84 Depth=1
	v_mov_b32_e32 v6, 0
.LBB79_128:                             ;   in Loop: Header=BB79_84 Depth=1
	s_waitcnt vmcnt(0)
	ds_write_b32 v85, v6 offset:2704
	s_andn2_b64 vcc, exec, s[38:39]
	v_mov_b32_e32 v6, 0
	v_mov_b32_e32 v87, 0
	s_cbranch_vccz .LBB79_131
; %bb.129:                              ;   in Loop: Header=BB79_84 Depth=1
	s_andn2_b64 vcc, exec, s[40:41]
	ds_write_b32 v85, v87 offset:2968
	s_cbranch_vccz .LBB79_134
.LBB79_130:                             ;   in Loop: Header=BB79_84 Depth=1
	ds_write_b32 v85, v6 offset:3232
	s_andn2_b64 vcc, exec, s[42:43]
	v_mov_b32_e32 v6, 0
	s_cbranch_vccnz .LBB79_83
	s_branch .LBB79_137
.LBB79_131:                             ;   in Loop: Header=BB79_84 Depth=1
	ds_read_b32 v87, v84 offset:44
	s_waitcnt lgkmcnt(0)
	v_cmp_gt_i32_e32 vcc, 0, v87
	s_cbranch_vccnz .LBB79_133
; %bb.132:                              ;   in Loop: Header=BB79_84 Depth=1
	v_mul_lo_u32 v87, v87, s61
	s_mul_i32 vcc_lo, s56, 11
	v_add_u32_e32 v87, vcc_lo, v87
	v_add_u32_e32 v88, v87, v83
	v_ashrrev_i32_e32 v89, 31, v88
	v_lshl_add_u64 v[88:89], v[88:89], 2, v[4:5]
	global_load_dword v87, v[88:89], off
	s_andn2_b64 vcc, exec, s[40:41]
	s_waitcnt vmcnt(0)
	ds_write_b32 v85, v87 offset:2968
	s_cbranch_vccnz .LBB79_130
	s_branch .LBB79_134
.LBB79_133:                             ;   in Loop: Header=BB79_84 Depth=1
	v_mov_b32_e32 v87, 0
	s_andn2_b64 vcc, exec, s[40:41]
	ds_write_b32 v85, v87 offset:2968
	s_cbranch_vccnz .LBB79_130
.LBB79_134:                             ;   in Loop: Header=BB79_84 Depth=1
	ds_read_b32 v6, v84 offset:48
	s_waitcnt lgkmcnt(0)
	v_cmp_gt_i32_e32 vcc, 0, v6
	s_cbranch_vccnz .LBB79_136
; %bb.135:                              ;   in Loop: Header=BB79_84 Depth=1
	v_mul_lo_u32 v6, v6, s61
	s_mul_i32 vcc_lo, s56, 12
	v_add_u32_e32 v6, vcc_lo, v6
	v_add_u32_e32 v88, v6, v83
	v_ashrrev_i32_e32 v89, 31, v88
	v_lshl_add_u64 v[88:89], v[88:89], 2, v[4:5]
	global_load_dword v6, v[88:89], off
	s_waitcnt vmcnt(0)
	ds_write_b32 v85, v6 offset:3232
	s_andn2_b64 vcc, exec, s[42:43]
	v_mov_b32_e32 v6, 0
	s_cbranch_vccnz .LBB79_83
	s_branch .LBB79_137
.LBB79_136:                             ;   in Loop: Header=BB79_84 Depth=1
	v_mov_b32_e32 v6, 0
	ds_write_b32 v85, v6 offset:3232
	s_andn2_b64 vcc, exec, s[42:43]
	v_mov_b32_e32 v6, 0
	s_cbranch_vccnz .LBB79_83
.LBB79_137:                             ;   in Loop: Header=BB79_84 Depth=1
	ds_read_b32 v6, v84 offset:52
	s_waitcnt lgkmcnt(0)
	v_cmp_gt_i32_e32 vcc, 0, v6
	s_cbranch_vccz .LBB79_82
; %bb.138:                              ;   in Loop: Header=BB79_84 Depth=1
	v_mov_b32_e32 v6, 0
	s_branch .LBB79_83
.LBB79_139:
	s_or_b64 exec, exec, s[54:55]
	v_readlane_b32 s30, v94, 16
	v_readlane_b32 s36, v94, 20
	;; [unrolled: 1-line block ×8, first 2 shown]
.LBB79_140:
	v_readlane_b32 s0, v94, 14
	v_readlane_b32 s1, v94, 15
	s_or_b64 exec, exec, s[0:1]
	v_mul_u32_u24_e32 v0, 0x208, v82
	s_movk_i32 s1, 0x100
	v_lshlrev_b32_e32 v1, 2, v81
	v_add3_u32 v0, s1, v0, v1
	v_and_b32_e32 v4, 0x3f0, v2
	v_add_u32_e32 v5, v0, v4
	s_waitcnt lgkmcnt(0)
	s_barrier
	ds_write2_b32 v5, a12, a13 offset0:16 offset1:17
	v_or_b32_e32 v5, 12, v2
	v_add_u32_e32 v1, 64, v0
	v_and_b32_e32 v5, 0x3fc, v5
	v_add_u32_e32 v4, v1, v4
	v_add_u32_e32 v0, v0, v5
	ds_write_b32 v4, a14 offset:8
	ds_write_b32 v0, a15 offset:64
	ds_write2_b32 v4, a8, a9 offset0:16 offset1:17
	ds_write_b32 v4, a10 offset:72
	v_add_u32_e32 v0, v1, v5
	ds_write_b32 v0, a11 offset:64
	ds_write2_b32 v4, a4, a5 offset0:32 offset1:33
	ds_write_b32 v4, a6 offset:136
	ds_write_b32 v0, a7 offset:128
	ds_write2_b32 v4, a0, a1 offset0:48 offset1:49
	ds_write_b32 v4, a2 offset:200
	ds_write_b32 v0, a3 offset:192
	v_mov_b32_e32 v0, 0x100
	s_movk_i32 s0, 0x208
	v_lshl_add_u32 v7, v2, 2, v0
	v_mad_u32_u24 v1, v74, s0, v7
	s_waitcnt lgkmcnt(0)
	s_barrier
	ds_read2_b32 v[4:5], v1 offset0:16 offset1:80
	v_cmp_gt_u32_e32 vcc, 14, v74
	v_mov_b32_e32 v8, -1
	s_and_saveexec_b64 s[0:1], vcc
	s_cbranch_execz .LBB79_142
; %bb.141:
	v_lshl_add_u32 v0, v74, 2, v0
	ds_read_b32 v8, v0
.LBB79_142:
	s_or_b64 exec, exec, s[0:1]
	s_mul_hi_i32 s1, s38, s28
	s_mul_i32 s0, s38, s28
	s_lshl_b64 s[0:1], s[0:1], 2
	v_readlane_b32 s2, v94, 12
	v_mul_hi_i32 v1, v3, s57
	v_mul_lo_u32 v0, v3, s57
	v_readlane_b32 s3, v94, 13
	s_add_u32 s0, s2, s0
	s_addc_u32 s1, s3, s1
	v_lshlrev_b64 v[0:1], 2, v[0:1]
	s_waitcnt lgkmcnt(0)
	v_cmp_lt_i32_e32 vcc, -1, v8
	v_mul_u32_u24_e32 v9, 0x208, v74
	v_add_u32_e32 v6, s8, v2
	v_lshl_add_u64 v[0:1], s[0:1], 0, v[0:1]
	s_and_b64 s[2:3], vcc, s[30:31]
	s_and_saveexec_b64 s[0:1], s[2:3]
	s_cbranch_execz .LBB79_144
; %bb.143:
	v_add_f32_e32 v2, 0, v4
	v_add_f32_e32 v4, v2, v5
	v_mul_lo_u32 v2, v8, s62
	v_mul_lo_u32 v3, v74, s57
	v_add3_u32 v2, v6, v3, v2
	v_mov_b32_e32 v3, 0
	v_lshl_add_u64 v[2:3], v[2:3], 2, v[0:1]
	global_store_dword v[2:3], v4, off
.LBB79_144:
	s_or_b64 exec, exec, s[0:1]
	v_add_u32_e32 v4, v9, v7
	v_add_u32_e32 v2, 0x50, v4
	ds_read2st64_b32 v[2:3], v2 offset0:4 offset1:5
	v_cmp_gt_u32_e32 vcc, 12, v74
	v_mov_b32_e32 v5, -1
	s_and_saveexec_b64 s[0:1], vcc
	s_cbranch_execz .LBB79_146
; %bb.145:
	v_mov_b32_e32 v5, 0x100
	v_lshl_add_u32 v5, v74, 2, v5
	ds_read_b32 v5, v5 offset:8
.LBB79_146:
	s_or_b64 exec, exec, s[0:1]
	v_readlane_b32 s0, v94, 0
	s_waitcnt lgkmcnt(0)
	v_cmp_lt_i32_e32 vcc, -1, v5
	v_readlane_b32 s1, v94, 1
	s_and_b64 s[2:3], vcc, s[0:1]
	s_and_saveexec_b64 s[0:1], s[2:3]
	s_cbranch_execz .LBB79_148
; %bb.147:
	v_add_f32_e32 v2, 0, v2
	v_add_f32_e32 v7, v2, v3
	v_mul_lo_u32 v2, v5, s62
	v_mul_lo_u32 v3, v75, s57
	v_add3_u32 v2, v6, v3, v2
	v_mov_b32_e32 v3, 0
	v_lshl_add_u64 v[2:3], v[2:3], 2, v[0:1]
	global_store_dword v[2:3], v7, off
.LBB79_148:
	s_or_b64 exec, exec, s[0:1]
	v_add_u32_e32 v2, 0x60, v4
	ds_read2st64_b32 v[2:3], v2 offset0:8 offset1:9
	v_cmp_gt_u32_e32 vcc, 10, v74
	v_mov_b32_e32 v5, -1
	s_and_saveexec_b64 s[0:1], vcc
	s_cbranch_execz .LBB79_150
; %bb.149:
	v_mov_b32_e32 v5, 0x100
	v_lshl_add_u32 v5, v74, 2, v5
	ds_read_b32 v5, v5 offset:16
.LBB79_150:
	s_or_b64 exec, exec, s[0:1]
	v_readlane_b32 s0, v94, 2
	s_waitcnt lgkmcnt(0)
	v_cmp_lt_i32_e32 vcc, -1, v5
	v_readlane_b32 s1, v94, 3
	s_and_b64 s[2:3], vcc, s[0:1]
	s_and_saveexec_b64 s[0:1], s[2:3]
	s_cbranch_execz .LBB79_152
; %bb.151:
	v_add_f32_e32 v2, 0, v2
	v_add_f32_e32 v7, v2, v3
	v_mul_lo_u32 v2, v5, s62
	v_mul_lo_u32 v3, v76, s57
	v_add3_u32 v2, v6, v3, v2
	v_mov_b32_e32 v3, 0
	v_lshl_add_u64 v[2:3], v[2:3], 2, v[0:1]
	global_store_dword v[2:3], v7, off
.LBB79_152:
	s_or_b64 exec, exec, s[0:1]
	;; [unrolled: 30-line block ×5, first 2 shown]
	v_add_u32_e32 v2, 0xa0, v4
	ds_read2st64_b32 v[2:3], v2 offset0:24 offset1:25
	v_cmp_gt_u32_e32 vcc, 2, v74
	v_mov_b32_e32 v4, -1
	s_and_saveexec_b64 s[0:1], vcc
	s_cbranch_execz .LBB79_166
; %bb.165:
	v_mov_b32_e32 v4, 0x100
	v_lshl_add_u32 v4, v74, 2, v4
	ds_read_b32 v4, v4 offset:48
.LBB79_166:
	s_or_b64 exec, exec, s[0:1]
	v_readlane_b32 s0, v94, 10
	s_waitcnt lgkmcnt(0)
	v_cmp_lt_i32_e32 vcc, -1, v4
	v_readlane_b32 s1, v94, 11
	s_and_b64 s[0:1], vcc, s[0:1]
	s_and_saveexec_b64 s[2:3], s[0:1]
	s_cbranch_execz .LBB79_168
; %bb.167:
	v_add_f32_e32 v2, 0, v2
	v_add_f32_e32 v5, v2, v3
	v_mul_lo_u32 v2, v4, s62
	v_mul_lo_u32 v3, v80, s57
	v_add3_u32 v2, v6, v3, v2
	v_mov_b32_e32 v3, 0
	v_lshl_add_u64 v[0:1], v[2:3], 2, v[0:1]
	global_store_dword v[0:1], v5, off
.LBB79_168:
	s_endpgm
	.section	.rodata,"a",@progbits
	.p2align	6, 0x0
	.amdhsa_kernel _ZL9mul_mat_fIfLi64ELi14ELi2ELb1EEvPKT_PKfPKiPfiiiiiiiiiiiiiiii
		.amdhsa_group_segment_fixed_size 256
		.amdhsa_private_segment_fixed_size 0
		.amdhsa_kernarg_size 352
		.amdhsa_user_sgpr_count 2
		.amdhsa_user_sgpr_dispatch_ptr 0
		.amdhsa_user_sgpr_queue_ptr 0
		.amdhsa_user_sgpr_kernarg_segment_ptr 1
		.amdhsa_user_sgpr_dispatch_id 0
		.amdhsa_user_sgpr_kernarg_preload_length 0
		.amdhsa_user_sgpr_kernarg_preload_offset 0
		.amdhsa_user_sgpr_private_segment_size 0
		.amdhsa_uses_dynamic_stack 0
		.amdhsa_enable_private_segment 0
		.amdhsa_system_sgpr_workgroup_id_x 1
		.amdhsa_system_sgpr_workgroup_id_y 1
		.amdhsa_system_sgpr_workgroup_id_z 1
		.amdhsa_system_sgpr_workgroup_info 0
		.amdhsa_system_vgpr_workitem_id 2
		.amdhsa_next_free_vgpr 112
		.amdhsa_next_free_sgpr 100
		.amdhsa_accum_offset 96
		.amdhsa_reserve_vcc 1
		.amdhsa_float_round_mode_32 0
		.amdhsa_float_round_mode_16_64 0
		.amdhsa_float_denorm_mode_32 3
		.amdhsa_float_denorm_mode_16_64 3
		.amdhsa_dx10_clamp 1
		.amdhsa_ieee_mode 1
		.amdhsa_fp16_overflow 0
		.amdhsa_tg_split 0
		.amdhsa_exception_fp_ieee_invalid_op 0
		.amdhsa_exception_fp_denorm_src 0
		.amdhsa_exception_fp_ieee_div_zero 0
		.amdhsa_exception_fp_ieee_overflow 0
		.amdhsa_exception_fp_ieee_underflow 0
		.amdhsa_exception_fp_ieee_inexact 0
		.amdhsa_exception_int_div_zero 0
	.end_amdhsa_kernel
	.section	.text._ZL9mul_mat_fIfLi64ELi14ELi2ELb1EEvPKT_PKfPKiPfiiiiiiiiiiiiiiii,"axG",@progbits,_ZL9mul_mat_fIfLi64ELi14ELi2ELb1EEvPKT_PKfPKiPfiiiiiiiiiiiiiiii,comdat
.Lfunc_end79:
	.size	_ZL9mul_mat_fIfLi64ELi14ELi2ELb1EEvPKT_PKfPKiPfiiiiiiiiiiiiiiii, .Lfunc_end79-_ZL9mul_mat_fIfLi64ELi14ELi2ELb1EEvPKT_PKfPKiPfiiiiiiiiiiiiiiii
                                        ; -- End function
	.section	.AMDGPU.csdata,"",@progbits
; Kernel info:
; codeLenInByte = 9796
; NumSgprs: 106
; NumVgprs: 95
; NumAgprs: 16
; TotalNumVgprs: 112
; ScratchSize: 0
; MemoryBound: 0
; FloatMode: 240
; IeeeMode: 1
; LDSByteSize: 256 bytes/workgroup (compile time only)
; SGPRBlocks: 13
; VGPRBlocks: 13
; NumSGPRsForWavesPerEU: 106
; NumVGPRsForWavesPerEU: 112
; AccumOffset: 96
; Occupancy: 4
; WaveLimiterHint : 0
; COMPUTE_PGM_RSRC2:SCRATCH_EN: 0
; COMPUTE_PGM_RSRC2:USER_SGPR: 2
; COMPUTE_PGM_RSRC2:TRAP_HANDLER: 0
; COMPUTE_PGM_RSRC2:TGID_X_EN: 1
; COMPUTE_PGM_RSRC2:TGID_Y_EN: 1
; COMPUTE_PGM_RSRC2:TGID_Z_EN: 1
; COMPUTE_PGM_RSRC2:TIDIG_COMP_CNT: 2
; COMPUTE_PGM_RSRC3_GFX90A:ACCUM_OFFSET: 23
; COMPUTE_PGM_RSRC3_GFX90A:TG_SPLIT: 0
	.section	.text._ZL9mul_mat_fIfLi64ELi14ELi2ELb0EEvPKT_PKfPKiPfiiiiiiiiiiiiiiii,"axG",@progbits,_ZL9mul_mat_fIfLi64ELi14ELi2ELb0EEvPKT_PKfPKiPfiiiiiiiiiiiiiiii,comdat
	.globl	_ZL9mul_mat_fIfLi64ELi14ELi2ELb0EEvPKT_PKfPKiPfiiiiiiiiiiiiiiii ; -- Begin function _ZL9mul_mat_fIfLi64ELi14ELi2ELb0EEvPKT_PKfPKiPfiiiiiiiiiiiiiiii
	.p2align	8
	.type	_ZL9mul_mat_fIfLi64ELi14ELi2ELb0EEvPKT_PKfPKiPfiiiiiiiiiiiiiiii,@function
_ZL9mul_mat_fIfLi64ELi14ELi2ELb0EEvPKT_PKfPKiPfiiiiiiiiiiiiiiii: ; @_ZL9mul_mat_fIfLi64ELi14ELi2ELb0EEvPKT_PKfPKiPfiiiiiiiiiiiiiiii
; %bb.0:
	s_load_dword s5, s[0:1], 0x20
	s_load_dwordx4 s[16:19], s[0:1], 0x2c
	v_bfe_u32 v77, v0, 10, 10
	v_lshlrev_b32_e32 v78, 6, v77
	v_and_b32_e32 v76, 0x3ff, v0
	v_add_u32_e32 v80, v78, v76
	s_mov_b32 s20, 0
	s_waitcnt lgkmcnt(0)
	s_ashr_i32 s19, s4, 31
	v_cmp_le_i32_e32 vcc, s5, v80
	v_and_b32_e32 v79, 15, v76
	s_and_saveexec_b64 s[6:7], vcc
	s_xor_b64 s[6:7], exec, s[6:7]
; %bb.1:
	v_and_b32_e32 v79, 15, v76
                                        ; implicit-def: $vgpr80
; %bb.2:
	s_or_saveexec_b64 s[24:25], s[6:7]
	s_load_dwordx8 s[8:15], s[0:1], 0x40
	s_load_dwordx2 s[6:7], s[0:1], 0x18
	s_lshl_b32 s2, s2, 6
	v_accvgpr_write_b32 a4, s20
	v_accvgpr_write_b32 a5, s20
	;; [unrolled: 1-line block ×16, first 2 shown]
	v_lshlrev_b32_e32 v0, 2, v76
	s_xor_b64 exec, exec, s[24:25]
	s_cbranch_execz .LBB80_6
; %bb.3:
	s_waitcnt lgkmcnt(0)
	s_abs_i32 s26, s8
	v_cvt_f32_u32_e32 v1, s26
	s_abs_i32 s27, s12
	v_cvt_f32_u32_e32 v2, s27
	s_sub_i32 s20, 0, s26
	v_rcp_iflag_f32_e32 v1, v1
	s_abs_i32 s28, s3
	v_rcp_iflag_f32_e32 v2, v2
	s_sub_i32 s21, 0, s27
	v_mul_f32_e32 v1, 0x4f7ffffe, v1
	v_cvt_u32_f32_e32 v1, v1
	v_mul_f32_e32 v2, 0x4f7ffffe, v2
	v_cvt_u32_f32_e32 v2, v2
	s_abs_i32 s29, s4
	v_mul_lo_u32 v3, s20, v1
	v_mul_hi_u32 v3, v1, v3
	v_add_u32_e32 v1, v1, v3
	v_mul_hi_u32 v1, s28, v1
	v_mul_lo_u32 v4, s21, v2
	v_mul_lo_u32 v3, v1, s26
	v_mul_hi_u32 v4, v2, v4
	v_sub_u32_e32 v3, s28, v3
	v_add_u32_e32 v2, v2, v4
	v_subrev_u32_e32 v5, s26, v3
	v_cmp_le_u32_e32 vcc, s26, v3
	v_mul_hi_u32 v2, s29, v2
	v_add_u32_e32 v4, 1, v1
	v_cndmask_b32_e32 v3, v3, v5, vcc
	v_cndmask_b32_e32 v1, v1, v4, vcc
	v_cmp_le_u32_e32 vcc, s26, v3
	v_mul_lo_u32 v3, v2, s27
	v_add_u32_e32 v4, 1, v1
	v_sub_u32_e32 v3, s29, v3
	s_load_dwordx4 s[20:23], s[0:1], 0x0
	s_ashr_i32 s0, s3, 31
	s_ashr_i32 s1, s8, 31
	v_cndmask_b32_e32 v1, v1, v4, vcc
	v_add_u32_e32 v4, 1, v2
	v_subrev_u32_e32 v5, s27, v3
	v_cmp_le_u32_e32 vcc, s27, v3
	s_xor_b32 s0, s0, s1
	s_ashr_i32 s8, s12, 31
	v_cndmask_b32_e32 v2, v2, v4, vcc
	v_cndmask_b32_e32 v3, v3, v5, vcc
	v_xor_b32_e32 v1, s0, v1
	v_add_u32_e32 v4, 1, v2
	v_cmp_le_u32_e32 vcc, s27, v3
	v_subrev_u32_e32 v1, s0, v1
	s_xor_b32 s0, s19, s8
	v_cndmask_b32_e32 v2, v2, v4, vcc
	v_xor_b32_e32 v2, s0, v2
	v_subrev_u32_e32 v2, s0, v2
	v_mul_lo_u32 v4, v1, s9
	v_mul_hi_i32 v3, v2, s13
	v_mul_lo_u32 v2, v2, s13
	v_ashrrev_i32_e32 v5, 31, v4
	s_mul_i32 s0, s2, s16
	s_mul_i32 s12, s3, s10
	s_ashr_i32 s1, s0, 31
	v_lshlrev_b64 v[6:7], 2, v[2:3]
	v_lshlrev_b64 v[2:3], 2, v[4:5]
	s_mul_hi_i32 s9, s14, s4
	s_mul_i32 s8, s14, s4
	s_lshl_b64 s[0:1], s[0:1], 2
	s_waitcnt lgkmcnt(0)
	v_lshl_add_u64 v[2:3], s[20:21], 0, v[2:3]
	s_ashr_i32 s13, s12, 31
	v_lshl_add_u64 v[8:9], v[2:3], 0, s[0:1]
	s_lshl_b64 s[8:9], s[8:9], 2
	s_lshl_b64 s[0:1], s[12:13], 2
	s_add_u32 s12, s22, s0
	s_movk_i32 s10, 0x1080
	v_lshrrev_b32_e32 v5, 1, v76
	s_addc_u32 s13, s23, s1
	v_mad_u32_u24 v1, v77, s10, 0
	v_mul_u32_u24_e32 v4, 0x108, v79
	v_and_b32_e32 v5, 0x1f8, v5
	s_add_u32 s0, s12, s8
	v_add_u32_e32 v81, v1, v0
	v_add3_u32 v82, v1, v4, v5
	v_mov_b32_e32 v1, 0
	s_addc_u32 s1, s13, s9
	s_ashr_i32 s21, s16, 31
	s_mov_b32 s20, s16
	s_ashr_i32 s23, s17, 31
	s_mov_b32 s22, s17
	v_lshlrev_b32_e32 v10, 8, v77
	v_mov_b32_e32 v11, v1
	v_lshl_add_u64 v[2:3], v[8:9], 0, v[6:7]
	v_lshl_add_u64 v[6:7], v[6:7], 0, v[10:11]
	s_lshl_b64 s[20:21], s[20:21], 2
	v_lshl_add_u64 v[10:11], s[8:9], 0, v[10:11]
	s_lshl_b64 s[8:9], s[22:23], 2
	s_add_u32 s8, s12, s8
	v_lshl_add_u64 v[4:5], v[8:9], 0, s[20:21]
	s_addc_u32 s9, s13, s9
	v_lshl_add_u64 v[4:5], v[4:5], 0, v[6:7]
	v_lshl_add_u64 v[6:7], v[8:9], 0, v[6:7]
	;; [unrolled: 1-line block ×4, first 2 shown]
	s_lshl_b32 s10, s17, 1
	s_mul_i32 s14, s17, 3
	s_lshl_b32 s19, s17, 2
	s_mul_i32 s20, s17, 5
	s_mul_i32 s21, s17, 6
	;; [unrolled: 1-line block ×3, first 2 shown]
	s_lshl_b32 s23, s17, 3
	s_mul_i32 s26, s17, 9
	s_mul_i32 s27, s17, 10
	;; [unrolled: 1-line block ×5, first 2 shown]
	s_lshl_b32 s30, s16, 1
	s_mul_i32 s31, s16, 3
	s_lshl_b32 s33, s16, 2
	s_mul_i32 s34, s16, 5
	s_mul_i32 s35, s16, 6
	;; [unrolled: 1-line block ×3, first 2 shown]
	s_lshl_b32 s37, s16, 3
	s_mul_i32 s38, s16, 9
	s_mul_i32 s39, s16, 10
	;; [unrolled: 1-line block ×7, first 2 shown]
	s_lshl_b32 s45, s16, 4
	s_mul_i32 s46, s16, 17
	s_mul_i32 s47, s16, 18
	s_mul_i32 s48, s16, 19
	s_mul_i32 s49, s16, 20
	s_mul_i32 s50, s16, 21
	s_mul_i32 s51, s16, 22
	s_mul_i32 s52, s16, 23
	s_mul_i32 s53, s16, 24
	s_mul_i32 s54, s16, 25
	s_mul_i32 s55, s16, 26
	s_mul_i32 s56, s16, 27
	s_mul_i32 s57, s16, 28
	s_mul_i32 s58, s16, 29
	s_mul_i32 s59, s16, 30
	s_mul_i32 s60, s16, 31
	s_lshl_b32 s61, s16, 5
	s_mul_i32 s62, s16, 33
	s_mul_i32 s63, s16, 34
	;; [unrolled: 1-line block ×16, first 2 shown]
	v_mov_b32_e32 v83, 0
	v_accvgpr_write_b32 a15, 0
	v_accvgpr_write_b32 a14, 0
	;; [unrolled: 1-line block ×16, first 2 shown]
	s_mul_i32 s78, s16, 49
	s_mul_i32 s79, s16, 50
	;; [unrolled: 1-line block ×15, first 2 shown]
	s_mov_b64 s[8:9], 0
	s_mov_b64 s[12:13], 0x200
.LBB80_4:                               ; =>This Inner Loop Header: Depth=1
	v_add_u32_e32 v56, s30, v80
	v_add_u32_e32 v50, s31, v80
	;; [unrolled: 1-line block ×18, first 2 shown]
	v_ashrrev_i32_e32 v57, 31, v56
	v_ashrrev_i32_e32 v51, 31, v50
	;; [unrolled: 1-line block ×9, first 2 shown]
	v_lshl_add_u64 v[60:61], v[6:7], 0, v[0:1]
	v_lshl_add_u64 v[58:59], v[4:5], 0, v[0:1]
	v_add_u32_e32 v30, s47, v80
	v_add_u32_e32 v14, s50, v80
	;; [unrolled: 1-line block ×3, first 2 shown]
	v_lshl_add_u64 v[84:85], v[10:11], 0, v[0:1]
	v_lshl_add_u64 v[88:89], v[8:9], 0, v[0:1]
	;; [unrolled: 1-line block ×5, first 2 shown]
	v_ashrrev_i32_e32 v53, 31, v52
	v_lshl_add_u64 v[46:47], v[46:47], 2, v[2:3]
	v_ashrrev_i32_e32 v49, 31, v48
	v_lshl_add_u64 v[42:43], v[42:43], 2, v[2:3]
	v_ashrrev_i32_e32 v45, 31, v44
	v_lshl_add_u64 v[38:39], v[38:39], 2, v[2:3]
	v_ashrrev_i32_e32 v41, 31, v40
	v_lshl_add_u64 v[32:33], v[32:33], 2, v[2:3]
	v_lshl_add_u64 v[28:29], v[28:29], 2, v[2:3]
	v_lshl_add_u64 v[34:35], v[34:35], 2, v[2:3]
	v_ashrrev_i32_e32 v23, 31, v22
	v_ashrrev_i32_e32 v37, 31, v36
	;; [unrolled: 1-line block ×5, first 2 shown]
	v_add_u32_e32 v12, s52, v80
	v_add_u32_e32 v16, s53, v80
	global_load_dword v86, v[60:61], off
	global_load_dword v87, v[58:59], off
	s_nop 0
	global_load_dword v84, v[84:85], off
	v_lshl_add_u64 v[48:49], v[48:49], 2, v[2:3]
	global_load_dword v85, v[88:89], off
	v_lshl_add_u64 v[44:45], v[44:45], 2, v[2:3]
	global_load_dword v88, v[56:57], off
	global_load_dword v54, v[50:51], off
	;; [unrolled: 1-line block ×3, first 2 shown]
	v_lshl_add_u64 v[90:91], v[52:53], 2, v[2:3]
	global_load_dword v52, v[46:47], off
	global_load_dword v53, v[90:91], off
	s_nop 0
	global_load_dword v42, v[42:43], off
	s_nop 0
	;; [unrolled: 2-line block ×4, first 2 shown]
	global_load_dword v39, v[44:45], off
	v_lshl_add_u64 v[40:41], v[40:41], 2, v[2:3]
	global_load_dword v32, v[32:33], off
	s_nop 0
	global_load_dword v33, v[40:41], off
	s_nop 0
	;; [unrolled: 2-line block ×3, first 2 shown]
	global_load_dword v29, v[34:35], off
	v_lshl_add_u64 v[22:23], v[22:23], 2, v[2:3]
	v_lshl_add_u64 v[34:35], v[36:37], 2, v[2:3]
	v_ashrrev_i32_e32 v31, 31, v30
	v_lshl_add_u64 v[24:25], v[24:25], 2, v[2:3]
	v_lshl_add_u64 v[18:19], v[18:19], 2, v[2:3]
	;; [unrolled: 1-line block ×3, first 2 shown]
	v_ashrrev_i32_e32 v15, 31, v14
	v_ashrrev_i32_e32 v21, 31, v20
	v_add_u32_e32 v70, s54, v80
	v_add_u32_e32 v74, s55, v80
	global_load_dword v23, v[22:23], off
	s_nop 0
	global_load_dword v22, v[34:35], off
	v_lshl_add_u64 v[30:31], v[30:31], 2, v[2:3]
	global_load_dword v24, v[24:25], off
	s_nop 0
	global_load_dword v25, v[30:31], off
	global_load_dword v34, v[18:19], off
	;; [unrolled: 1-line block ×3, first 2 shown]
	v_lshl_add_u64 v[14:15], v[14:15], 2, v[2:3]
	v_lshl_add_u64 v[26:27], v[20:21], 2, v[2:3]
	v_ashrrev_i32_e32 v13, 31, v12
	v_ashrrev_i32_e32 v17, 31, v16
	v_add_u32_e32 v66, s56, v80
	v_add_u32_e32 v72, s57, v80
	;; [unrolled: 1-line block ×8, first 2 shown]
	global_load_dword v20, v[14:15], off
	global_load_dword v21, v[26:27], off
	v_lshl_add_u64 v[12:13], v[12:13], 2, v[2:3]
	v_lshl_add_u64 v[26:27], v[16:17], 2, v[2:3]
	v_ashrrev_i32_e32 v71, 31, v70
	v_ashrrev_i32_e32 v75, 31, v74
	v_add_u32_e32 v68, s59, v80
	v_add_u32_e32 v60, s61, v80
	;; [unrolled: 1-line block ×6, first 2 shown]
	global_load_dword v16, v[12:13], off
	global_load_dword v17, v[26:27], off
	v_lshl_add_u64 v[26:27], v[70:71], 2, v[2:3]
	v_lshl_add_u64 v[44:45], v[74:75], 2, v[2:3]
	v_ashrrev_i32_e32 v67, 31, v66
	v_ashrrev_i32_e32 v73, 31, v72
	;; [unrolled: 1-line block ×8, first 2 shown]
	v_add_u32_e32 v94, s70, v80
	v_add_u32_e32 v18, s72, v80
	global_load_dword v36, v[26:27], off
	global_load_dword v37, v[44:45], off
	v_lshl_add_u64 v[44:45], v[66:67], 2, v[2:3]
	v_lshl_add_u64 v[66:67], v[72:73], 2, v[2:3]
	v_ashrrev_i32_e32 v69, 31, v68
	v_lshl_add_u64 v[64:65], v[64:65], 2, v[2:3]
	v_ashrrev_i32_e32 v61, 31, v60
	;; [unrolled: 2-line block ×4, first 2 shown]
	v_lshl_add_u64 v[50:51], v[50:51], 2, v[2:3]
	v_lshl_add_u64 v[48:49], v[48:49], 2, v[2:3]
	;; [unrolled: 1-line block ×3, first 2 shown]
	v_ashrrev_i32_e32 v41, 31, v40
	v_ashrrev_i32_e32 v93, 31, v92
	v_add_u32_e32 v30, s71, v80
	v_add_u32_e32 v14, s73, v80
	;; [unrolled: 1-line block ×4, first 2 shown]
	global_load_dword v44, v[44:45], off
	s_nop 0
	global_load_dword v45, v[66:67], off
	v_lshl_add_u64 v[68:69], v[68:69], 2, v[2:3]
	global_load_dword v64, v[64:65], off
	s_nop 0
	global_load_dword v65, v[68:69], off
	v_lshl_add_u64 v[70:71], v[60:61], 2, v[2:3]
	global_load_dword v61, v[62:63], off
	global_load_dword v60, v[70:71], off
	v_lshl_add_u64 v[56:57], v[56:57], 2, v[2:3]
	global_load_dword v62, v[58:59], off
	global_load_dword v63, v[56:57], off
	v_lshl_add_u64 v[58:59], v[46:47], 2, v[2:3]
	global_load_dword v46, v[50:51], off
	global_load_dword v47, v[58:59], off
	s_nop 0
	global_load_dword v50, v[48:49], off
	global_load_dword v51, v[72:73], off
	v_lshl_add_u64 v[40:41], v[40:41], 2, v[2:3]
	v_lshl_add_u64 v[72:73], v[92:93], 2, v[2:3]
	v_ashrrev_i32_e32 v95, 31, v94
	v_ashrrev_i32_e32 v19, 31, v18
	v_add_u32_e32 v66, s76, v80
	v_add_u32_e32 v68, s77, v80
	global_load_dword v74, v[40:41], off
	global_load_dword v75, v[72:73], off
	v_ashrrev_i32_e32 v31, 31, v30
	v_lshl_add_u64 v[72:73], v[94:95], 2, v[2:3]
	v_ashrrev_i32_e32 v15, 31, v14
	v_lshl_add_u64 v[18:19], v[18:19], 2, v[2:3]
	v_ashrrev_i32_e32 v13, 31, v12
	v_ashrrev_i32_e32 v27, 31, v26
	v_add_u32_e32 v70, s78, v80
	v_add_u32_e32 v56, s79, v80
	v_lshl_add_u64 v[30:31], v[30:31], 2, v[2:3]
	global_load_dword v72, v[72:73], off
	s_nop 0
	global_load_dword v73, v[30:31], off
	v_lshl_add_u64 v[14:15], v[14:15], 2, v[2:3]
	global_load_dword v90, v[18:19], off
	global_load_dword v91, v[14:15], off
	v_lshl_add_u64 v[12:13], v[12:13], 2, v[2:3]
	v_lshl_add_u64 v[18:19], v[26:27], 2, v[2:3]
	v_ashrrev_i32_e32 v67, 31, v66
	v_ashrrev_i32_e32 v69, 31, v68
	v_add_u32_e32 v58, s80, v80
	v_add_u32_e32 v48, s81, v80
	;; [unrolled: 1-line block ×4, first 2 shown]
	global_load_dword v92, v[12:13], off
	global_load_dword v93, v[18:19], off
	v_add_u32_e32 v12, s85, v80
	v_lshl_add_u64 v[18:19], v[66:67], 2, v[2:3]
	v_lshl_add_u64 v[26:27], v[68:69], 2, v[2:3]
	v_ashrrev_i32_e32 v71, 31, v70
	v_ashrrev_i32_e32 v57, 31, v56
	v_add_u32_e32 v30, s83, v80
	global_load_dword v68, v[18:19], off
	global_load_dword v69, v[26:27], off
	v_add_u32_e32 v18, s86, v80
	v_lshl_add_u64 v[26:27], v[70:71], 2, v[2:3]
	v_lshl_add_u64 v[56:57], v[56:57], 2, v[2:3]
	v_ashrrev_i32_e32 v59, 31, v58
	v_ashrrev_i32_e32 v49, 31, v48
	;; [unrolled: 1-line block ×5, first 2 shown]
	global_load_dword v94, v[26:27], off
	global_load_dword v95, v[56:57], off
	v_add_u32_e32 v26, s87, v80
	v_lshl_add_u64 v[56:57], v[58:59], 2, v[2:3]
	v_lshl_add_u64 v[48:49], v[48:49], 2, v[2:3]
	v_ashrrev_i32_e32 v31, 31, v30
	v_lshl_add_u64 v[40:41], v[40:41], 2, v[2:3]
	v_lshl_add_u64 v[14:15], v[14:15], 2, v[2:3]
	;; [unrolled: 1-line block ×3, first 2 shown]
	v_ashrrev_i32_e32 v19, 31, v18
	global_load_dword v96, v[56:57], off
	global_load_dword v97, v[48:49], off
	v_add_u32_e32 v48, s88, v80
	v_lshl_add_u64 v[30:31], v[30:31], 2, v[2:3]
	global_load_dword v98, v[40:41], off
	global_load_dword v99, v[30:31], off
	;; [unrolled: 1-line block ×4, first 2 shown]
	v_add_u32_e32 v12, s90, v80
	v_ashrrev_i32_e32 v27, 31, v26
	v_lshl_add_u64 v[14:15], v[18:19], 2, v[2:3]
	v_add_u32_e32 v30, s89, v80
	v_lshl_add_u64 v[18:19], v[26:27], 2, v[2:3]
	global_load_dword v102, v[14:15], off
	global_load_dword v103, v[18:19], off
	v_add_u32_e32 v14, s91, v80
	v_ashrrev_i32_e32 v49, 31, v48
	v_ashrrev_i32_e32 v13, 31, v12
	;; [unrolled: 1-line block ×3, first 2 shown]
	v_lshl_add_u64 v[18:19], v[48:49], 2, v[2:3]
	v_ashrrev_i32_e32 v15, 31, v14
	v_lshl_add_u64 v[12:13], v[12:13], 2, v[2:3]
	v_lshl_add_u64 v[26:27], v[30:31], 2, v[2:3]
	global_load_dword v104, v[18:19], off
	global_load_dword v105, v[26:27], off
	v_add_u32_e32 v18, s16, v80
	v_lshl_add_u64 v[14:15], v[14:15], 2, v[2:3]
	global_load_dword v106, v[12:13], off
	global_load_dword v107, v[14:15], off
	v_add_u32_e32 v12, s10, v80
	v_ashrrev_i32_e32 v19, 31, v18
	v_ashrrev_i32_e32 v13, 31, v12
	v_lshl_add_u64 v[14:15], v[18:19], 2, v[2:3]
	v_lshl_add_u64 v[12:13], v[12:13], 2, s[0:1]
	global_load_dword v108, v[14:15], off
	global_load_dword v109, v[12:13], off
	v_add_u32_e32 v12, s14, v80
	v_ashrrev_i32_e32 v13, 31, v12
	v_lshl_add_u64 v[12:13], v[12:13], 2, s[0:1]
	global_load_dword v110, v[12:13], off
	v_add_u32_e32 v12, s19, v80
	v_ashrrev_i32_e32 v13, 31, v12
	v_lshl_add_u64 v[12:13], v[12:13], 2, s[0:1]
	;; [unrolled: 4-line block ×11, first 2 shown]
	global_load_dword v119, v[12:13], off
	s_waitcnt vmcnt(62)
	ds_write_b32 v81, v86
	ds_write_b32 v81, v87 offset:264
	ds_write_b32 v81, v88 offset:528
	;; [unrolled: 1-line block ×13, first 2 shown]
	s_waitcnt vmcnt(61)
	ds_write_b32 v81, v29 offset:3696
	s_waitcnt vmcnt(60)
	ds_write_b32 v81, v23 offset:3960
	ds_read_b64 v[58:59], v82
	ds_read_b64 v[48:49], v82 offset:32
	ds_read_b64 v[40:41], v82 offset:64
	ds_read_b64 v[30:31], v82 offset:96
	ds_read_b64 v[26:27], v82 offset:128
	ds_read_b64 v[18:19], v82 offset:160
	ds_read_b64 v[14:15], v82 offset:192
	ds_read_b64 v[12:13], v82 offset:224
	s_waitcnt vmcnt(59)
	ds_write_b32 v81, v22
	s_waitcnt vmcnt(58)
	ds_write_b32 v81, v24 offset:264
	s_waitcnt vmcnt(57)
	ds_write_b32 v81, v25 offset:528
	s_waitcnt vmcnt(56)
	ds_write_b32 v81, v34 offset:792
	s_waitcnt vmcnt(55)
	ds_write_b32 v81, v35 offset:1056
	s_waitcnt vmcnt(54)
	ds_write_b32 v81, v20 offset:1320
	s_waitcnt vmcnt(53)
	ds_write_b32 v81, v21 offset:1584
	s_waitcnt vmcnt(52)
	ds_write_b32 v81, v16 offset:1848
	s_waitcnt vmcnt(51)
	ds_write_b32 v81, v17 offset:2112
	s_waitcnt vmcnt(50)
	ds_write_b32 v81, v36 offset:2376
	s_waitcnt vmcnt(49)
	ds_write_b32 v81, v37 offset:2640
	s_waitcnt vmcnt(48)
	ds_write_b32 v81, v44 offset:2904
	s_waitcnt vmcnt(47)
	ds_write_b32 v81, v45 offset:3168
	s_waitcnt vmcnt(46)
	ds_write_b32 v81, v64 offset:3432
	s_waitcnt vmcnt(45)
	ds_write_b32 v81, v65 offset:3696
	s_waitcnt vmcnt(44)
	ds_write_b32 v81, v61 offset:3960
	ds_read_b64 v[66:67], v82
	ds_read_b64 v[56:57], v82 offset:32
	ds_read_b64 v[52:53], v82 offset:64
	ds_read_b64 v[38:39], v82 offset:96
	ds_read_b64 v[36:37], v82 offset:128
	ds_read_b64 v[24:25], v82 offset:160
	ds_read_b64 v[20:21], v82 offset:192
	ds_read_b64 v[16:17], v82 offset:224
	s_waitcnt vmcnt(43)
	ds_write_b32 v81, v60
	s_waitcnt vmcnt(42)
	ds_write_b32 v81, v62 offset:264
	s_waitcnt vmcnt(41)
	ds_write_b32 v81, v63 offset:528
	s_waitcnt vmcnt(40)
	ds_write_b32 v81, v46 offset:792
	s_waitcnt vmcnt(39)
	ds_write_b32 v81, v47 offset:1056
	s_waitcnt vmcnt(38)
	ds_write_b32 v81, v50 offset:1320
	s_waitcnt vmcnt(37)
	ds_write_b32 v81, v51 offset:1584
	s_waitcnt vmcnt(36)
	ds_write_b32 v81, v74 offset:1848
	s_waitcnt vmcnt(35)
	ds_write_b32 v81, v75 offset:2112
	s_waitcnt vmcnt(34)
	ds_write_b32 v81, v72 offset:2376
	s_waitcnt vmcnt(33)
	ds_write_b32 v81, v73 offset:2640
	s_waitcnt vmcnt(32)
	ds_write_b32 v81, v90 offset:2904
	s_waitcnt vmcnt(31)
	ds_write_b32 v81, v91 offset:3168
	s_waitcnt vmcnt(30)
	ds_write_b32 v81, v92 offset:3432
	;; [unrolled: 40-line block ×3, first 2 shown]
	s_waitcnt vmcnt(13)
	ds_write_b32 v81, v107 offset:3696
	s_waitcnt vmcnt(12)
	ds_write_b32 v81, v108 offset:3960
	ds_read_b64 v[74:75], v82
	ds_read_b64 v[72:73], v82 offset:32
	ds_read_b64 v[68:69], v82 offset:64
	;; [unrolled: 1-line block ×7, first 2 shown]
	ds_write_b32 v81, v84
	ds_write_b32 v81, v85 offset:264
	s_waitcnt vmcnt(11)
	ds_write_b32 v81, v109 offset:528
	s_waitcnt vmcnt(10)
	;; [unrolled: 2-line block ×12, first 2 shown]
	ds_write_b32 v81, v119 offset:3432
	ds_write_b32 v81, v83 offset:3696
	;; [unrolled: 1-line block ×3, first 2 shown]
	ds_read_b64 v[84:85], v82
	s_waitcnt lgkmcnt(0)
	v_mfma_f32_16x16x8_xf32 a[12:15], v[58:59], v[84:85], a[12:15]
	ds_read_b64 v[58:59], v82 offset:32
	v_add_u32_e32 v80, 0x80, v80
	v_cmp_le_i32_e32 vcc, s5, v80
	s_waitcnt lgkmcnt(0)
	v_mfma_f32_16x16x8_xf32 a[12:15], v[48:49], v[58:59], a[12:15]
	ds_read_b64 v[48:49], v82 offset:64
	v_lshl_add_u64 v[4:5], v[4:5], 0, s[12:13]
	v_lshl_add_u64 v[6:7], v[6:7], 0, s[12:13]
	v_mfma_f32_16x16x8_xf32 a[8:11], v[66:67], v[84:85], a[8:11]
	v_lshl_add_u64 v[8:9], v[8:9], 0, s[12:13]
	s_or_b64 s[8:9], vcc, s[8:9]
	v_lshl_add_u64 v[10:11], v[10:11], 0, s[12:13]
	v_mfma_f32_16x16x8_xf32 a[0:3], v[70:71], v[84:85], a[0:3]
	v_mfma_f32_16x16x8_xf32 a[4:7], v[74:75], v[84:85], a[4:7]
	s_waitcnt lgkmcnt(0)
	v_mfma_f32_16x16x8_xf32 a[12:15], v[40:41], v[48:49], a[12:15]
	ds_read_b64 v[40:41], v82 offset:96
	v_mfma_f32_16x16x8_xf32 a[8:11], v[56:57], v[58:59], a[8:11]
	v_mfma_f32_16x16x8_xf32 a[0:3], v[64:65], v[58:59], a[0:3]
	;; [unrolled: 1-line block ×6, first 2 shown]
	s_waitcnt lgkmcnt(0)
	v_mfma_f32_16x16x8_xf32 a[12:15], v[30:31], v[40:41], a[12:15]
	ds_read_b64 v[30:31], v82 offset:128
	v_mfma_f32_16x16x8_xf32 a[8:11], v[38:39], v[40:41], a[8:11]
	v_mfma_f32_16x16x8_xf32 a[0:3], v[50:51], v[40:41], a[0:3]
	v_mfma_f32_16x16x8_xf32 a[4:7], v[60:61], v[40:41], a[4:7]
	s_waitcnt lgkmcnt(0)
	v_mfma_f32_16x16x8_xf32 a[12:15], v[26:27], v[30:31], a[12:15]
	ds_read_b64 v[26:27], v82 offset:160
	v_mfma_f32_16x16x8_xf32 a[8:11], v[36:37], v[30:31], a[8:11]
	v_mfma_f32_16x16x8_xf32 a[0:3], v[46:47], v[30:31], a[0:3]
	v_mfma_f32_16x16x8_xf32 a[4:7], v[54:55], v[30:31], a[4:7]
	;; [unrolled: 6-line block ×4, first 2 shown]
	s_waitcnt lgkmcnt(0)
	v_mfma_f32_16x16x8_xf32 a[12:15], v[12:13], v[14:15], a[12:15]
	v_mfma_f32_16x16x8_xf32 a[8:11], v[16:17], v[14:15], a[8:11]
	;; [unrolled: 1-line block ×4, first 2 shown]
	s_andn2_b64 exec, exec, s[8:9]
	s_cbranch_execnz .LBB80_4
; %bb.5:
	s_or_b64 exec, exec, s[8:9]
.LBB80_6:
	s_or_b64 exec, exec, s[24:25]
	v_mul_u32_u24_e32 v1, 0x208, v79
	v_lshlrev_b32_e32 v2, 2, v78
	v_or_b32_e32 v3, 12, v76
	v_add3_u32 v1, 0, v1, v2
	v_and_b32_e32 v2, 0x3f0, v76
	v_and_b32_e32 v3, 0x3fc, v3
	v_add_u32_e32 v2, v1, v2
	v_add_u32_e32 v1, v1, v3
	s_waitcnt lgkmcnt(0)
	s_barrier
	ds_write2_b32 v2, a12, a13 offset1:1
	ds_write_b32 v2, a14 offset:8
	ds_write_b32 v1, a15
	ds_write2_b32 v2, a8, a9 offset0:16 offset1:17
	ds_write_b32 v2, a10 offset:72
	ds_write_b32 v1, a11 offset:64
	ds_write2_b32 v2, a0, a1 offset0:32 offset1:33
	ds_write_b32 v2, a2 offset:136
	ds_write_b32 v1, a3 offset:128
	;; [unrolled: 3-line block ×3, first 2 shown]
	v_mul_u32_u24_e32 v1, 0x208, v77
	v_add3_u32 v6, 0, v0, v1
	s_waitcnt lgkmcnt(0)
	s_barrier
	ds_read2st64_b32 v[0:1], v6 offset1:1
	s_mul_hi_i32 s1, s15, s4
	s_mul_i32 s0, s15, s4
	s_lshl_b64 s[0:1], s[0:1], 2
	s_add_u32 s4, s6, s0
	s_waitcnt lgkmcnt(0)
	v_add_f32_e32 v0, 0, v0
	v_add_f32_e32 v7, v0, v1
	v_add_u32_e32 v0, 16, v6
	s_mul_i32 s0, s3, s11
	ds_read2st64_b32 v[0:1], v0 offset0:4 offset1:5
	s_addc_u32 s5, s7, s1
	s_ashr_i32 s1, s0, 31
	s_lshl_b64 s[0:1], s[0:1], 2
	s_add_u32 s0, s4, s0
	v_mul_lo_u32 v2, v77, s18
	s_addc_u32 s1, s5, s1
	v_add3_u32 v2, s2, v76, v2
	v_mov_b32_e32 v3, 0
	v_lshl_add_u64 v[4:5], v[2:3], 2, s[0:1]
	s_waitcnt lgkmcnt(0)
	v_add_f32_e32 v0, 0, v0
	global_store_dword v[4:5], v7, off
	v_add_f32_e32 v7, v0, v1
	v_add_u32_e32 v0, 32, v6
	ds_read2st64_b32 v[0:1], v0 offset0:8 offset1:9
	s_lshl_b32 s2, s18, 1
	v_add_u32_e32 v2, s2, v2
	v_lshl_add_u64 v[4:5], v[2:3], 2, s[0:1]
	v_add_u32_e32 v2, s2, v2
	s_waitcnt lgkmcnt(0)
	v_add_f32_e32 v0, 0, v0
	global_store_dword v[4:5], v7, off
	v_add_u32_e32 v4, 48, v6
	v_add_f32_e32 v7, v0, v1
	v_lshl_add_u64 v[0:1], v[2:3], 2, s[0:1]
	ds_read2st64_b32 v[4:5], v4 offset0:12 offset1:13
	global_store_dword v[0:1], v7, off
	v_add_u32_e32 v0, 64, v6
	ds_read2st64_b32 v[0:1], v0 offset0:16 offset1:17
	v_add_u32_e32 v2, s2, v2
	s_waitcnt lgkmcnt(1)
	v_add_f32_e32 v4, 0, v4
	v_add_f32_e32 v7, v4, v5
	v_lshl_add_u64 v[4:5], v[2:3], 2, s[0:1]
	s_waitcnt lgkmcnt(0)
	v_add_f32_e32 v0, 0, v0
	v_add_u32_e32 v2, s2, v2
	global_store_dword v[4:5], v7, off
	v_add_u32_e32 v4, 0x50, v6
	v_add_f32_e32 v7, v0, v1
	v_lshl_add_u64 v[0:1], v[2:3], 2, s[0:1]
	ds_read2st64_b32 v[4:5], v4 offset0:20 offset1:21
	global_store_dword v[0:1], v7, off
	v_add_u32_e32 v0, 0x60, v6
	ds_read2st64_b32 v[0:1], v0 offset0:24 offset1:25
	v_add_u32_e32 v2, s2, v2
	s_waitcnt lgkmcnt(1)
	v_add_f32_e32 v4, 0, v4
	v_add_f32_e32 v6, v4, v5
	v_lshl_add_u64 v[4:5], v[2:3], 2, s[0:1]
	s_waitcnt lgkmcnt(0)
	v_add_f32_e32 v0, 0, v0
	v_add_u32_e32 v2, s2, v2
	global_store_dword v[4:5], v6, off
	v_add_f32_e32 v4, v0, v1
	v_lshl_add_u64 v[0:1], v[2:3], 2, s[0:1]
	global_store_dword v[0:1], v4, off
	s_endpgm
	.section	.rodata,"a",@progbits
	.p2align	6, 0x0
	.amdhsa_kernel _ZL9mul_mat_fIfLi64ELi14ELi2ELb0EEvPKT_PKfPKiPfiiiiiiiiiiiiiiii
		.amdhsa_group_segment_fixed_size 0
		.amdhsa_private_segment_fixed_size 0
		.amdhsa_kernarg_size 96
		.amdhsa_user_sgpr_count 2
		.amdhsa_user_sgpr_dispatch_ptr 0
		.amdhsa_user_sgpr_queue_ptr 0
		.amdhsa_user_sgpr_kernarg_segment_ptr 1
		.amdhsa_user_sgpr_dispatch_id 0
		.amdhsa_user_sgpr_kernarg_preload_length 0
		.amdhsa_user_sgpr_kernarg_preload_offset 0
		.amdhsa_user_sgpr_private_segment_size 0
		.amdhsa_uses_dynamic_stack 0
		.amdhsa_enable_private_segment 0
		.amdhsa_system_sgpr_workgroup_id_x 1
		.amdhsa_system_sgpr_workgroup_id_y 1
		.amdhsa_system_sgpr_workgroup_id_z 1
		.amdhsa_system_sgpr_workgroup_info 0
		.amdhsa_system_vgpr_workitem_id 1
		.amdhsa_next_free_vgpr 136
		.amdhsa_next_free_sgpr 92
		.amdhsa_accum_offset 120
		.amdhsa_reserve_vcc 1
		.amdhsa_float_round_mode_32 0
		.amdhsa_float_round_mode_16_64 0
		.amdhsa_float_denorm_mode_32 3
		.amdhsa_float_denorm_mode_16_64 3
		.amdhsa_dx10_clamp 1
		.amdhsa_ieee_mode 1
		.amdhsa_fp16_overflow 0
		.amdhsa_tg_split 0
		.amdhsa_exception_fp_ieee_invalid_op 0
		.amdhsa_exception_fp_denorm_src 0
		.amdhsa_exception_fp_ieee_div_zero 0
		.amdhsa_exception_fp_ieee_overflow 0
		.amdhsa_exception_fp_ieee_underflow 0
		.amdhsa_exception_fp_ieee_inexact 0
		.amdhsa_exception_int_div_zero 0
	.end_amdhsa_kernel
	.section	.text._ZL9mul_mat_fIfLi64ELi14ELi2ELb0EEvPKT_PKfPKiPfiiiiiiiiiiiiiiii,"axG",@progbits,_ZL9mul_mat_fIfLi64ELi14ELi2ELb0EEvPKT_PKfPKiPfiiiiiiiiiiiiiiii,comdat
.Lfunc_end80:
	.size	_ZL9mul_mat_fIfLi64ELi14ELi2ELb0EEvPKT_PKfPKiPfiiiiiiiiiiiiiiii, .Lfunc_end80-_ZL9mul_mat_fIfLi64ELi14ELi2ELb0EEvPKT_PKfPKiPfiiiiiiiiiiiiiiii
                                        ; -- End function
	.section	.AMDGPU.csdata,"",@progbits
; Kernel info:
; codeLenInByte = 5212
; NumSgprs: 98
; NumVgprs: 120
; NumAgprs: 16
; TotalNumVgprs: 136
; ScratchSize: 0
; MemoryBound: 0
; FloatMode: 240
; IeeeMode: 1
; LDSByteSize: 0 bytes/workgroup (compile time only)
; SGPRBlocks: 12
; VGPRBlocks: 16
; NumSGPRsForWavesPerEU: 98
; NumVGPRsForWavesPerEU: 136
; AccumOffset: 120
; Occupancy: 3
; WaveLimiterHint : 0
; COMPUTE_PGM_RSRC2:SCRATCH_EN: 0
; COMPUTE_PGM_RSRC2:USER_SGPR: 2
; COMPUTE_PGM_RSRC2:TRAP_HANDLER: 0
; COMPUTE_PGM_RSRC2:TGID_X_EN: 1
; COMPUTE_PGM_RSRC2:TGID_Y_EN: 1
; COMPUTE_PGM_RSRC2:TGID_Z_EN: 1
; COMPUTE_PGM_RSRC2:TIDIG_COMP_CNT: 1
; COMPUTE_PGM_RSRC3_GFX90A:ACCUM_OFFSET: 29
; COMPUTE_PGM_RSRC3_GFX90A:TG_SPLIT: 0
	.section	.text._ZL13mul_mat_f_idsIfLi64ELi14ELi3EEvPKT_PKfPKiS6_S6_Pfiiiiiiiiiiiiii15HIP_vector_typeIjLj3EES9_,"axG",@progbits,_ZL13mul_mat_f_idsIfLi64ELi14ELi3EEvPKT_PKfPKiS6_S6_Pfiiiiiiiiiiiiii15HIP_vector_typeIjLj3EES9_,comdat
	.globl	_ZL13mul_mat_f_idsIfLi64ELi14ELi3EEvPKT_PKfPKiS6_S6_Pfiiiiiiiiiiiiii15HIP_vector_typeIjLj3EES9_ ; -- Begin function _ZL13mul_mat_f_idsIfLi64ELi14ELi3EEvPKT_PKfPKiS6_S6_Pfiiiiiiiiiiiiii15HIP_vector_typeIjLj3EES9_
	.p2align	8
	.type	_ZL13mul_mat_f_idsIfLi64ELi14ELi3EEvPKT_PKfPKiS6_S6_Pfiiiiiiiiiiiiii15HIP_vector_typeIjLj3EES9_,@function
_ZL13mul_mat_f_idsIfLi64ELi14ELi3EEvPKT_PKfPKiS6_S6_Pfiiiiiiiiiiiiii15HIP_vector_typeIjLj3EES9_: ; @_ZL13mul_mat_f_idsIfLi64ELi14ELi3EEvPKT_PKfPKiS6_S6_Pfiiiiiiiiiiiiii15HIP_vector_typeIjLj3EES9_
; %bb.0:
	s_load_dwordx2 s[6:7], s[0:1], 0x20
	s_mov_b32 s34, s3
	s_ashr_i32 s35, s3, 31
	s_lshl_b64 s[8:9], s[34:35], 2
	s_waitcnt lgkmcnt(0)
	s_add_u32 s6, s6, s8
	s_addc_u32 s7, s7, s9
	s_load_dwordx2 s[26:27], s[6:7], 0x0
	s_waitcnt lgkmcnt(0)
	s_sub_i32 s33, s27, s26
	s_add_i32 s3, s33, 13
	s_mul_hi_i32 s5, s3, 0x92492493
	s_add_i32 s5, s5, s3
	s_lshr_b32 s3, s5, 31
	s_ashr_i32 s5, s5, 3
	s_add_i32 s5, s5, s3
	s_cmp_ge_i32 s4, s5
	s_cbranch_scc1 .LBB81_65
; %bb.1:
	v_bfe_u32 v2, v0, 10, 10
	v_lshlrev_b32_e32 v68, 6, v2
	v_and_b32_e32 v3, 0x3ff, v0
	s_load_dwordx4 s[12:15], s[0:1], 0x30
	s_load_dwordx2 s[20:21], s[0:1], 0x40
	s_load_dwordx4 s[8:11], s[0:1], 0x4c
	s_load_dwordx4 s[16:19], s[0:1], 0x68
	s_load_dwordx2 s[24:25], s[0:1], 0x78
	v_add_u32_e32 v70, v68, v3
	s_ashr_i32 s27, s26, 31
	s_waitcnt lgkmcnt(0)
	v_cmp_le_i32_e32 vcc, s12, v70
	v_and_b32_e32 v69, 15, v3
                                        ; implicit-def: $sgpr3
	s_and_saveexec_b64 s[6:7], vcc
	s_xor_b64 s[6:7], exec, s[6:7]
; %bb.2:
	v_and_b32_e32 v69, 15, v3
	s_mov_b32 s3, 0
                                        ; implicit-def: $vgpr70
; %bb.3:
	s_or_saveexec_b64 s[28:29], s[6:7]
	s_load_dwordx2 s[22:23], s[0:1], 0x18
	s_load_dwordx2 s[6:7], s[0:1], 0x28
                                        ; implicit-def: $vgpr90 : SGPR spill to VGPR lane
	s_lshl_b32 s11, s2, 6
	s_mul_i32 s2, s4, 14
	v_accvgpr_write_b32 a0, s3
	v_accvgpr_write_b32 a1, s3
	s_waitcnt lgkmcnt(0)
	v_writelane_b32 v90, s6, 0
	v_accvgpr_write_b32 a2, s3
	v_accvgpr_write_b32 a3, s3
	;; [unrolled: 1-line block ×14, first 2 shown]
	v_writelane_b32 v90, s7, 1
	s_xor_b64 exec, exec, s[28:29]
	s_cbranch_execz .LBB81_49
; %bb.4:
	v_writelane_b32 v90, s28, 2
	s_movk_i32 s3, 0x1080
	v_mad_u32_u24 v0, v2, s3, 0
	v_writelane_b32 v90, s29, 3
	v_writelane_b32 v90, s22, 4
	v_lshrrev_b32_e32 v6, 1, v3
	v_lshlrev_b32_e32 v4, 2, v3
	v_writelane_b32 v90, s23, 5
	v_writelane_b32 v90, s24, 6
	s_load_dwordx4 s[4:7], s[0:1], 0x0
	s_load_dwordx2 s[22:23], s[0:1], 0x10
	v_writelane_b32 v90, s25, 7
	s_mul_i32 s0, s34, s8
	s_mul_i32 s24, s11, s15
	s_ashr_i32 s1, s0, 31
	s_ashr_i32 s25, s24, 31
	s_lshl_b64 s[24:25], s[24:25], 2
	s_lshl_b64 s[0:1], s[0:1], 2
	s_add_u32 s24, s0, s24
	v_writelane_b32 v90, s11, 8
	s_addc_u32 s25, s1, s25
	s_waitcnt lgkmcnt(0)
	s_add_u32 s0, s24, s4
	v_writelane_b32 v90, s26, 9
	s_addc_u32 s1, s25, s5
	v_mul_u32_u24_e32 v5, 0x108, v69
	v_writelane_b32 v90, s27, 10
	s_lshl_b64 s[26:27], s[26:27], 2
	s_add_u32 s8, s22, s26
	s_addc_u32 s11, s23, s27
	s_cmp_lt_i32 s2, s33
	s_cselect_b64 s[34:35], -1, 0
	s_ashr_i32 s3, s2, 31
	s_lshl_b64 s[22:23], s[2:3], 2
	s_add_u32 s36, s8, s22
	s_addc_u32 s37, s11, s23
	s_or_b32 s3, s2, 1
	s_cmp_lt_i32 s3, s33
	s_cselect_b64 s[38:39], -1, 0
	s_add_i32 s3, s2, 2
	s_cmp_lt_i32 s3, s33
	s_cselect_b64 s[40:41], -1, 0
	s_add_i32 s3, s2, 3
	s_cmp_lt_i32 s3, s33
	v_and_b32_e32 v6, 0x1f8, v6
	s_cselect_b64 s[42:43], -1, 0
	s_add_i32 s3, s2, 4
	v_mov_b32_e32 v1, 0
	v_add_u32_e32 v71, v0, v4
	v_add3_u32 v72, v0, v5, v6
	s_cmp_lt_i32 s3, s33
	v_lshlrev_b32_e32 v0, 8, v2
	s_cselect_b64 s[44:45], -1, 0
	s_add_i32 s3, s2, 5
	v_lshl_add_u64 v[6:7], s[24:25], 0, v[0:1]
	v_mov_b32_e32 v5, v1
	s_cmp_lt_i32 s3, s33
	v_lshl_add_u64 v[0:1], v[6:7], 0, v[4:5]
	s_cselect_b64 s[46:47], -1, 0
	s_add_i32 s3, s2, 6
	v_lshl_add_u64 v[0:1], s[4:5], 0, v[0:1]
	s_mul_i32 s4, s15, 3
	s_cmp_lt_i32 s3, s33
	v_writelane_b32 v90, s4, 11
	s_mul_i32 s4, s15, 5
	s_cselect_b64 s[48:49], -1, 0
	s_add_i32 s3, s2, 7
	v_writelane_b32 v90, s4, 12
	s_mul_i32 s4, s15, 6
	s_cmp_lt_i32 s3, s33
	v_writelane_b32 v90, s4, 13
	s_mul_i32 s4, s15, 7
	s_cselect_b64 s[50:51], -1, 0
	s_add_i32 s3, s2, 8
	v_writelane_b32 v90, s4, 14
	s_mul_i32 s4, s15, 9
	s_cmp_lt_i32 s3, s33
	v_writelane_b32 v90, s4, 15
	s_mul_i32 s4, s15, 10
	s_cselect_b64 s[52:53], -1, 0
	s_add_i32 s3, s2, 9
	v_writelane_b32 v90, s4, 16
	s_mul_i32 s4, s15, 11
	s_cmp_lt_i32 s3, s33
	v_writelane_b32 v90, s4, 17
	s_mul_i32 s4, s15, 12
	s_cselect_b64 s[54:55], -1, 0
	s_add_i32 s3, s2, 10
	v_writelane_b32 v90, s4, 18
	s_mul_i32 s4, s15, 13
	s_cmp_lt_i32 s3, s33
	v_writelane_b32 v90, s4, 19
	s_mul_i32 s4, s15, 14
	s_cselect_b64 s[56:57], -1, 0
	s_add_i32 s3, s2, 11
	v_writelane_b32 v90, s4, 20
	s_mul_i32 s4, s15, 15
	s_cmp_lt_i32 s3, s33
	v_writelane_b32 v90, s4, 21
	s_mul_i32 s4, s15, 17
	s_cselect_b64 s[58:59], -1, 0
	s_add_i32 s3, s2, 12
	v_writelane_b32 v90, s4, 22
	s_mul_i32 s4, s15, 18
	s_cmp_lt_i32 s3, s33
	v_writelane_b32 v90, s4, 23
	s_mul_i32 s4, s15, 19
	s_cselect_b64 s[60:61], -1, 0
	s_add_i32 s3, s2, 13
	v_writelane_b32 v90, s4, 24
	s_mul_i32 s4, s15, 20
	s_cmp_lt_i32 s3, s33
	v_writelane_b32 v90, s4, 25
	s_mul_i32 s4, s15, 21
	s_cselect_b64 s[62:63], -1, 0
	s_ashr_i32 s23, s15, 31
	s_mov_b32 s22, s15
	v_writelane_b32 v90, s4, 26
	s_mul_i32 s4, s15, 22
	s_lshl_b64 s[64:65], s[22:23], 2
	s_lshl_b32 s3, s15, 1
	s_lshl_b32 s68, s15, 2
	;; [unrolled: 1-line block ×4, first 2 shown]
	v_writelane_b32 v90, s4, 27
	s_mul_i32 s87, s15, 23
	s_mul_i32 s88, s15, 24
	;; [unrolled: 1-line block ×5, first 2 shown]
	v_mov_b32_e32 v73, 0
	v_accvgpr_write_b32 a15, 0
	v_accvgpr_write_b32 a14, 0
	;; [unrolled: 1-line block ×16, first 2 shown]
	s_mul_i32 s92, s15, 28
	s_mul_i32 s93, s15, 29
	;; [unrolled: 1-line block ×4, first 2 shown]
	s_lshl_b32 s96, s15, 5
	s_mul_i32 s97, s15, 33
	s_mul_i32 s98, s15, 34
	;; [unrolled: 1-line block ×31, first 2 shown]
	s_mov_b64 s[4:5], 0
	s_mov_b64 s[66:67], 0x300
	s_branch .LBB81_6
.LBB81_5:                               ;   in Loop: Header=BB81_6 Depth=1
	s_waitcnt vmcnt(0)
	ds_write2_b32 v71, v74, v76 offset1:66
	ds_write2_b32 v71, v75, v78 offset0:132 offset1:198
	v_add_u32_e32 v74, 0x400, v71
	ds_write2_b32 v74, v77, v80 offset0:8 offset1:74
	ds_write2_b32 v74, v79, v82 offset0:140 offset1:206
	v_add_u32_e32 v74, 0x800, v71
	ds_write2_b32 v74, v81, v84 offset0:16 offset1:82
	;; [unrolled: 3-line block ×3, first 2 shown]
	ds_write2_b32 v74, v73, v73 offset0:156 offset1:222
	ds_read2_b64 v[74:77], v72 offset1:4
	v_add_u32_e32 v70, 0xc0, v70
	s_waitcnt lgkmcnt(0)
	v_mfma_f32_16x16x8_xf32 a[0:3], v[10:11], v[74:75], a[0:3]
	v_cmp_le_i32_e32 vcc, s12, v70
	v_lshl_add_u64 v[0:1], v[0:1], 0, s[66:67]
	s_or_b64 s[4:5], vcc, s[4:5]
	v_mfma_f32_16x16x8_xf32 a[4:7], v[36:37], v[74:75], a[4:7]
	v_mfma_f32_16x16x8_xf32 a[8:11], v[50:51], v[74:75], a[8:11]
	;; [unrolled: 1-line block ×4, first 2 shown]
	ds_read2_b64 v[8:11], v72 offset0:8 offset1:12
	v_mfma_f32_16x16x8_xf32 a[4:7], v[32:33], v[76:77], a[4:7]
	v_mfma_f32_16x16x8_xf32 a[8:11], v[48:49], v[76:77], a[8:11]
	v_mfma_f32_16x16x8_xf32 a[12:15], v[64:65], v[76:77], a[12:15]
	s_waitcnt lgkmcnt(0)
	v_mfma_f32_16x16x8_xf32 a[0:3], v[6:7], v[8:9], a[0:3]
	v_mfma_f32_16x16x8_xf32 a[4:7], v[30:31], v[8:9], a[4:7]
	v_mfma_f32_16x16x8_xf32 a[8:11], v[46:47], v[8:9], a[8:11]
	v_mfma_f32_16x16x8_xf32 a[12:15], v[60:61], v[8:9], a[12:15]
	v_mfma_f32_16x16x8_xf32 a[0:3], v[4:5], v[10:11], a[0:3]
	ds_read2_b64 v[4:7], v72 offset0:16 offset1:20
	v_mfma_f32_16x16x8_xf32 a[4:7], v[28:29], v[10:11], a[4:7]
	v_mfma_f32_16x16x8_xf32 a[8:11], v[44:45], v[10:11], a[8:11]
	;; [unrolled: 1-line block ×3, first 2 shown]
	s_waitcnt lgkmcnt(0)
	v_mfma_f32_16x16x8_xf32 a[0:3], v[18:19], v[4:5], a[0:3]
	v_mfma_f32_16x16x8_xf32 a[4:7], v[26:27], v[4:5], a[4:7]
	;; [unrolled: 1-line block ×8, first 2 shown]
	ds_read2_b64 v[4:7], v72 offset0:24 offset1:28
	s_waitcnt lgkmcnt(0)
	v_mfma_f32_16x16x8_xf32 a[0:3], v[14:15], v[4:5], a[0:3]
	v_mfma_f32_16x16x8_xf32 a[4:7], v[22:23], v[4:5], a[4:7]
	;; [unrolled: 1-line block ×8, first 2 shown]
	s_andn2_b64 exec, exec, s[4:5]
	s_cbranch_execz .LBB81_48
.LBB81_6:                               ; =>This Inner Loop Header: Depth=1
	v_readlane_b32 s86, v90, 11
	v_lshl_add_u64 v[4:5], v[0:1], 0, s[64:65]
	global_load_dword v20, v[0:1], off
	global_load_dword v21, v[4:5], off
	v_add_u32_e32 v6, s86, v70
	v_readlane_b32 s86, v90, 12
	v_add_u32_e32 v4, s3, v70
	v_add_u32_e32 v16, s72, v70
	;; [unrolled: 1-line block ×3, first 2 shown]
	v_readlane_b32 s86, v90, 13
	v_ashrrev_i32_e32 v5, 31, v4
	v_add_u32_e32 v8, s68, v70
	v_add_u32_e32 v12, s86, v70
	v_readlane_b32 s86, v90, 14
	v_ashrrev_i32_e32 v17, 31, v16
	v_lshl_add_u64 v[4:5], v[4:5], 2, s[0:1]
	v_add_u32_e32 v14, s86, v70
	v_readlane_b32 s86, v90, 15
	v_ashrrev_i32_e32 v7, 31, v6
	v_ashrrev_i32_e32 v9, 31, v8
	v_add_u32_e32 v18, s86, v70
	v_ashrrev_i32_e32 v11, 31, v10
	v_ashrrev_i32_e32 v13, 31, v12
	;; [unrolled: 1-line block ×3, first 2 shown]
	v_lshl_add_u64 v[16:17], v[16:17], 2, s[0:1]
	v_ashrrev_i32_e32 v19, 31, v18
	v_readlane_b32 s86, v90, 16
	v_lshl_add_u64 v[6:7], v[6:7], 2, s[0:1]
	v_lshl_add_u64 v[8:9], v[8:9], 2, s[0:1]
	;; [unrolled: 1-line block ×6, first 2 shown]
	global_load_dword v22, v[4:5], off
	global_load_dword v23, v[6:7], off
	;; [unrolled: 1-line block ×6, first 2 shown]
	s_nop 0
	global_load_dword v16, v[16:17], off
	s_nop 0
	global_load_dword v17, v[18:19], off
	v_add_u32_e32 v4, s86, v70
	v_readlane_b32 s86, v90, 17
	v_ashrrev_i32_e32 v5, 31, v4
	v_lshl_add_u64 v[4:5], v[4:5], 2, s[0:1]
	v_add_u32_e32 v6, s86, v70
	v_readlane_b32 s86, v90, 18
	v_ashrrev_i32_e32 v7, 31, v6
	v_lshl_add_u64 v[6:7], v[6:7], 2, s[0:1]
	;; [unrolled: 4-line block ×5, first 2 shown]
	v_add_u32_e32 v14, s86, v70
	v_ashrrev_i32_e32 v15, 31, v14
	v_lshl_add_u64 v[14:15], v[14:15], 2, s[0:1]
	global_load_dword v18, v[4:5], off
	global_load_dword v19, v[6:7], off
	s_nop 0
	global_load_dword v8, v[8:9], off
	s_nop 0
	;; [unrolled: 2-line block ×3, first 2 shown]
	global_load_dword v10, v[12:13], off
	global_load_dword v11, v[14:15], off
	v_readlane_b32 s86, v90, 22
	v_add_u32_e32 v4, s80, v70
	v_ashrrev_i32_e32 v5, 31, v4
	v_add_u32_e32 v6, s86, v70
	v_readlane_b32 s86, v90, 23
	v_ashrrev_i32_e32 v7, 31, v6
	v_lshl_add_u64 v[4:5], v[4:5], 2, s[0:1]
	v_add_u32_e32 v12, s86, v70
	v_readlane_b32 s86, v90, 24
	v_lshl_add_u64 v[6:7], v[6:7], 2, s[0:1]
	global_load_dword v28, v[4:5], off
	global_load_dword v29, v[6:7], off
	v_add_u32_e32 v14, s86, v70
	v_readlane_b32 s86, v90, 25
	v_ashrrev_i32_e32 v13, 31, v12
	v_lshl_add_u64 v[12:13], v[12:13], 2, s[0:1]
	v_ashrrev_i32_e32 v15, 31, v14
	v_lshl_add_u64 v[14:15], v[14:15], 2, s[0:1]
	s_andn2_b64 vcc, exec, s[34:35]
	s_waitcnt vmcnt(17)
	ds_write_b32 v71, v20
	s_waitcnt vmcnt(16)
	ds_write_b32 v71, v21 offset:264
	s_waitcnt vmcnt(15)
	ds_write_b32 v71, v22 offset:528
	;; [unrolled: 2-line block ×15, first 2 shown]
	v_add_u32_e32 v16, s86, v70
	v_readlane_b32 s86, v90, 26
	v_add_u32_e32 v22, s87, v70
	v_add_u32_e32 v24, s88, v70
	;; [unrolled: 1-line block ×3, first 2 shown]
	v_readlane_b32 s86, v90, 27
	v_add_u32_e32 v26, s89, v70
	v_ashrrev_i32_e32 v17, 31, v16
	v_add_u32_e32 v20, s86, v70
	v_ashrrev_i32_e32 v19, 31, v18
	v_ashrrev_i32_e32 v21, 31, v20
	;; [unrolled: 1-line block ×5, first 2 shown]
	ds_read_b64 v[10:11], v72
	ds_read_b64 v[8:9], v72 offset:32
	ds_read_b64 v[6:7], v72 offset:64
	;; [unrolled: 1-line block ×3, first 2 shown]
	v_lshl_add_u64 v[16:17], v[16:17], 2, s[0:1]
	v_lshl_add_u64 v[18:19], v[18:19], 2, s[0:1]
	v_lshl_add_u64 v[20:21], v[20:21], 2, s[0:1]
	v_lshl_add_u64 v[22:23], v[22:23], 2, s[0:1]
	v_lshl_add_u64 v[24:25], v[24:25], 2, s[0:1]
	v_lshl_add_u64 v[26:27], v[26:27], 2, s[0:1]
	global_load_dword v30, v[12:13], off
	global_load_dword v31, v[14:15], off
	global_load_dword v32, v[16:17], off
	global_load_dword v33, v[18:19], off
	global_load_dword v34, v[20:21], off
	global_load_dword v35, v[22:23], off
	global_load_dword v36, v[24:25], off
	global_load_dword v37, v[26:27], off
	v_add_u32_e32 v12, s90, v70
	v_ashrrev_i32_e32 v13, 31, v12
	v_add_u32_e32 v14, s91, v70
	v_add_u32_e32 v16, s92, v70
	v_add_u32_e32 v18, s93, v70
	v_add_u32_e32 v20, s94, v70
	v_add_u32_e32 v22, s95, v70
	v_add_u32_e32 v24, s96, v70
	v_add_u32_e32 v26, s97, v70
	v_lshl_add_u64 v[12:13], v[12:13], 2, s[0:1]
	v_ashrrev_i32_e32 v15, 31, v14
	v_ashrrev_i32_e32 v17, 31, v16
	v_ashrrev_i32_e32 v19, 31, v18
	v_ashrrev_i32_e32 v21, 31, v20
	v_ashrrev_i32_e32 v23, 31, v22
	v_ashrrev_i32_e32 v25, 31, v24
	v_ashrrev_i32_e32 v27, 31, v26
	v_lshl_add_u64 v[14:15], v[14:15], 2, s[0:1]
	v_lshl_add_u64 v[16:17], v[16:17], 2, s[0:1]
	v_lshl_add_u64 v[18:19], v[18:19], 2, s[0:1]
	v_lshl_add_u64 v[20:21], v[20:21], 2, s[0:1]
	v_lshl_add_u64 v[22:23], v[22:23], 2, s[0:1]
	v_lshl_add_u64 v[24:25], v[24:25], 2, s[0:1]
	v_lshl_add_u64 v[26:27], v[26:27], 2, s[0:1]
	global_load_dword v38, v[12:13], off
	global_load_dword v39, v[14:15], off
	global_load_dword v40, v[16:17], off
	global_load_dword v41, v[18:19], off
	global_load_dword v42, v[20:21], off
	global_load_dword v43, v[22:23], off
	global_load_dword v44, v[24:25], off
	global_load_dword v45, v[26:27], off
	v_add_u32_e32 v12, s98, v70
	v_ashrrev_i32_e32 v13, 31, v12
	v_add_u32_e32 v14, s99, v70
	v_add_u32_e32 v16, s24, v70
	v_add_u32_e32 v18, s25, v70
	v_add_u32_e32 v20, s28, v70
	v_add_u32_e32 v22, s29, v70
	v_add_u32_e32 v24, s22, v70
	v_add_u32_e32 v26, s23, v70
	v_lshl_add_u64 v[12:13], v[12:13], 2, s[0:1]
	v_ashrrev_i32_e32 v15, 31, v14
	v_ashrrev_i32_e32 v17, 31, v16
	v_ashrrev_i32_e32 v19, 31, v18
	v_ashrrev_i32_e32 v21, 31, v20
	v_ashrrev_i32_e32 v23, 31, v22
	v_ashrrev_i32_e32 v25, 31, v24
	v_ashrrev_i32_e32 v27, 31, v26
	v_lshl_add_u64 v[14:15], v[14:15], 2, s[0:1]
	;; [unrolled: 32-line block ×4, first 2 shown]
	v_lshl_add_u64 v[16:17], v[16:17], 2, s[0:1]
	v_lshl_add_u64 v[18:19], v[18:19], 2, s[0:1]
	;; [unrolled: 1-line block ×6, first 2 shown]
	global_load_dword v62, v[12:13], off
	global_load_dword v63, v[14:15], off
	;; [unrolled: 1-line block ×8, first 2 shown]
	v_add_u32_e32 v12, s81, v70
	v_ashrrev_i32_e32 v13, 31, v12
	v_add_u32_e32 v14, s82, v70
	v_add_u32_e32 v16, s83, v70
	;; [unrolled: 1-line block ×5, first 2 shown]
	v_lshl_add_u64 v[12:13], v[12:13], 2, s[0:1]
	v_ashrrev_i32_e32 v15, 31, v14
	v_ashrrev_i32_e32 v17, 31, v16
	;; [unrolled: 1-line block ×5, first 2 shown]
	v_lshl_add_u64 v[14:15], v[14:15], 2, s[0:1]
	v_lshl_add_u64 v[16:17], v[16:17], 2, s[0:1]
	;; [unrolled: 1-line block ×5, first 2 shown]
	global_load_dword v76, v[12:13], off
	global_load_dword v77, v[14:15], off
	;; [unrolled: 1-line block ×6, first 2 shown]
	ds_read_b64 v[18:19], v72 offset:128
	ds_read_b64 v[16:17], v72 offset:160
	ds_read_b64 v[14:15], v72 offset:192
	ds_read_b64 v[12:13], v72 offset:224
	s_waitcnt vmcnt(47)
	ds_write_b32 v71, v28
	s_waitcnt vmcnt(46)
	ds_write_b32 v71, v29 offset:264
	s_waitcnt vmcnt(45)
	ds_write_b32 v71, v30 offset:528
	s_waitcnt vmcnt(44)
	ds_write_b32 v71, v31 offset:792
	s_waitcnt vmcnt(43)
	ds_write_b32 v71, v32 offset:1056
	s_waitcnt vmcnt(42)
	ds_write_b32 v71, v33 offset:1320
	s_waitcnt vmcnt(41)
	ds_write_b32 v71, v34 offset:1584
	s_waitcnt vmcnt(40)
	ds_write_b32 v71, v35 offset:1848
	s_waitcnt vmcnt(39)
	ds_write_b32 v71, v36 offset:2112
	s_waitcnt vmcnt(38)
	ds_write_b32 v71, v37 offset:2376
	s_waitcnt vmcnt(37)
	ds_write_b32 v71, v38 offset:2640
	s_waitcnt vmcnt(36)
	ds_write_b32 v71, v39 offset:2904
	s_waitcnt vmcnt(35)
	ds_write_b32 v71, v40 offset:3168
	s_waitcnt vmcnt(34)
	ds_write_b32 v71, v41 offset:3432
	s_waitcnt vmcnt(33)
	ds_write_b32 v71, v42 offset:3696
	s_waitcnt vmcnt(32)
	ds_write_b32 v71, v43 offset:3960
	ds_read_b64 v[36:37], v72
	ds_read_b64 v[32:33], v72 offset:32
	ds_read_b64 v[30:31], v72 offset:64
	ds_read_b64 v[28:29], v72 offset:96
	ds_read_b64 v[26:27], v72 offset:128
	ds_read_b64 v[24:25], v72 offset:160
	ds_read_b64 v[22:23], v72 offset:192
	ds_read_b64 v[20:21], v72 offset:224
	s_waitcnt vmcnt(31)
	ds_write_b32 v71, v44
	s_waitcnt vmcnt(30)
	ds_write_b32 v71, v45 offset:264
	s_waitcnt vmcnt(29)
	ds_write_b32 v71, v46 offset:528
	s_waitcnt vmcnt(28)
	ds_write_b32 v71, v47 offset:792
	s_waitcnt vmcnt(27)
	ds_write_b32 v71, v48 offset:1056
	s_waitcnt vmcnt(26)
	ds_write_b32 v71, v49 offset:1320
	s_waitcnt vmcnt(25)
	ds_write_b32 v71, v50 offset:1584
	s_waitcnt vmcnt(24)
	ds_write_b32 v71, v51 offset:1848
	s_waitcnt vmcnt(23)
	ds_write_b32 v71, v52 offset:2112
	s_waitcnt vmcnt(22)
	ds_write_b32 v71, v53 offset:2376
	s_waitcnt vmcnt(21)
	ds_write_b32 v71, v54 offset:2640
	s_waitcnt vmcnt(20)
	ds_write_b32 v71, v55 offset:2904
	s_waitcnt vmcnt(19)
	ds_write_b32 v71, v56 offset:3168
	s_waitcnt vmcnt(18)
	ds_write_b32 v71, v57 offset:3432
	s_waitcnt vmcnt(17)
	ds_write_b32 v71, v58 offset:3696
	s_waitcnt vmcnt(16)
	ds_write_b32 v71, v59 offset:3960
	ds_read_b64 v[50:51], v72
	ds_read_b64 v[48:49], v72 offset:32
	ds_read_b64 v[46:47], v72 offset:64
	ds_read_b64 v[44:45], v72 offset:96
	;; [unrolled: 40-line block ×3, first 2 shown]
	ds_read_b64 v[62:63], v72 offset:128
	ds_read_b64 v[58:59], v72 offset:160
	;; [unrolled: 1-line block ×4, first 2 shown]
	v_mov_b32_e32 v74, 0
	s_cbranch_vccnz .LBB81_9
; %bb.7:                                ;   in Loop: Header=BB81_6 Depth=1
	s_load_dword vcc_lo, s[36:37], 0x0
	v_mov_b32_e32 v74, 0
	s_waitcnt lgkmcnt(0)
	s_mul_hi_u32 vcc_hi, vcc_lo, s16
	s_add_i32 vcc_hi, vcc_lo, vcc_hi
	s_lshr_b32 s86, vcc_hi, s17
	s_cmp_ge_i32 s86, s13
	s_cbranch_scc1 .LBB81_9
; %bb.8:                                ;   in Loop: Header=BB81_6 Depth=1
	s_mul_i32 vcc_hi, s86, s18
	s_sub_i32 vcc_lo, vcc_lo, vcc_hi
	s_mul_i32 vcc_lo, vcc_lo, s9
	s_mul_i32 s86, s86, s20
	s_add_i32 s86, s86, vcc_lo
	v_add_u32_e32 v74, s86, v70
	v_ashrrev_i32_e32 v75, 31, v74
	v_lshl_add_u64 v[74:75], v[74:75], 2, s[6:7]
	global_load_dword v74, v[74:75], off
.LBB81_9:                               ;   in Loop: Header=BB81_6 Depth=1
	s_andn2_b64 vcc, exec, s[38:39]
	v_mov_b32_e32 v75, 0
	v_mov_b32_e32 v76, 0
	s_cbranch_vccnz .LBB81_12
; %bb.10:                               ;   in Loop: Header=BB81_6 Depth=1
	s_load_dword vcc_lo, s[36:37], 0x4
	v_mov_b32_e32 v76, 0
	s_waitcnt lgkmcnt(0)
	s_mul_hi_u32 s86, vcc_lo, s16
	s_add_i32 s86, vcc_lo, s86
	s_lshr_b32 vcc_hi, s86, s17
	s_cmp_ge_i32 vcc_hi, s13
	s_cbranch_scc1 .LBB81_12
; %bb.11:                               ;   in Loop: Header=BB81_6 Depth=1
	s_mul_i32 s86, vcc_hi, s18
	s_sub_i32 s86, vcc_lo, s86
	s_mul_i32 s86, s86, s9
	s_mul_i32 vcc_lo, vcc_hi, s20
	s_add_i32 vcc_lo, vcc_lo, s86
	v_add_u32_e32 v76, vcc_lo, v70
	v_ashrrev_i32_e32 v77, 31, v76
	v_lshl_add_u64 v[76:77], v[76:77], 2, s[6:7]
	global_load_dword v76, v[76:77], off
.LBB81_12:                              ;   in Loop: Header=BB81_6 Depth=1
	s_andn2_b64 vcc, exec, s[40:41]
	s_cbranch_vccnz .LBB81_15
; %bb.13:                               ;   in Loop: Header=BB81_6 Depth=1
	s_load_dword vcc_lo, s[36:37], 0x8
	v_mov_b32_e32 v75, 0
	s_waitcnt lgkmcnt(0)
	s_mul_hi_u32 s86, vcc_lo, s16
	s_add_i32 s86, vcc_lo, s86
	s_lshr_b32 vcc_hi, s86, s17
	s_cmp_ge_i32 vcc_hi, s13
	s_cbranch_scc1 .LBB81_15
; %bb.14:                               ;   in Loop: Header=BB81_6 Depth=1
	s_mul_i32 s86, vcc_hi, s18
	s_sub_i32 s86, vcc_lo, s86
	s_mul_i32 s86, s86, s9
	s_mul_i32 vcc_lo, vcc_hi, s20
	s_add_i32 vcc_lo, vcc_lo, s86
	v_add_u32_e32 v78, vcc_lo, v70
	v_ashrrev_i32_e32 v79, 31, v78
	v_lshl_add_u64 v[78:79], v[78:79], 2, s[6:7]
	global_load_dword v75, v[78:79], off
.LBB81_15:                              ;   in Loop: Header=BB81_6 Depth=1
	s_andn2_b64 vcc, exec, s[42:43]
	v_mov_b32_e32 v77, 0
	v_mov_b32_e32 v78, 0
	s_cbranch_vccnz .LBB81_18
; %bb.16:                               ;   in Loop: Header=BB81_6 Depth=1
	s_load_dword vcc_lo, s[36:37], 0xc
	v_mov_b32_e32 v78, 0
	s_waitcnt lgkmcnt(0)
	s_mul_hi_u32 s86, vcc_lo, s16
	s_add_i32 s86, vcc_lo, s86
	s_lshr_b32 vcc_hi, s86, s17
	s_cmp_ge_i32 vcc_hi, s13
	s_cbranch_scc1 .LBB81_18
; %bb.17:                               ;   in Loop: Header=BB81_6 Depth=1
	s_mul_i32 s86, vcc_hi, s18
	s_sub_i32 s86, vcc_lo, s86
	s_mul_i32 s86, s86, s9
	s_mul_i32 vcc_lo, vcc_hi, s20
	s_add_i32 vcc_lo, vcc_lo, s86
	v_add_u32_e32 v78, vcc_lo, v70
	v_ashrrev_i32_e32 v79, 31, v78
	v_lshl_add_u64 v[78:79], v[78:79], 2, s[6:7]
	global_load_dword v78, v[78:79], off
.LBB81_18:                              ;   in Loop: Header=BB81_6 Depth=1
	s_andn2_b64 vcc, exec, s[44:45]
	s_cbranch_vccnz .LBB81_21
; %bb.19:                               ;   in Loop: Header=BB81_6 Depth=1
	s_load_dword vcc_lo, s[36:37], 0x10
	v_mov_b32_e32 v77, 0
	s_waitcnt lgkmcnt(0)
	s_mul_hi_u32 s86, vcc_lo, s16
	s_add_i32 s86, vcc_lo, s86
	s_lshr_b32 vcc_hi, s86, s17
	s_cmp_ge_i32 vcc_hi, s13
	s_cbranch_scc1 .LBB81_21
; %bb.20:                               ;   in Loop: Header=BB81_6 Depth=1
	s_mul_i32 s86, vcc_hi, s18
	s_sub_i32 s86, vcc_lo, s86
	s_mul_i32 s86, s86, s9
	s_mul_i32 vcc_lo, vcc_hi, s20
	s_add_i32 vcc_lo, vcc_lo, s86
	v_add_u32_e32 v80, vcc_lo, v70
	v_ashrrev_i32_e32 v81, 31, v80
	v_lshl_add_u64 v[80:81], v[80:81], 2, s[6:7]
	global_load_dword v77, v[80:81], off
.LBB81_21:                              ;   in Loop: Header=BB81_6 Depth=1
	;; [unrolled: 46-line block ×6, first 2 shown]
	s_andn2_b64 vcc, exec, s[62:63]
	v_mov_b32_e32 v87, 0
	s_cbranch_vccnz .LBB81_5
; %bb.46:                               ;   in Loop: Header=BB81_6 Depth=1
	s_load_dword vcc_lo, s[36:37], 0x34
	v_mov_b32_e32 v87, 0
	s_waitcnt lgkmcnt(0)
	s_mul_hi_u32 s86, vcc_lo, s16
	s_add_i32 s86, vcc_lo, s86
	s_lshr_b32 vcc_hi, s86, s17
	s_cmp_ge_i32 vcc_hi, s13
	s_cbranch_scc1 .LBB81_5
; %bb.47:                               ;   in Loop: Header=BB81_6 Depth=1
	s_mul_i32 s86, vcc_hi, s18
	s_sub_i32 s86, vcc_lo, s86
	s_mul_i32 s86, s86, s9
	s_mul_i32 vcc_lo, vcc_hi, s20
	s_add_i32 vcc_lo, vcc_lo, s86
	v_add_u32_e32 v88, vcc_lo, v70
	v_ashrrev_i32_e32 v89, 31, v88
	v_lshl_add_u64 v[88:89], v[88:89], 2, s[6:7]
	global_load_dword v87, v[88:89], off
	s_branch .LBB81_5
.LBB81_48:
	s_or_b64 exec, exec, s[4:5]
	v_readlane_b32 s24, v90, 6
	v_readlane_b32 s26, v90, 9
	;; [unrolled: 1-line block ×9, first 2 shown]
.LBB81_49:
	s_or_b64 exec, exec, s[28:29]
	s_lshl_b64 s[0:1], s[26:27], 2
	v_mul_u32_u24_e32 v0, 0x308, v69
	v_lshlrev_b32_e32 v1, 2, v68
	v_or_b32_e32 v4, 12, v3
	s_add_u32 s4, s22, s0
	v_add3_u32 v0, 0, v0, v1
	v_and_b32_e32 v1, 0x3f0, v3
	v_and_b32_e32 v4, 0x3fc, v4
	s_addc_u32 s5, s23, s1
	v_add_u32_e32 v1, v0, v1
	v_add_u32_e32 v0, v0, v4
	s_barrier
	ds_write2_b32 v1, a0, a1 offset1:1
	ds_write_b32 v1, a2 offset:8
	ds_write_b32 v0, a3
	ds_write2_b32 v1, a4, a5 offset0:16 offset1:17
	ds_write_b32 v1, a6 offset:72
	ds_write_b32 v0, a7 offset:64
	ds_write2_b32 v1, a8, a9 offset0:32 offset1:33
	ds_write_b32 v1, a10 offset:136
	ds_write_b32 v0, a11 offset:128
	;; [unrolled: 3-line block ×3, first 2 shown]
	s_cmp_gt_i32 s14, 0
	v_add_u32_e32 v0, s2, v2
	s_cselect_b64 s[6:7], -1, 0
	v_cmp_gt_i32_e64 s[0:1], s33, v0
	v_cmp_gt_u32_e32 vcc, 14, v2
	s_and_b64 s[0:1], s[6:7], s[0:1]
	v_lshl_add_u32 v5, v3, 2, 0
	v_add_u32_e32 v4, s11, v3
	v_mul_u32_u24_e32 v6, 0x308, v2
	s_and_b64 s[8:9], vcc, s[0:1]
	s_waitcnt lgkmcnt(0)
	s_barrier
	s_and_saveexec_b64 s[0:1], s[8:9]
	v_readlane_b32 s14, v90, 0
	v_readlane_b32 s15, v90, 1
	s_cbranch_execz .LBB81_52
; %bb.50:
	v_ashrrev_i32_e32 v1, 31, v0
	v_lshl_add_u64 v[8:9], v[0:1], 2, s[4:5]
	global_load_dword v3, v[8:9], off
	s_waitcnt vmcnt(0)
	v_mul_hi_u32 v1, v3, s19
	v_add_u32_e32 v1, v3, v1
	v_lshrrev_b32_e32 v1, s24, v1
	v_cmp_gt_i32_e32 vcc, s13, v1
	s_and_b64 exec, exec, vcc
	s_cbranch_execz .LBB81_52
; %bb.51:
	v_add_u32_e32 v7, v5, v6
	ds_read2st64_b32 v[8:9], v7 offset1:1
	ds_read_b32 v7, v7 offset:512
	v_mul_lo_u32 v10, v1, s25
	v_sub_u32_e32 v3, v3, v10
	v_mul_lo_u32 v3, v3, s10
	s_waitcnt lgkmcnt(1)
	v_add_f32_e32 v8, 0, v8
	v_add_f32_e32 v8, v8, v9
	v_mul_lo_u32 v1, v1, s21
	s_waitcnt lgkmcnt(0)
	v_add_f32_e32 v7, v8, v7
	v_add3_u32 v8, v4, v1, v3
	v_mov_b32_e32 v9, 0
	v_lshl_add_u64 v[8:9], v[8:9], 2, s[14:15]
	global_store_dword v[8:9], v7, off
.LBB81_52:
	s_or_b64 exec, exec, s[0:1]
	v_add_u32_e32 v1, 3, v0
	v_cmp_gt_i32_e64 s[0:1], s33, v1
	v_cmp_gt_u32_e32 vcc, 11, v2
	s_and_b64 s[0:1], s[6:7], s[0:1]
	s_and_b64 s[8:9], vcc, s[0:1]
	s_and_saveexec_b64 s[0:1], s[8:9]
	s_cbranch_execz .LBB81_55
; %bb.53:
	s_ashr_i32 s3, s2, 31
	v_mov_b32_e32 v3, 0
	v_lshl_add_u64 v[8:9], v[2:3], 0, s[2:3]
	v_lshl_add_u64 v[8:9], v[8:9], 2, s[4:5]
	global_load_dword v7, v[8:9], off offset:12
	s_waitcnt vmcnt(0)
	v_mul_hi_u32 v1, v7, s19
	v_add_u32_e32 v1, v7, v1
	v_lshrrev_b32_e32 v1, s24, v1
	v_cmp_gt_i32_e32 vcc, s13, v1
	s_and_b64 exec, exec, vcc
	s_cbranch_execz .LBB81_55
; %bb.54:
	v_add_u32_e32 v10, v6, v5
	v_add_u32_e32 v8, 24, v10
	ds_read2st64_b32 v[8:9], v8 offset0:9 offset1:10
	ds_read_b32 v10, v10 offset:2840
	v_mul_lo_u32 v11, v1, s25
	v_sub_u32_e32 v7, v7, v11
	v_mul_lo_u32 v7, v7, s10
	s_waitcnt lgkmcnt(1)
	v_add_f32_e32 v8, 0, v8
	v_add_f32_e32 v8, v8, v9
	v_mul_lo_u32 v1, v1, s21
	s_waitcnt lgkmcnt(0)
	v_add_f32_e32 v10, v8, v10
	v_add3_u32 v8, v4, v1, v7
	v_mov_b32_e32 v9, v3
	v_lshl_add_u64 v[8:9], v[8:9], 2, s[14:15]
	global_store_dword v[8:9], v10, off
.LBB81_55:
	s_or_b64 exec, exec, s[0:1]
	v_add_u32_e32 v1, 6, v0
	v_cmp_gt_i32_e64 s[0:1], s33, v1
	v_cmp_gt_u32_e32 vcc, 8, v2
	s_and_b64 s[0:1], s[6:7], s[0:1]
	s_and_b64 s[8:9], vcc, s[0:1]
	s_and_saveexec_b64 s[0:1], s[8:9]
	s_cbranch_execz .LBB81_58
; %bb.56:
	s_ashr_i32 s3, s2, 31
	v_mov_b32_e32 v3, 0
	v_lshl_add_u64 v[8:9], v[2:3], 0, s[2:3]
	v_lshl_add_u64 v[8:9], v[8:9], 2, s[4:5]
	global_load_dword v7, v[8:9], off offset:24
	s_waitcnt vmcnt(0)
	v_mul_hi_u32 v1, v7, s19
	v_add_u32_e32 v1, v7, v1
	v_lshrrev_b32_e32 v1, s24, v1
	v_cmp_gt_i32_e32 vcc, s13, v1
	s_and_b64 exec, exec, vcc
	s_cbranch_execz .LBB81_58
; %bb.57:
	v_add_u32_e32 v10, v5, v6
	v_add_u32_e32 v8, 48, v10
	ds_read2st64_b32 v[8:9], v8 offset0:18 offset1:19
	ds_read_b32 v10, v10 offset:5168
	v_mul_lo_u32 v11, v1, s25
	v_sub_u32_e32 v7, v7, v11
	v_mul_lo_u32 v7, v7, s10
	s_waitcnt lgkmcnt(1)
	v_add_f32_e32 v8, 0, v8
	v_add_f32_e32 v8, v8, v9
	v_mul_lo_u32 v1, v1, s21
	s_waitcnt lgkmcnt(0)
	v_add_f32_e32 v10, v8, v10
	v_add3_u32 v8, v4, v1, v7
	v_mov_b32_e32 v9, v3
	v_lshl_add_u64 v[8:9], v[8:9], 2, s[14:15]
	global_store_dword v[8:9], v10, off
.LBB81_58:
	s_or_b64 exec, exec, s[0:1]
	v_add_u32_e32 v0, 9, v0
	v_cmp_gt_i32_e64 s[0:1], s33, v0
	v_cmp_gt_u32_e32 vcc, 5, v2
	s_and_b64 s[0:1], s[6:7], s[0:1]
	s_and_b64 s[8:9], vcc, s[0:1]
	s_and_saveexec_b64 s[0:1], s[8:9]
	s_cbranch_execz .LBB81_61
; %bb.59:
	s_ashr_i32 s3, s2, 31
	v_mov_b32_e32 v3, 0
	v_lshl_add_u64 v[0:1], v[2:3], 0, s[2:3]
	v_lshl_add_u64 v[0:1], v[0:1], 2, s[4:5]
	global_load_dword v1, v[0:1], off offset:36
	s_waitcnt vmcnt(0)
	v_mul_hi_u32 v0, v1, s19
	v_add_u32_e32 v0, v1, v0
	v_lshrrev_b32_e32 v0, s24, v0
	v_cmp_gt_i32_e32 vcc, s13, v0
	s_and_b64 exec, exec, vcc
	s_cbranch_execz .LBB81_61
; %bb.60:
	v_add_u32_e32 v8, v5, v6
	v_add_u32_e32 v6, 0x48, v8
	ds_read2st64_b32 v[6:7], v6 offset0:27 offset1:28
	ds_read_b32 v8, v8 offset:7496
	v_mul_lo_u32 v9, v0, s25
	v_sub_u32_e32 v1, v1, v9
	v_mul_lo_u32 v1, v1, s10
	s_waitcnt lgkmcnt(1)
	v_add_f32_e32 v6, 0, v6
	v_mul_lo_u32 v0, v0, s21
	v_add_f32_e32 v6, v6, v7
	v_add3_u32 v0, v4, v0, v1
	v_mov_b32_e32 v1, v3
	s_waitcnt lgkmcnt(0)
	v_add_f32_e32 v6, v6, v8
	v_lshl_add_u64 v[0:1], v[0:1], 2, s[14:15]
	global_store_dword v[0:1], v6, off
.LBB81_61:
	s_or_b64 exec, exec, s[0:1]
	v_cmp_gt_u32_e32 vcc, 2, v2
	s_and_saveexec_b64 s[0:1], vcc
	s_cbranch_execz .LBB81_65
; %bb.62:
	v_or_b32_e32 v0, 12, v2
	v_add_u32_e32 v1, s2, v0
	v_cmp_gt_i32_e32 vcc, s33, v1
	s_and_b64 s[0:1], s[6:7], vcc
	s_and_b64 exec, exec, s[0:1]
	s_cbranch_execz .LBB81_65
; %bb.63:
	s_ashr_i32 s3, s2, 31
	v_mov_b32_e32 v3, 0
	v_lshl_add_u64 v[6:7], v[2:3], 0, s[2:3]
	v_lshl_add_u64 v[6:7], v[6:7], 2, s[4:5]
	global_load_dword v2, v[6:7], off offset:48
	s_waitcnt vmcnt(0)
	v_mul_hi_u32 v1, v2, s19
	v_add_u32_e32 v1, v2, v1
	v_lshrrev_b32_e32 v1, s24, v1
	v_cmp_gt_i32_e32 vcc, s13, v1
	s_and_b64 exec, exec, vcc
	s_cbranch_execz .LBB81_65
; %bb.64:
	s_movk_i32 s0, 0x308
	v_mad_u32_u24 v0, v0, s0, v5
	ds_read2st64_b32 v[6:7], v0 offset1:1
	ds_read_b32 v0, v0 offset:512
	v_mul_lo_u32 v5, v1, s25
	v_sub_u32_e32 v2, v2, v5
	v_mul_lo_u32 v2, v2, s10
	s_waitcnt lgkmcnt(1)
	v_add_f32_e32 v5, 0, v6
	v_add_f32_e32 v5, v5, v7
	s_waitcnt lgkmcnt(0)
	v_add_f32_e32 v5, v5, v0
	v_mul_lo_u32 v0, v1, s21
	v_add3_u32 v2, v4, v0, v2
	v_lshl_add_u64 v[0:1], v[2:3], 2, s[14:15]
	global_store_dword v[0:1], v5, off
.LBB81_65:
	s_endpgm
	.section	.rodata,"a",@progbits
	.p2align	6, 0x0
	.amdhsa_kernel _ZL13mul_mat_f_idsIfLi64ELi14ELi3EEvPKT_PKfPKiS6_S6_Pfiiiiiiiiiiiiii15HIP_vector_typeIjLj3EES9_
		.amdhsa_group_segment_fixed_size 0
		.amdhsa_private_segment_fixed_size 0
		.amdhsa_kernarg_size 128
		.amdhsa_user_sgpr_count 2
		.amdhsa_user_sgpr_dispatch_ptr 0
		.amdhsa_user_sgpr_queue_ptr 0
		.amdhsa_user_sgpr_kernarg_segment_ptr 1
		.amdhsa_user_sgpr_dispatch_id 0
		.amdhsa_user_sgpr_kernarg_preload_length 0
		.amdhsa_user_sgpr_kernarg_preload_offset 0
		.amdhsa_user_sgpr_private_segment_size 0
		.amdhsa_uses_dynamic_stack 0
		.amdhsa_enable_private_segment 0
		.amdhsa_system_sgpr_workgroup_id_x 1
		.amdhsa_system_sgpr_workgroup_id_y 1
		.amdhsa_system_sgpr_workgroup_id_z 1
		.amdhsa_system_sgpr_workgroup_info 0
		.amdhsa_system_vgpr_workitem_id 1
		.amdhsa_next_free_vgpr 108
		.amdhsa_next_free_sgpr 100
		.amdhsa_accum_offset 92
		.amdhsa_reserve_vcc 1
		.amdhsa_float_round_mode_32 0
		.amdhsa_float_round_mode_16_64 0
		.amdhsa_float_denorm_mode_32 3
		.amdhsa_float_denorm_mode_16_64 3
		.amdhsa_dx10_clamp 1
		.amdhsa_ieee_mode 1
		.amdhsa_fp16_overflow 0
		.amdhsa_tg_split 0
		.amdhsa_exception_fp_ieee_invalid_op 0
		.amdhsa_exception_fp_denorm_src 0
		.amdhsa_exception_fp_ieee_div_zero 0
		.amdhsa_exception_fp_ieee_overflow 0
		.amdhsa_exception_fp_ieee_underflow 0
		.amdhsa_exception_fp_ieee_inexact 0
		.amdhsa_exception_int_div_zero 0
	.end_amdhsa_kernel
	.section	.text._ZL13mul_mat_f_idsIfLi64ELi14ELi3EEvPKT_PKfPKiS6_S6_Pfiiiiiiiiiiiiii15HIP_vector_typeIjLj3EES9_,"axG",@progbits,_ZL13mul_mat_f_idsIfLi64ELi14ELi3EEvPKT_PKfPKiS6_S6_Pfiiiiiiiiiiiiii15HIP_vector_typeIjLj3EES9_,comdat
.Lfunc_end81:
	.size	_ZL13mul_mat_f_idsIfLi64ELi14ELi3EEvPKT_PKfPKiS6_S6_Pfiiiiiiiiiiiiii15HIP_vector_typeIjLj3EES9_, .Lfunc_end81-_ZL13mul_mat_f_idsIfLi64ELi14ELi3EEvPKT_PKfPKiS6_S6_Pfiiiiiiiiiiiiii15HIP_vector_typeIjLj3EES9_
                                        ; -- End function
	.section	.AMDGPU.csdata,"",@progbits
; Kernel info:
; codeLenInByte = 7012
; NumSgprs: 106
; NumVgprs: 91
; NumAgprs: 16
; TotalNumVgprs: 108
; ScratchSize: 0
; MemoryBound: 0
; FloatMode: 240
; IeeeMode: 1
; LDSByteSize: 0 bytes/workgroup (compile time only)
; SGPRBlocks: 13
; VGPRBlocks: 13
; NumSGPRsForWavesPerEU: 106
; NumVGPRsForWavesPerEU: 108
; AccumOffset: 92
; Occupancy: 4
; WaveLimiterHint : 1
; COMPUTE_PGM_RSRC2:SCRATCH_EN: 0
; COMPUTE_PGM_RSRC2:USER_SGPR: 2
; COMPUTE_PGM_RSRC2:TRAP_HANDLER: 0
; COMPUTE_PGM_RSRC2:TGID_X_EN: 1
; COMPUTE_PGM_RSRC2:TGID_Y_EN: 1
; COMPUTE_PGM_RSRC2:TGID_Z_EN: 1
; COMPUTE_PGM_RSRC2:TIDIG_COMP_CNT: 1
; COMPUTE_PGM_RSRC3_GFX90A:ACCUM_OFFSET: 22
; COMPUTE_PGM_RSRC3_GFX90A:TG_SPLIT: 0
	.section	.text._ZL9mul_mat_fIfLi64ELi14ELi3ELb1EEvPKT_PKfPKiPfiiiiiiiiiiiiiiii,"axG",@progbits,_ZL9mul_mat_fIfLi64ELi14ELi3ELb1EEvPKT_PKfPKiPfiiiiiiiiiiiiiiii,comdat
	.globl	_ZL9mul_mat_fIfLi64ELi14ELi3ELb1EEvPKT_PKfPKiPfiiiiiiiiiiiiiiii ; -- Begin function _ZL9mul_mat_fIfLi64ELi14ELi3ELb1EEvPKT_PKfPKiPfiiiiiiiiiiiiiiii
	.p2align	8
	.type	_ZL9mul_mat_fIfLi64ELi14ELi3ELb1EEvPKT_PKfPKiPfiiiiiiiiiiiiiiii,@function
_ZL9mul_mat_fIfLi64ELi14ELi3ELb1EEvPKT_PKfPKiPfiiiiiiiiiiiiiiii: ; @_ZL9mul_mat_fIfLi64ELi14ELi3ELb1EEvPKT_PKfPKiPfiiiiiiiiiiiiiiii
; %bb.0:
	s_load_dwordx8 s[48:55], s[0:1], 0x20
	s_mov_b32 s24, s4
	v_bfe_u32 v74, v0, 10, 10
	s_waitcnt lgkmcnt(0)
	s_add_i32 s4, s49, 13
	s_mul_hi_i32 s5, s4, 0x92492493
	s_add_i32 s5, s5, s4
	s_lshr_b32 s4, s5, 31
	s_ashr_i32 s5, s5, 3
	s_add_i32 s5, s5, s4
	v_cvt_f32_u32_e32 v1, s5
	s_load_dword s4, s[0:1], 0x64
	s_add_u32 s14, s0, 0x60
	s_addc_u32 s15, s1, 0
	v_rcp_iflag_f32_e32 v1, v1
	s_sub_i32 s6, 0, s5
	s_load_dwordx4 s[56:59], s[0:1], 0x44
	s_load_dwordx2 s[8:9], s[0:1], 0x10
	v_mul_f32_e32 v1, 0x4f7ffffe, v1
	v_cvt_u32_f32_e32 v1, v1
	v_mul_lo_u32 v2, s6, v1
	v_mul_hi_u32 v2, v1, v2
	v_add_u32_e32 v1, v1, v2
	s_waitcnt lgkmcnt(0)
	v_mul_hi_u32 v1, s4, v1
	v_mul_lo_u32 v2, v1, s5
	v_sub_u32_e32 v2, s4, v2
	v_add_u32_e32 v3, 1, v1
	v_subrev_u32_e32 v4, s5, v2
	v_cmp_le_u32_e32 vcc, s5, v2
	s_nop 1
	v_cndmask_b32_e32 v1, v1, v3, vcc
	v_cndmask_b32_e32 v2, v2, v4, vcc
	v_add_u32_e32 v3, 1, v1
	v_cmp_le_u32_e32 vcc, s5, v2
	s_nop 1
	v_cndmask_b32_e32 v1, v1, v3, vcc
	v_cvt_f32_u32_e32 v2, v1
	v_sub_u32_e32 v4, 0, v1
	v_rcp_iflag_f32_e32 v2, v2
	s_nop 0
	v_mul_f32_e32 v2, 0x4f7ffffe, v2
	v_cvt_u32_f32_e32 v3, v2
	v_and_b32_e32 v2, 0x3ff, v0
	v_cmp_eq_u32_e32 vcc, 0, v2
	v_mul_lo_u32 v4, v4, v3
	v_mul_hi_u32 v4, v3, v4
	v_add_u32_e32 v3, v3, v4
	v_mul_hi_u32 v3, s3, v3
	s_and_saveexec_b64 s[6:7], vcc
	s_cbranch_execz .LBB82_2
; %bb.1:
	v_mov_b32_e32 v4, 0x100
	v_lshl_add_u32 v4, v74, 2, v4
	v_mov_b32_e32 v5, -1
	ds_write_b32 v4, v5
.LBB82_2:
	s_or_b64 exec, exec, s[6:7]
	v_mul_lo_u32 v4, v3, v1
	v_sub_u32_e32 v4, s3, v4
	v_add_u32_e32 v5, 1, v3
	v_sub_u32_e32 v6, v4, v1
	v_cmp_ge_u32_e64 s[6:7], v4, v1
	v_cmp_gt_i32_e64 s[10:11], s50, v2
	s_nop 0
	v_cndmask_b32_e64 v3, v3, v5, s[6:7]
	v_cndmask_b32_e64 v4, v4, v6, s[6:7]
	v_add_u32_e32 v5, 1, v3
	v_cmp_ge_u32_e64 s[6:7], v4, v1
	s_nop 1
	v_cndmask_b32_e64 v3, v3, v5, s[6:7]
	v_mul_lo_u32 v1, v3, v1
	v_mul_lo_u32 v3, v3, 14
	v_mul_hi_i32 v5, v3, s55
	v_mul_lo_u32 v4, v3, s55
	v_sub_u32_e32 v10, s3, v1
	v_lshlrev_b64 v[4:5], 2, v[4:5]
	v_add_u32_e32 v1, v74, v3
	v_lshl_add_u64 v[4:5], s[8:9], 0, v[4:5]
	v_cmp_gt_i32_e64 s[26:27], s49, v1
	v_mov_b32_e32 v1, 0
	s_and_saveexec_b64 s[12:13], s[26:27]
	s_cbranch_execz .LBB82_10
; %bb.3:
	v_mov_b32_e32 v1, 0
	s_and_saveexec_b64 s[16:17], s[10:11]
	s_cbranch_execz .LBB82_9
; %bb.4:
	v_mul_lo_u32 v6, v74, s55
	v_ashrrev_i32_e32 v7, 31, v6
	v_mov_b32_e32 v1, 0x100
	v_lshl_add_u64 v[6:7], v[6:7], 2, v[4:5]
	v_lshl_add_u32 v11, v74, 2, v1
	v_mul_lo_u32 v8, v2, s54
	s_lshl_b32 s3, s54, 6
	s_mov_b64 s[18:19], 0
	v_mov_b32_e32 v1, 0
	v_mov_b32_e32 v12, v2
	s_branch .LBB82_6
.LBB82_5:                               ;   in Loop: Header=BB82_6 Depth=1
	s_or_b64 exec, exec, s[20:21]
	v_add_u32_e32 v12, 64, v12
	v_cmp_le_i32_e64 s[8:9], s50, v12
	s_xor_b64 s[4:5], s[6:7], -1
	s_or_b64 s[4:5], s[4:5], s[8:9]
	s_and_b64 s[4:5], exec, s[4:5]
	s_or_b64 s[18:19], s[4:5], s[18:19]
	v_add_u32_e32 v8, s3, v8
	s_andn2_b64 exec, exec, s[18:19]
	s_cbranch_execz .LBB82_8
.LBB82_6:                               ; =>This Inner Loop Header: Depth=1
	v_ashrrev_i32_e32 v9, 31, v8
	v_lshl_add_u64 v[14:15], v[8:9], 2, v[6:7]
	global_load_dword v9, v[14:15], off
	s_waitcnt vmcnt(0)
	v_cmp_ne_u32_e64 s[6:7], v9, v10
	v_cmp_eq_u32_e64 s[8:9], v9, v10
	s_and_saveexec_b64 s[20:21], s[8:9]
	s_cbranch_execz .LBB82_5
; %bb.7:                                ;   in Loop: Header=BB82_6 Depth=1
	v_mov_b32_e32 v1, 1
	ds_write_b32 v11, v12
	s_branch .LBB82_5
.LBB82_8:
	s_or_b64 exec, exec, s[18:19]
.LBB82_9:
	s_or_b64 exec, exec, s[16:17]
.LBB82_10:
	s_or_b64 exec, exec, s[12:13]
	s_abs_i32 s3, s59
	s_and_saveexec_b64 s[6:7], vcc
	s_cbranch_execz .LBB82_12
; %bb.11:
	v_mov_b32_e32 v6, 0x100
	v_lshl_add_u32 v6, v74, 2, v6
	v_mov_b32_e32 v7, -1
	ds_write_b32 v6, v7 offset:12
.LBB82_12:
	s_or_b64 exec, exec, s[6:7]
	v_cvt_f32_u32_e32 v11, s3
	v_add_u32_e32 v75, 3, v74
	v_add_u32_e32 v6, v75, v3
	v_cmp_gt_i32_e64 s[4:5], s49, v6
	s_mov_b64 s[12:13], exec
                                        ; implicit-def: $vgpr92 : SGPR spill to VGPR lane
	s_nop 0
	v_writelane_b32 v92, s4, 0
	s_nop 1
	v_writelane_b32 v92, s5, 1
	s_and_b64 s[4:5], s[12:13], s[4:5]
	s_mov_b64 exec, s[4:5]
	s_cbranch_execz .LBB82_20
; %bb.13:
	s_and_saveexec_b64 s[16:17], s[10:11]
	s_cbranch_execz .LBB82_19
; %bb.14:
	v_mul_lo_u32 v6, v75, s55
	v_ashrrev_i32_e32 v7, 31, v6
	v_mov_b32_e32 v8, 0x100
	v_lshl_add_u64 v[6:7], v[6:7], 2, v[4:5]
	v_lshl_add_u32 v12, v74, 2, v8
	v_mul_lo_u32 v8, v2, s54
	s_lshl_b32 s4, s54, 6
	s_mov_b64 s[18:19], 0
	v_mov_b32_e32 v13, v2
	s_branch .LBB82_16
.LBB82_15:                              ;   in Loop: Header=BB82_16 Depth=1
	s_or_b64 exec, exec, s[20:21]
	v_add_u32_e32 v13, 64, v13
	v_cmp_le_i32_e64 s[8:9], s50, v13
	s_xor_b64 s[6:7], s[6:7], -1
	s_or_b64 s[6:7], s[6:7], s[8:9]
	s_and_b64 s[6:7], exec, s[6:7]
	s_or_b64 s[18:19], s[6:7], s[18:19]
	v_add_u32_e32 v8, s4, v8
	s_andn2_b64 exec, exec, s[18:19]
	s_cbranch_execz .LBB82_18
.LBB82_16:                              ; =>This Inner Loop Header: Depth=1
	v_ashrrev_i32_e32 v9, 31, v8
	v_lshl_add_u64 v[14:15], v[8:9], 2, v[6:7]
	global_load_dword v9, v[14:15], off
	s_waitcnt vmcnt(0)
	v_cmp_ne_u32_e64 s[6:7], v9, v10
	v_cmp_eq_u32_e64 s[8:9], v9, v10
	s_and_saveexec_b64 s[20:21], s[8:9]
	s_cbranch_execz .LBB82_15
; %bb.17:                               ;   in Loop: Header=BB82_16 Depth=1
	v_mov_b32_e32 v1, 1
	ds_write_b32 v12, v13 offset:12
	s_branch .LBB82_15
.LBB82_18:
	s_or_b64 exec, exec, s[18:19]
.LBB82_19:
	s_or_b64 exec, exec, s[16:17]
.LBB82_20:
	s_or_b64 exec, exec, s[12:13]
	v_rcp_iflag_f32_e32 v6, v11
	s_and_saveexec_b64 s[6:7], vcc
	s_cbranch_execz .LBB82_22
; %bb.21:
	v_mov_b32_e32 v7, 0x100
	v_lshl_add_u32 v7, v74, 2, v7
	v_mov_b32_e32 v8, -1
	ds_write_b32 v7, v8 offset:24
.LBB82_22:
	s_or_b64 exec, exec, s[6:7]
	v_add_u32_e32 v76, 6, v74
	v_mul_f32_e32 v11, 0x4f7ffffe, v6
	v_add_u32_e32 v6, v76, v3
	v_cmp_gt_i32_e64 s[4:5], s49, v6
	s_mov_b64 s[12:13], exec
	s_nop 0
	v_writelane_b32 v92, s4, 2
	s_nop 1
	v_writelane_b32 v92, s5, 3
	s_and_b64 s[4:5], s[12:13], s[4:5]
	s_mov_b64 exec, s[4:5]
	s_cbranch_execz .LBB82_30
; %bb.23:
	s_and_saveexec_b64 s[16:17], s[10:11]
	s_cbranch_execz .LBB82_29
; %bb.24:
	v_mul_lo_u32 v6, v76, s55
	v_ashrrev_i32_e32 v7, 31, v6
	v_mov_b32_e32 v8, 0x100
	v_lshl_add_u64 v[6:7], v[6:7], 2, v[4:5]
	v_lshl_add_u32 v12, v74, 2, v8
	v_mul_lo_u32 v8, v2, s54
	s_lshl_b32 s4, s54, 6
	s_mov_b64 s[18:19], 0
	v_mov_b32_e32 v13, v2
	s_branch .LBB82_26
.LBB82_25:                              ;   in Loop: Header=BB82_26 Depth=1
	s_or_b64 exec, exec, s[20:21]
	v_add_u32_e32 v13, 64, v13
	v_cmp_le_i32_e64 s[8:9], s50, v13
	s_xor_b64 s[6:7], s[6:7], -1
	s_or_b64 s[6:7], s[6:7], s[8:9]
	s_and_b64 s[6:7], exec, s[6:7]
	s_or_b64 s[18:19], s[6:7], s[18:19]
	v_add_u32_e32 v8, s4, v8
	s_andn2_b64 exec, exec, s[18:19]
	s_cbranch_execz .LBB82_28
.LBB82_26:                              ; =>This Inner Loop Header: Depth=1
	v_ashrrev_i32_e32 v9, 31, v8
	v_lshl_add_u64 v[14:15], v[8:9], 2, v[6:7]
	global_load_dword v9, v[14:15], off
	s_waitcnt vmcnt(0)
	v_cmp_ne_u32_e64 s[6:7], v9, v10
	v_cmp_eq_u32_e64 s[8:9], v9, v10
	s_and_saveexec_b64 s[20:21], s[8:9]
	s_cbranch_execz .LBB82_25
; %bb.27:                               ;   in Loop: Header=BB82_26 Depth=1
	v_mov_b32_e32 v1, 1
	ds_write_b32 v12, v13 offset:24
	s_branch .LBB82_25
.LBB82_28:
	s_or_b64 exec, exec, s[18:19]
.LBB82_29:
	s_or_b64 exec, exec, s[16:17]
.LBB82_30:
	s_or_b64 exec, exec, s[12:13]
	v_cvt_u32_f32_e32 v11, v11
	s_sub_i32 s4, 0, s3
	s_and_saveexec_b64 s[6:7], vcc
	s_cbranch_execz .LBB82_32
; %bb.31:
	v_mov_b32_e32 v6, 0x100
	v_lshl_add_u32 v6, v74, 2, v6
	v_mov_b32_e32 v7, -1
	ds_write_b32 v6, v7 offset:36
.LBB82_32:
	s_or_b64 exec, exec, s[6:7]
	v_add_u32_e32 v77, 9, v74
	v_mul_lo_u32 v12, s4, v11
	v_add_u32_e32 v6, v77, v3
	v_cmp_gt_i32_e64 s[4:5], s49, v6
	s_mov_b64 s[16:17], exec
	s_nop 0
	v_writelane_b32 v92, s4, 4
	s_nop 1
	v_writelane_b32 v92, s5, 5
	s_and_b64 s[4:5], s[16:17], s[4:5]
	s_mov_b64 exec, s[4:5]
	s_cbranch_execz .LBB82_40
; %bb.33:
	s_and_saveexec_b64 s[18:19], s[10:11]
	s_cbranch_execz .LBB82_39
; %bb.34:
	v_mul_lo_u32 v6, v77, s55
	v_ashrrev_i32_e32 v7, 31, v6
	v_mov_b32_e32 v8, 0x100
	v_lshl_add_u64 v[6:7], v[6:7], 2, v[4:5]
	v_lshl_add_u32 v13, v74, 2, v8
	v_mul_lo_u32 v8, v2, s54
	s_lshl_b32 s4, s54, 6
	s_mov_b64 s[20:21], 0
	v_mov_b32_e32 v14, v2
	s_branch .LBB82_36
.LBB82_35:                              ;   in Loop: Header=BB82_36 Depth=1
	s_or_b64 exec, exec, s[22:23]
	v_add_u32_e32 v14, 64, v14
	v_cmp_le_i32_e64 s[12:13], s50, v14
	s_xor_b64 s[6:7], s[8:9], -1
	s_or_b64 s[6:7], s[6:7], s[12:13]
	s_and_b64 s[6:7], exec, s[6:7]
	s_or_b64 s[20:21], s[6:7], s[20:21]
	v_add_u32_e32 v8, s4, v8
	s_andn2_b64 exec, exec, s[20:21]
	s_cbranch_execz .LBB82_38
.LBB82_36:                              ; =>This Inner Loop Header: Depth=1
	v_ashrrev_i32_e32 v9, 31, v8
	v_lshl_add_u64 v[16:17], v[8:9], 2, v[6:7]
	global_load_dword v9, v[16:17], off
	s_waitcnt vmcnt(0)
	v_cmp_ne_u32_e64 s[8:9], v9, v10
	v_cmp_eq_u32_e64 s[12:13], v9, v10
	s_and_saveexec_b64 s[22:23], s[12:13]
	s_cbranch_execz .LBB82_35
; %bb.37:                               ;   in Loop: Header=BB82_36 Depth=1
	v_mov_b32_e32 v1, 1
	ds_write_b32 v13, v14 offset:36
	s_branch .LBB82_35
.LBB82_38:
	s_or_b64 exec, exec, s[20:21]
.LBB82_39:
	s_or_b64 exec, exec, s[18:19]
.LBB82_40:
	s_or_b64 exec, exec, s[16:17]
	v_mul_hi_u32 v6, v11, v12
	s_and_saveexec_b64 s[8:9], vcc
	s_cbranch_execz .LBB82_42
; %bb.41:
	v_mov_b32_e32 v7, 0x100
	v_lshl_add_u32 v7, v74, 2, v7
	v_mov_b32_e32 v8, -1
	ds_write_b32 v7, v8 offset:48
.LBB82_42:
	s_or_b64 exec, exec, s[8:9]
	s_load_dwordx4 s[28:31], s[0:1], 0x54
	v_add_u32_e32 v78, 12, v74
	s_abs_i32 s4, s24
	v_add_u32_e32 v8, v11, v6
	v_add_u32_e32 v6, v78, v3
	v_cmp_gt_i32_e64 s[6:7], s49, v6
	s_mov_b64 s[12:13], exec
	s_nop 0
	v_writelane_b32 v92, s6, 6
	s_nop 1
	v_writelane_b32 v92, s7, 7
	s_and_b64 s[6:7], s[12:13], s[6:7]
	s_mov_b64 exec, s[6:7]
	s_cbranch_execz .LBB82_50
; %bb.43:
	s_and_saveexec_b64 s[16:17], s[10:11]
	s_cbranch_execz .LBB82_49
; %bb.44:
	v_mul_lo_u32 v6, v78, s55
	v_ashrrev_i32_e32 v7, 31, v6
	v_lshl_add_u64 v[4:5], v[6:7], 2, v[4:5]
	v_mov_b32_e32 v6, 0x100
	v_lshl_add_u32 v9, v74, 2, v6
	v_mul_lo_u32 v6, v2, s54
	s_lshl_b32 s5, s54, 6
	s_mov_b64 s[18:19], 0
	v_mov_b32_e32 v11, v2
	s_branch .LBB82_46
.LBB82_45:                              ;   in Loop: Header=BB82_46 Depth=1
	s_or_b64 exec, exec, s[20:21]
	v_add_u32_e32 v11, 64, v11
	v_cmp_le_i32_e64 s[10:11], s50, v11
	s_xor_b64 s[6:7], vcc, -1
	s_or_b64 s[6:7], s[6:7], s[10:11]
	s_and_b64 s[6:7], exec, s[6:7]
	s_or_b64 s[18:19], s[6:7], s[18:19]
	v_add_u32_e32 v6, s5, v6
	s_andn2_b64 exec, exec, s[18:19]
	s_cbranch_execz .LBB82_48
.LBB82_46:                              ; =>This Inner Loop Header: Depth=1
	v_ashrrev_i32_e32 v7, 31, v6
	v_lshl_add_u64 v[12:13], v[6:7], 2, v[4:5]
	global_load_dword v7, v[12:13], off
	s_waitcnt vmcnt(0)
	v_cmp_ne_u32_e32 vcc, v7, v10
	v_cmp_eq_u32_e64 s[10:11], v7, v10
	s_and_saveexec_b64 s[20:21], s[10:11]
	s_cbranch_execz .LBB82_45
; %bb.47:                               ;   in Loop: Header=BB82_46 Depth=1
	v_mov_b32_e32 v1, 1
	ds_write_b32 v9, v11 offset:48
	s_branch .LBB82_45
.LBB82_48:
	s_or_b64 exec, exec, s[18:19]
.LBB82_49:
	s_or_b64 exec, exec, s[16:17]
.LBB82_50:
	s_or_b64 exec, exec, s[12:13]
	s_load_dwordx2 s[6:7], s[14:15], 0xc
	s_load_dwordx2 s[12:13], s[0:1], 0x8
	;; [unrolled: 1-line block ×3, first 2 shown]
	v_cmp_ne_u32_e32 vcc, 0, v1
	v_mul_hi_u32 v4, s4, v8
	s_waitcnt lgkmcnt(0)
	s_and_b32 s5, s7, 0xffff
	v_cndmask_b32_e64 v1, 0, 1, vcc
	v_writelane_b32 v92, s8, 8
	s_lshr_b32 s7, s6, 16
	v_or_b32_dpp v1, v1, v1 row_shl:1 row_mask:0xf bank_mask:0xf bound_ctrl:1
	s_and_b32 s6, s6, 0xffff
	v_writelane_b32 v92, s9, 9
	v_or_b32_dpp v1, v1, v1 row_shl:2 row_mask:0xf bank_mask:0xf bound_ctrl:1
	s_mul_i32 s8, s7, s6
	s_bfe_i32 s8, s8, 0x180000
	v_or_b32_dpp v1, v1, v1 row_shl:4 row_mask:0xf bank_mask:0xf bound_ctrl:1
	s_mul_i32 s5, s8, s5
	s_add_i32 s8, s5, 63
	v_or_b32_dpp v1, v1, v1 row_shl:8 row_mask:0xf bank_mask:0xf bound_ctrl:1
	s_bitcmp1_b32 exec_hi, 0
                                        ; kill: killed $sgpr14 killed $sgpr15
	s_nop 0
	v_mov_b32_dpp v5, v1 wave_shl:1 row_mask:0xf bank_mask:0xf bound_ctrl:1
	s_nop 1
	v_or_b32_dpp v1, v5, v1 row_mirror row_mask:0xf bank_mask:0xf bound_ctrl:1
	s_nop 0
	v_readlane_b32 s5, v1, 32
	s_cselect_b32 s5, s5, 0
	v_readlane_b32 s9, v1, 0
	s_or_b32 s5, s5, s9
	s_andn2_b32 s8, s8, 63
	s_cmp_lg_u32 s8, 64
	v_mov_b32_e32 v1, s5
	s_cbranch_scc0 .LBB82_57
; %bb.51:
	v_bfe_u32 v0, v0, 20, 10
	v_mbcnt_lo_u32_b32 v1, -1, 0
	v_mad_u32_u24 v0, v0, s7, v74
	v_mbcnt_hi_u32_b32 v5, -1, v1
	v_mad_u64_u32 v[0:1], s[6:7], v0, s6, v[2:3]
	v_lshrrev_b32_e32 v1, 6, v0
	v_or_b32_e32 v1, v5, v1
	v_cmp_eq_u32_e32 vcc, 0, v1
	s_and_saveexec_b64 s[10:11], vcc
	s_cbranch_execz .LBB82_53
; %bb.52:
	v_mov_b32_e32 v1, 0
	v_mov_b32_e32 v6, s5
	ds_write_b32 v1, v6
.LBB82_53:
	s_or_b64 exec, exec, s[10:11]
	v_cmp_eq_u32_e32 vcc, 0, v5
	v_cmp_lt_u32_e64 s[10:11], 63, v0
	s_and_b64 s[6:7], s[10:11], vcc
	s_waitcnt lgkmcnt(0)
	s_barrier
	s_and_saveexec_b64 s[10:11], s[6:7]
	s_cbranch_execz .LBB82_56
; %bb.54:
	v_mbcnt_lo_u32_b32 v0, exec_lo, 0
	v_mbcnt_hi_u32_b32 v0, exec_hi, v0
	v_cmp_eq_u32_e32 vcc, 0, v0
	s_and_b64 exec, exec, vcc
	s_cbranch_execz .LBB82_56
; %bb.55:
	v_mov_b32_e32 v0, 0
	v_mov_b32_e32 v1, s5
	ds_or_b32 v0, v1
.LBB82_56:
	s_or_b64 exec, exec, s[10:11]
	v_mov_b32_e32 v0, 0
	s_waitcnt lgkmcnt(0)
	s_barrier
	ds_read_b32 v1, v0
	s_waitcnt lgkmcnt(0)
	s_barrier
.LBB82_57:
	s_load_dwordx2 s[10:11], s[0:1], 0x0
	v_cmp_ne_u32_e32 vcc, 0, v1
	s_ashr_i32 s5, s24, 31
	s_ashr_i32 s6, s59, 31
	s_cbranch_vccz .LBB82_139
; %bb.58:
	v_lshlrev_b32_e32 v79, 6, v74
	v_add_u32_e32 v81, v79, v2
	v_cmp_le_i32_e32 vcc, s48, v81
	v_and_b32_e32 v80, 15, v2
                                        ; implicit-def: $sgpr7
	s_and_saveexec_b64 s[0:1], vcc
	s_xor_b64 s[0:1], exec, s[0:1]
; %bb.59:
	v_and_b32_e32 v80, 15, v2
	s_mov_b32 s7, 0
                                        ; implicit-def: $vgpr81
                                        ; implicit-def: $vgpr4
                                        ; implicit-def: $vgpr10
; %bb.60:
	s_or_saveexec_b64 s[0:1], s[0:1]
	s_lshl_b32 s8, s2, 6
	v_accvgpr_write_b32 a0, s7
	v_accvgpr_write_b32 a1, s7
	v_accvgpr_write_b32 a2, s7
	v_accvgpr_write_b32 a3, s7
	v_accvgpr_write_b32 a4, s7
	v_accvgpr_write_b32 a5, s7
	v_accvgpr_write_b32 a6, s7
	v_accvgpr_write_b32 a7, s7
	v_accvgpr_write_b32 a8, s7
	v_accvgpr_write_b32 a9, s7
	v_accvgpr_write_b32 a10, s7
	v_accvgpr_write_b32 a11, s7
	v_accvgpr_write_b32 a12, s7
	v_accvgpr_write_b32 a13, s7
	v_accvgpr_write_b32 a14, s7
	v_accvgpr_write_b32 a15, s7
	v_writelane_b32 v92, s0, 10
	s_nop 1
	v_writelane_b32 v92, s1, 11
	s_xor_b64 exec, exec, s[0:1]
	s_cbranch_execz .LBB82_120
; %bb.61:
	v_mul_lo_u32 v0, v4, s3
	v_sub_u32_e32 v0, s4, v0
	v_add_u32_e32 v1, 1, v4
	v_subrev_u32_e32 v5, s3, v0
	v_cmp_le_u32_e32 vcc, s3, v0
	v_writelane_b32 v92, s26, 12
	s_xor_b32 s0, s5, s6
	v_cndmask_b32_e32 v1, v4, v1, vcc
	v_cndmask_b32_e32 v0, v0, v5, vcc
	v_add_u32_e32 v4, 1, v1
	v_cmp_le_u32_e32 vcc, s3, v0
	v_writelane_b32 v92, s27, 13
	v_writelane_b32 v92, s8, 14
	v_cndmask_b32_e32 v0, v1, v4, vcc
	v_xor_b32_e32 v0, s0, v0
	v_subrev_u32_e32 v0, s0, v0
	s_mul_i32 s0, s8, s51
	s_movk_i32 s2, 0x1080
	v_mov_b32_e32 v82, 0x100
	v_writelane_b32 v92, s24, 15
	v_mul_hi_i32 v1, v0, s28
	v_mul_lo_u32 v0, v0, s28
	v_mul_lo_u32 v4, v10, s56
	s_ashr_i32 s1, s0, 31
	v_mad_u32_u24 v10, v74, s2, v82
	s_mul_hi_i32 s3, s29, s24
	v_writelane_b32 v92, s28, 16
	s_mul_i32 s2, s29, s24
	v_ashrrev_i32_e32 v5, 31, v4
	s_lshl_b64 s[0:1], s[0:1], 2
	s_lshl_b64 s[2:3], s[2:3], 2
	v_lshlrev_b64 v[8:9], 2, v[4:5]
	v_writelane_b32 v92, s29, 17
	v_mul_hi_i32 v5, v3, s52
	v_mul_lo_u32 v4, v3, s52
	s_add_u32 s2, s12, s2
	v_lshlrev_b64 v[6:7], 2, v[0:1]
	v_writelane_b32 v92, s30, 18
	s_addc_u32 s3, s13, s3
	v_lshlrev_b64 v[4:5], 2, v[4:5]
	s_waitcnt lgkmcnt(0)
	v_lshl_add_u64 v[0:1], s[10:11], 0, v[6:7]
	v_writelane_b32 v92, s31, 19
	v_lshl_add_u64 v[4:5], s[2:3], 0, v[4:5]
	s_lshl_b32 s2, s52, 2
	v_lshl_add_u64 v[0:1], v[0:1], 0, v[8:9]
	v_writelane_b32 v92, s2, 20
	s_lshl_b32 s2, s52, 3
	v_lshl_add_u64 v[0:1], v[0:1], 0, s[0:1]
	v_lshrrev_b32_e32 v12, 1, v2
	v_writelane_b32 v92, s2, 21
	v_lshl_add_u64 v[6:7], v[6:7], 0, s[0:1]
	s_mul_i32 s0, s51, 3
	v_mul_u32_u24_e32 v11, 0x108, v80
	v_and_b32_e32 v12, 0x1f8, v12
	v_lshl_add_u64 v[8:9], v[6:7], 0, v[8:9]
	v_writelane_b32 v92, s0, 22
	s_mul_i32 s0, s51, 5
	v_lshl_add_u32 v83, v2, 2, v10
	v_add3_u32 v84, v10, v11, v12
	v_or_b32_e32 v10, 1, v3
	v_add_u32_e32 v11, 2, v3
	s_lshl_b32 s50, s52, 1
	v_add_u32_e32 v12, 3, v3
	v_add_u32_e32 v13, 4, v3
	;; [unrolled: 1-line block ×11, first 2 shown]
	s_ashr_i32 s3, s51, 31
	s_mov_b32 s2, s51
	v_lshlrev_b32_e32 v6, 2, v81
	v_mov_b32_e32 v7, 0
	v_lshl_add_u64 v[8:9], s[10:11], 0, v[8:9]
	v_writelane_b32 v92, s0, 23
	s_mul_i32 s0, s51, 6
	s_lshl_b64 s[2:3], s[2:3], 2
	v_lshl_add_u64 v[8:9], v[8:9], 0, v[6:7]
	s_lshl_b32 s70, s51, 1
	s_lshl_b32 s72, s51, 2
	v_writelane_b32 v92, s0, 24
	s_mul_i32 s75, s51, 7
	s_lshl_b32 s76, s51, 3
	s_mul_i32 s77, s51, 9
	s_mul_i32 s78, s51, 10
	;; [unrolled: 1-line block ×7, first 2 shown]
	s_lshl_b32 s84, s51, 4
	s_mul_i32 s85, s51, 17
	s_mul_i32 s86, s51, 18
	;; [unrolled: 1-line block ×15, first 2 shown]
	s_lshl_b32 s46, s51, 5
	s_mul_i32 s47, s51, 33
	s_mul_i32 s62, s51, 34
	;; [unrolled: 1-line block ×11, first 2 shown]
	v_cmp_gt_i32_e64 s[10:11], s49, v3
	s_mul_i32 s56, s51, 44
	s_mul_i32 s60, s51, 45
	v_accvgpr_write_b32 a15, 0
	v_accvgpr_write_b32 a14, 0
	;; [unrolled: 1-line block ×16, first 2 shown]
	s_mul_i32 s61, s51, 46
	s_mul_i32 s63, s51, 47
	;; [unrolled: 1-line block ×18, first 2 shown]
	v_cmp_gt_i32_e64 s[12:13], s49, v10
	v_cmp_gt_i32_e64 s[14:15], s49, v11
	;; [unrolled: 1-line block ×13, first 2 shown]
	s_mov_b32 s49, s50
	s_mov_b64 s[50:51], 0
	s_mov_b64 s[54:55], 0x300
	s_branch .LBB82_64
.LBB82_62:                              ;   in Loop: Header=BB82_64 Depth=1
	v_mul_lo_u32 v6, v6, s57
	s_mul_i32 vcc_lo, s52, 13
	v_add_u32_e32 v6, vcc_lo, v6
	v_add_u32_e32 v86, v6, v81
	v_ashrrev_i32_e32 v87, 31, v86
	v_lshl_add_u64 v[86:87], v[86:87], 2, v[4:5]
	global_load_dword v6, v[86:87], off
.LBB82_63:                              ;   in Loop: Header=BB82_64 Depth=1
	v_add_u32_e32 v85, 0xc00, v83
	s_waitcnt vmcnt(0)
	ds_write2_b32 v85, v6, v7 offset0:106 offset1:172
	ds_write_b32 v83, v7 offset:4024
	ds_read2_b64 v[86:89], v84 offset0:8 offset1:12
	v_add_u32_e32 v81, 0xc0, v81
	v_cmp_le_i32_e32 vcc, s48, v81
	v_lshl_add_u64 v[8:9], v[8:9], 0, s[54:55]
	s_or_b64 s[50:51], vcc, s[50:51]
	s_waitcnt lgkmcnt(0)
	v_mfma_f32_16x16x8_xf32 a[12:15], v[16:17], v[86:87], a[12:15]
	v_mfma_f32_16x16x8_xf32 a[8:11], v[42:43], v[86:87], a[8:11]
	;; [unrolled: 1-line block ×5, first 2 shown]
	ds_read2_b64 v[14:17], v84 offset0:16 offset1:20
	v_mfma_f32_16x16x8_xf32 a[8:11], v[38:39], v[88:89], a[8:11]
	v_mfma_f32_16x16x8_xf32 a[4:7], v[54:55], v[88:89], a[4:7]
	;; [unrolled: 1-line block ×3, first 2 shown]
	s_waitcnt lgkmcnt(0)
	v_mfma_f32_16x16x8_xf32 a[12:15], v[12:13], v[14:15], a[12:15]
	v_mfma_f32_16x16x8_xf32 a[8:11], v[36:37], v[14:15], a[8:11]
	;; [unrolled: 1-line block ×5, first 2 shown]
	ds_read2_b64 v[10:13], v84 offset0:24 offset1:28
	v_mfma_f32_16x16x8_xf32 a[8:11], v[34:35], v[16:17], a[8:11]
	v_mfma_f32_16x16x8_xf32 a[4:7], v[50:51], v[16:17], a[4:7]
	;; [unrolled: 1-line block ×3, first 2 shown]
	s_waitcnt lgkmcnt(0)
	v_mfma_f32_16x16x8_xf32 a[12:15], v[24:25], v[10:11], a[12:15]
	v_mfma_f32_16x16x8_xf32 a[8:11], v[32:33], v[10:11], a[8:11]
	;; [unrolled: 1-line block ×8, first 2 shown]
	ds_read2_b64 v[10:13], v84 offset0:32 offset1:36
	s_waitcnt lgkmcnt(0)
	v_mfma_f32_16x16x8_xf32 a[12:15], v[20:21], v[10:11], a[12:15]
	v_mfma_f32_16x16x8_xf32 a[8:11], v[28:29], v[10:11], a[8:11]
	;; [unrolled: 1-line block ×8, first 2 shown]
	s_andn2_b64 exec, exec, s[50:51]
	s_cbranch_execz .LBB82_119
.LBB82_64:                              ; =>This Inner Loop Header: Depth=1
	v_readlane_b32 vcc_lo, v92, 22
	v_lshl_add_u64 v[10:11], v[8:9], 0, s[2:3]
	global_load_dword v6, v[8:9], off
	global_load_dword v26, v[10:11], off
	v_add_u32_e32 v12, vcc_lo, v81
	v_readlane_b32 vcc_lo, v92, 23
	v_add_u32_e32 v10, s70, v81
	v_add_u32_e32 v14, s72, v81
	v_add_u32_e32 v16, vcc_lo, v81
	v_readlane_b32 vcc_lo, v92, 24
	v_add_u32_e32 v22, s76, v81
	v_ashrrev_i32_e32 v11, 31, v10
	v_ashrrev_i32_e32 v15, 31, v14
	;; [unrolled: 1-line block ×3, first 2 shown]
	v_add_u32_e32 v18, vcc_lo, v81
	v_add_u32_e32 v20, s75, v81
	v_ashrrev_i32_e32 v23, 31, v22
	v_add_u32_e32 v24, s77, v81
	v_lshl_add_u64 v[10:11], v[10:11], 2, v[0:1]
	v_ashrrev_i32_e32 v13, 31, v12
	v_lshl_add_u64 v[14:15], v[14:15], 2, v[0:1]
	v_lshl_add_u64 v[16:17], v[16:17], 2, v[0:1]
	v_ashrrev_i32_e32 v19, 31, v18
	v_ashrrev_i32_e32 v21, 31, v20
	v_lshl_add_u64 v[22:23], v[22:23], 2, v[0:1]
	v_ashrrev_i32_e32 v25, 31, v24
	v_lshl_add_u64 v[12:13], v[12:13], 2, v[0:1]
	v_lshl_add_u64 v[18:19], v[18:19], 2, v[0:1]
	;; [unrolled: 1-line block ×4, first 2 shown]
	global_load_dword v27, v[10:11], off
	global_load_dword v28, v[12:13], off
	;; [unrolled: 1-line block ×6, first 2 shown]
	s_nop 0
	global_load_dword v22, v[22:23], off
	s_nop 0
	global_load_dword v23, v[24:25], off
	v_add_u32_e32 v10, s78, v81
	v_add_u32_e32 v14, s80, v81
	;; [unrolled: 1-line block ×3, first 2 shown]
	v_ashrrev_i32_e32 v11, 31, v10
	v_add_u32_e32 v12, s79, v81
	v_ashrrev_i32_e32 v15, 31, v14
	v_ashrrev_i32_e32 v17, 31, v16
	v_add_u32_e32 v18, s82, v81
	v_add_u32_e32 v20, s83, v81
	v_lshl_add_u64 v[10:11], v[10:11], 2, v[0:1]
	v_ashrrev_i32_e32 v13, 31, v12
	v_lshl_add_u64 v[14:15], v[14:15], 2, v[0:1]
	v_lshl_add_u64 v[16:17], v[16:17], 2, v[0:1]
	v_ashrrev_i32_e32 v19, 31, v18
	v_ashrrev_i32_e32 v21, 31, v20
	v_lshl_add_u64 v[12:13], v[12:13], 2, v[0:1]
	v_lshl_add_u64 v[18:19], v[18:19], 2, v[0:1]
	;; [unrolled: 1-line block ×3, first 2 shown]
	global_load_dword v24, v[10:11], off
	global_load_dword v25, v[12:13], off
	s_nop 0
	global_load_dword v14, v[14:15], off
	s_nop 0
	;; [unrolled: 2-line block ×3, first 2 shown]
	global_load_dword v16, v[18:19], off
	global_load_dword v17, v[20:21], off
	v_add_u32_e32 v10, s84, v81
	v_add_u32_e32 v12, s85, v81
	v_ashrrev_i32_e32 v11, 31, v10
	v_ashrrev_i32_e32 v13, 31, v12
	v_lshl_add_u64 v[10:11], v[10:11], 2, v[0:1]
	v_add_u32_e32 v18, s86, v81
	v_lshl_add_u64 v[12:13], v[12:13], 2, v[0:1]
	global_load_dword v34, v[10:11], off
	global_load_dword v35, v[12:13], off
	v_ashrrev_i32_e32 v19, 31, v18
	v_add_u32_e32 v20, s87, v81
	v_lshl_add_u64 v[18:19], v[18:19], 2, v[0:1]
	v_ashrrev_i32_e32 v21, 31, v20
	v_lshl_add_u64 v[20:21], v[20:21], 2, v[0:1]
	s_andn2_b64 vcc, exec, s[10:11]
	s_waitcnt vmcnt(17)
	ds_write_b32 v83, v6 offset:64
	s_waitcnt vmcnt(16)
	ds_write_b32 v83, v26 offset:328
	;; [unrolled: 2-line block ×16, first 2 shown]
	v_add_u32_e32 v22, s88, v81
	v_add_u32_e32 v24, s89, v81
	;; [unrolled: 1-line block ×6, first 2 shown]
	v_ashrrev_i32_e32 v23, 31, v22
	v_ashrrev_i32_e32 v25, 31, v24
	;; [unrolled: 1-line block ×6, first 2 shown]
	ds_read_b64 v[16:17], v84 offset:64
	ds_read_b64 v[14:15], v84 offset:96
	;; [unrolled: 1-line block ×4, first 2 shown]
	v_lshl_add_u64 v[22:23], v[22:23], 2, v[0:1]
	v_lshl_add_u64 v[24:25], v[24:25], 2, v[0:1]
	v_lshl_add_u64 v[26:27], v[26:27], 2, v[0:1]
	v_lshl_add_u64 v[28:29], v[28:29], 2, v[0:1]
	v_lshl_add_u64 v[30:31], v[30:31], 2, v[0:1]
	v_lshl_add_u64 v[32:33], v[32:33], 2, v[0:1]
	global_load_dword v6, v[18:19], off
	global_load_dword v36, v[20:21], off
	global_load_dword v37, v[22:23], off
	global_load_dword v38, v[24:25], off
	global_load_dword v39, v[26:27], off
	global_load_dword v40, v[28:29], off
	global_load_dword v41, v[30:31], off
	global_load_dword v42, v[32:33], off
	v_add_u32_e32 v18, s94, v81
	v_ashrrev_i32_e32 v19, 31, v18
	v_add_u32_e32 v20, s95, v81
	v_add_u32_e32 v22, s96, v81
	v_add_u32_e32 v24, s97, v81
	v_add_u32_e32 v26, s98, v81
	v_add_u32_e32 v28, s99, v81
	v_add_u32_e32 v30, s46, v81
	v_add_u32_e32 v32, s47, v81
	v_lshl_add_u64 v[18:19], v[18:19], 2, v[0:1]
	v_ashrrev_i32_e32 v21, 31, v20
	v_ashrrev_i32_e32 v23, 31, v22
	v_ashrrev_i32_e32 v25, 31, v24
	v_ashrrev_i32_e32 v27, 31, v26
	v_ashrrev_i32_e32 v29, 31, v28
	v_ashrrev_i32_e32 v31, 31, v30
	v_ashrrev_i32_e32 v33, 31, v32
	v_lshl_add_u64 v[20:21], v[20:21], 2, v[0:1]
	v_lshl_add_u64 v[22:23], v[22:23], 2, v[0:1]
	v_lshl_add_u64 v[24:25], v[24:25], 2, v[0:1]
	v_lshl_add_u64 v[26:27], v[26:27], 2, v[0:1]
	v_lshl_add_u64 v[28:29], v[28:29], 2, v[0:1]
	v_lshl_add_u64 v[30:31], v[30:31], 2, v[0:1]
	v_lshl_add_u64 v[32:33], v[32:33], 2, v[0:1]
	global_load_dword v43, v[18:19], off
	global_load_dword v44, v[20:21], off
	global_load_dword v45, v[22:23], off
	global_load_dword v46, v[24:25], off
	global_load_dword v47, v[26:27], off
	global_load_dword v48, v[28:29], off
	global_load_dword v49, v[30:31], off
	global_load_dword v50, v[32:33], off
	v_add_u32_e32 v18, s62, v81
	v_ashrrev_i32_e32 v19, 31, v18
	v_add_u32_e32 v20, s5, v81
	v_add_u32_e32 v22, s8, v81
	v_add_u32_e32 v24, s9, v81
	v_add_u32_e32 v26, s40, v81
	v_add_u32_e32 v28, s41, v81
	v_add_u32_e32 v30, s44, v81
	v_add_u32_e32 v32, s45, v81
	v_lshl_add_u64 v[18:19], v[18:19], 2, v[0:1]
	v_ashrrev_i32_e32 v21, 31, v20
	v_ashrrev_i32_e32 v23, 31, v22
	v_ashrrev_i32_e32 v25, 31, v24
	v_ashrrev_i32_e32 v27, 31, v26
	v_ashrrev_i32_e32 v29, 31, v28
	v_ashrrev_i32_e32 v31, 31, v30
	v_ashrrev_i32_e32 v33, 31, v32
	v_lshl_add_u64 v[20:21], v[20:21], 2, v[0:1]
	;; [unrolled: 32-line block ×4, first 2 shown]
	v_lshl_add_u64 v[22:23], v[22:23], 2, v[0:1]
	v_lshl_add_u64 v[24:25], v[24:25], 2, v[0:1]
	;; [unrolled: 1-line block ×6, first 2 shown]
	global_load_dword v67, v[18:19], off
	global_load_dword v68, v[20:21], off
	;; [unrolled: 1-line block ×8, first 2 shown]
	v_add_u32_e32 v18, s4, v81
	v_ashrrev_i32_e32 v19, 31, v18
	v_add_u32_e32 v20, s59, v81
	v_add_u32_e32 v22, s64, v81
	;; [unrolled: 1-line block ×5, first 2 shown]
	v_lshl_add_u64 v[18:19], v[18:19], 2, v[0:1]
	v_ashrrev_i32_e32 v21, 31, v20
	v_ashrrev_i32_e32 v23, 31, v22
	;; [unrolled: 1-line block ×5, first 2 shown]
	v_lshl_add_u64 v[20:21], v[20:21], 2, v[0:1]
	v_lshl_add_u64 v[22:23], v[22:23], 2, v[0:1]
	;; [unrolled: 1-line block ×5, first 2 shown]
	global_load_dword v86, v[18:19], off
	global_load_dword v87, v[20:21], off
	;; [unrolled: 1-line block ×6, first 2 shown]
	ds_read_b64 v[24:25], v84 offset:192
	ds_read_b64 v[22:23], v84 offset:224
	ds_read_b64 v[20:21], v84 offset:256
	ds_read_b64 v[18:19], v84 offset:288
	s_waitcnt vmcnt(47)
	ds_write_b32 v83, v34 offset:64
	s_waitcnt vmcnt(46)
	ds_write_b32 v83, v35 offset:328
	s_waitcnt vmcnt(45)
	ds_write_b32 v83, v6 offset:592
	s_waitcnt vmcnt(44)
	ds_write_b32 v83, v36 offset:856
	s_waitcnt vmcnt(43)
	ds_write_b32 v83, v37 offset:1120
	s_waitcnt vmcnt(42)
	ds_write_b32 v83, v38 offset:1384
	s_waitcnt vmcnt(41)
	ds_write_b32 v83, v39 offset:1648
	s_waitcnt vmcnt(40)
	ds_write_b32 v83, v40 offset:1912
	s_waitcnt vmcnt(39)
	ds_write_b32 v83, v41 offset:2176
	s_waitcnt vmcnt(38)
	ds_write_b32 v83, v42 offset:2440
	s_waitcnt vmcnt(37)
	ds_write_b32 v83, v43 offset:2704
	s_waitcnt vmcnt(36)
	ds_write_b32 v83, v44 offset:2968
	s_waitcnt vmcnt(35)
	ds_write_b32 v83, v45 offset:3232
	s_waitcnt vmcnt(34)
	ds_write_b32 v83, v46 offset:3496
	s_waitcnt vmcnt(33)
	ds_write_b32 v83, v47 offset:3760
	s_waitcnt vmcnt(32)
	ds_write_b32 v83, v48 offset:4024
	ds_read_b64 v[42:43], v84 offset:64
	ds_read_b64 v[38:39], v84 offset:96
	ds_read_b64 v[36:37], v84 offset:128
	ds_read_b64 v[34:35], v84 offset:160
	ds_read_b64 v[32:33], v84 offset:192
	ds_read_b64 v[30:31], v84 offset:224
	ds_read_b64 v[28:29], v84 offset:256
	ds_read_b64 v[26:27], v84 offset:288
	s_waitcnt vmcnt(31)
	ds_write_b32 v83, v49 offset:64
	s_waitcnt vmcnt(30)
	ds_write_b32 v83, v50 offset:328
	s_waitcnt vmcnt(29)
	ds_write_b32 v83, v51 offset:592
	s_waitcnt vmcnt(28)
	ds_write_b32 v83, v52 offset:856
	s_waitcnt vmcnt(27)
	ds_write_b32 v83, v53 offset:1120
	s_waitcnt vmcnt(26)
	ds_write_b32 v83, v54 offset:1384
	s_waitcnt vmcnt(25)
	ds_write_b32 v83, v55 offset:1648
	s_waitcnt vmcnt(24)
	ds_write_b32 v83, v56 offset:1912
	s_waitcnt vmcnt(23)
	ds_write_b32 v83, v57 offset:2176
	s_waitcnt vmcnt(22)
	ds_write_b32 v83, v58 offset:2440
	s_waitcnt vmcnt(21)
	ds_write_b32 v83, v59 offset:2704
	s_waitcnt vmcnt(20)
	ds_write_b32 v83, v60 offset:2968
	s_waitcnt vmcnt(19)
	ds_write_b32 v83, v61 offset:3232
	s_waitcnt vmcnt(18)
	ds_write_b32 v83, v62 offset:3496
	s_waitcnt vmcnt(17)
	ds_write_b32 v83, v63 offset:3760
	s_waitcnt vmcnt(16)
	ds_write_b32 v83, v64 offset:4024
	ds_read_b64 v[56:57], v84 offset:64
	ds_read_b64 v[54:55], v84 offset:96
	ds_read_b64 v[52:53], v84 offset:128
	ds_read_b64 v[50:51], v84 offset:160
	;; [unrolled: 40-line block ×3, first 2 shown]
	ds_read_b64 v[68:69], v84 offset:192
	ds_read_b64 v[64:65], v84 offset:224
	;; [unrolled: 1-line block ×4, first 2 shown]
	v_mov_b32_e32 v6, 0
	s_cbranch_vccnz .LBB82_68
; %bb.65:                               ;   in Loop: Header=BB82_64 Depth=1
	ds_read_b32 v6, v82
	s_waitcnt lgkmcnt(0)
	v_cmp_gt_i32_e32 vcc, 0, v6
	s_cbranch_vccnz .LBB82_67
; %bb.66:                               ;   in Loop: Header=BB82_64 Depth=1
	v_mul_lo_u32 v6, v6, s57
	v_add_u32_e32 v86, v81, v6
	v_ashrrev_i32_e32 v87, 31, v86
	v_lshl_add_u64 v[86:87], v[86:87], 2, v[4:5]
	global_load_dword v6, v[86:87], off
	s_branch .LBB82_68
.LBB82_67:                              ;   in Loop: Header=BB82_64 Depth=1
	v_mov_b32_e32 v6, 0
.LBB82_68:                              ;   in Loop: Header=BB82_64 Depth=1
	s_waitcnt vmcnt(0)
	ds_write_b32 v83, v6 offset:64
	s_andn2_b64 vcc, exec, s[12:13]
	v_mov_b32_e32 v6, 0
	v_mov_b32_e32 v85, 0
	s_cbranch_vccnz .LBB82_71
; %bb.69:                               ;   in Loop: Header=BB82_64 Depth=1
	ds_read_b32 v85, v82 offset:4
	s_waitcnt lgkmcnt(0)
	v_cmp_gt_i32_e32 vcc, 0, v85
	s_cbranch_vccnz .LBB82_74
; %bb.70:                               ;   in Loop: Header=BB82_64 Depth=1
	v_mul_lo_u32 v85, v85, s57
	v_add_u32_e32 v85, s52, v85
	v_add_u32_e32 v86, v85, v81
	v_ashrrev_i32_e32 v87, 31, v86
	v_lshl_add_u64 v[86:87], v[86:87], 2, v[4:5]
	global_load_dword v85, v[86:87], off
.LBB82_71:                              ;   in Loop: Header=BB82_64 Depth=1
	s_andn2_b64 vcc, exec, s[14:15]
	s_waitcnt vmcnt(0)
	ds_write_b32 v83, v85 offset:328
	s_cbranch_vccnz .LBB82_76
.LBB82_72:                              ;   in Loop: Header=BB82_64 Depth=1
	ds_read_b32 v6, v82 offset:8
	s_waitcnt lgkmcnt(0)
	v_cmp_gt_i32_e32 vcc, 0, v6
	s_cbranch_vccnz .LBB82_75
; %bb.73:                               ;   in Loop: Header=BB82_64 Depth=1
	v_mul_lo_u32 v6, v6, s57
	v_add_u32_e32 v6, s49, v6
	v_add_u32_e32 v86, v6, v81
	v_ashrrev_i32_e32 v87, 31, v86
	v_lshl_add_u64 v[86:87], v[86:87], 2, v[4:5]
	global_load_dword v6, v[86:87], off
	s_branch .LBB82_76
.LBB82_74:                              ;   in Loop: Header=BB82_64 Depth=1
	v_mov_b32_e32 v85, 0
	s_andn2_b64 vcc, exec, s[14:15]
	ds_write_b32 v83, v85 offset:328
	s_cbranch_vccz .LBB82_72
	s_branch .LBB82_76
.LBB82_75:                              ;   in Loop: Header=BB82_64 Depth=1
	v_mov_b32_e32 v6, 0
.LBB82_76:                              ;   in Loop: Header=BB82_64 Depth=1
	s_waitcnt vmcnt(0)
	ds_write_b32 v83, v6 offset:592
	s_andn2_b64 vcc, exec, s[16:17]
	v_mov_b32_e32 v6, 0
	v_mov_b32_e32 v85, 0
	s_cbranch_vccnz .LBB82_79
; %bb.77:                               ;   in Loop: Header=BB82_64 Depth=1
	ds_read_b32 v85, v82 offset:12
	s_waitcnt lgkmcnt(0)
	v_cmp_gt_i32_e32 vcc, 0, v85
	s_cbranch_vccnz .LBB82_82
; %bb.78:                               ;   in Loop: Header=BB82_64 Depth=1
	v_mul_lo_u32 v85, v85, s57
	s_mul_i32 vcc_lo, s52, 3
	v_add_u32_e32 v85, vcc_lo, v85
	v_add_u32_e32 v86, v85, v81
	v_ashrrev_i32_e32 v87, 31, v86
	v_lshl_add_u64 v[86:87], v[86:87], 2, v[4:5]
	global_load_dword v85, v[86:87], off
.LBB82_79:                              ;   in Loop: Header=BB82_64 Depth=1
	s_andn2_b64 vcc, exec, s[18:19]
	s_waitcnt vmcnt(0)
	ds_write_b32 v83, v85 offset:856
	s_cbranch_vccnz .LBB82_84
.LBB82_80:                              ;   in Loop: Header=BB82_64 Depth=1
	ds_read_b32 v6, v82 offset:16
	s_waitcnt lgkmcnt(0)
	v_cmp_gt_i32_e32 vcc, 0, v6
	s_cbranch_vccnz .LBB82_83
; %bb.81:                               ;   in Loop: Header=BB82_64 Depth=1
	v_mul_lo_u32 v6, v6, s57
	v_readlane_b32 vcc_lo, v92, 20
	s_nop 1
	v_add_u32_e32 v6, vcc_lo, v6
	v_add_u32_e32 v86, v6, v81
	v_ashrrev_i32_e32 v87, 31, v86
	v_lshl_add_u64 v[86:87], v[86:87], 2, v[4:5]
	global_load_dword v6, v[86:87], off
	s_branch .LBB82_84
.LBB82_82:                              ;   in Loop: Header=BB82_64 Depth=1
	v_mov_b32_e32 v85, 0
	s_andn2_b64 vcc, exec, s[18:19]
	ds_write_b32 v83, v85 offset:856
	s_cbranch_vccz .LBB82_80
	s_branch .LBB82_84
.LBB82_83:                              ;   in Loop: Header=BB82_64 Depth=1
	v_mov_b32_e32 v6, 0
.LBB82_84:                              ;   in Loop: Header=BB82_64 Depth=1
	s_waitcnt vmcnt(0)
	ds_write_b32 v83, v6 offset:1120
	s_andn2_b64 vcc, exec, s[20:21]
	v_mov_b32_e32 v6, 0
	v_mov_b32_e32 v85, 0
	s_cbranch_vccnz .LBB82_87
; %bb.85:                               ;   in Loop: Header=BB82_64 Depth=1
	ds_read_b32 v85, v82 offset:20
	s_waitcnt lgkmcnt(0)
	v_cmp_gt_i32_e32 vcc, 0, v85
	s_cbranch_vccnz .LBB82_90
; %bb.86:                               ;   in Loop: Header=BB82_64 Depth=1
	v_mul_lo_u32 v85, v85, s57
	s_mul_i32 vcc_lo, s52, 5
	v_add_u32_e32 v85, vcc_lo, v85
	v_add_u32_e32 v86, v85, v81
	v_ashrrev_i32_e32 v87, 31, v86
	v_lshl_add_u64 v[86:87], v[86:87], 2, v[4:5]
	global_load_dword v85, v[86:87], off
.LBB82_87:                              ;   in Loop: Header=BB82_64 Depth=1
	s_andn2_b64 vcc, exec, s[22:23]
	s_waitcnt vmcnt(0)
	ds_write_b32 v83, v85 offset:1384
	s_cbranch_vccnz .LBB82_92
.LBB82_88:                              ;   in Loop: Header=BB82_64 Depth=1
	ds_read_b32 v6, v82 offset:24
	s_waitcnt lgkmcnt(0)
	v_cmp_gt_i32_e32 vcc, 0, v6
	s_cbranch_vccnz .LBB82_91
; %bb.89:                               ;   in Loop: Header=BB82_64 Depth=1
	v_mul_lo_u32 v6, v6, s57
	s_mul_i32 vcc_lo, s52, 6
	v_add_u32_e32 v6, vcc_lo, v6
	v_add_u32_e32 v86, v6, v81
	v_ashrrev_i32_e32 v87, 31, v86
	v_lshl_add_u64 v[86:87], v[86:87], 2, v[4:5]
	global_load_dword v6, v[86:87], off
	s_branch .LBB82_92
.LBB82_90:                              ;   in Loop: Header=BB82_64 Depth=1
	v_mov_b32_e32 v85, 0
	s_andn2_b64 vcc, exec, s[22:23]
	ds_write_b32 v83, v85 offset:1384
	s_cbranch_vccz .LBB82_88
	s_branch .LBB82_92
.LBB82_91:                              ;   in Loop: Header=BB82_64 Depth=1
	v_mov_b32_e32 v6, 0
.LBB82_92:                              ;   in Loop: Header=BB82_64 Depth=1
	s_waitcnt vmcnt(0)
	ds_write_b32 v83, v6 offset:1648
	s_andn2_b64 vcc, exec, s[24:25]
	v_mov_b32_e32 v6, 0
	v_mov_b32_e32 v85, 0
	s_cbranch_vccnz .LBB82_95
; %bb.93:                               ;   in Loop: Header=BB82_64 Depth=1
	ds_read_b32 v85, v82 offset:28
	s_waitcnt lgkmcnt(0)
	v_cmp_gt_i32_e32 vcc, 0, v85
	s_cbranch_vccnz .LBB82_98
; %bb.94:                               ;   in Loop: Header=BB82_64 Depth=1
	v_mul_lo_u32 v85, v85, s57
	s_mul_i32 vcc_lo, s52, 7
	v_add_u32_e32 v85, vcc_lo, v85
	v_add_u32_e32 v86, v85, v81
	v_ashrrev_i32_e32 v87, 31, v86
	v_lshl_add_u64 v[86:87], v[86:87], 2, v[4:5]
	global_load_dword v85, v[86:87], off
.LBB82_95:                              ;   in Loop: Header=BB82_64 Depth=1
	s_andn2_b64 vcc, exec, s[26:27]
	s_waitcnt vmcnt(0)
	ds_write_b32 v83, v85 offset:1912
	s_cbranch_vccnz .LBB82_100
.LBB82_96:                              ;   in Loop: Header=BB82_64 Depth=1
	ds_read_b32 v6, v82 offset:32
	s_waitcnt lgkmcnt(0)
	v_cmp_gt_i32_e32 vcc, 0, v6
	s_cbranch_vccnz .LBB82_99
; %bb.97:                               ;   in Loop: Header=BB82_64 Depth=1
	v_mul_lo_u32 v6, v6, s57
	v_readlane_b32 vcc_lo, v92, 21
	s_nop 1
	v_add_u32_e32 v6, vcc_lo, v6
	v_add_u32_e32 v86, v6, v81
	v_ashrrev_i32_e32 v87, 31, v86
	v_lshl_add_u64 v[86:87], v[86:87], 2, v[4:5]
	global_load_dword v6, v[86:87], off
	s_branch .LBB82_100
.LBB82_98:                              ;   in Loop: Header=BB82_64 Depth=1
	v_mov_b32_e32 v85, 0
	s_andn2_b64 vcc, exec, s[26:27]
	ds_write_b32 v83, v85 offset:1912
	s_cbranch_vccz .LBB82_96
	s_branch .LBB82_100
.LBB82_99:                              ;   in Loop: Header=BB82_64 Depth=1
	v_mov_b32_e32 v6, 0
.LBB82_100:                             ;   in Loop: Header=BB82_64 Depth=1
	s_waitcnt vmcnt(0)
	ds_write_b32 v83, v6 offset:2176
	s_andn2_b64 vcc, exec, s[28:29]
	v_mov_b32_e32 v6, 0
	v_mov_b32_e32 v85, 0
	s_cbranch_vccnz .LBB82_103
; %bb.101:                              ;   in Loop: Header=BB82_64 Depth=1
	ds_read_b32 v85, v82 offset:36
	s_waitcnt lgkmcnt(0)
	v_cmp_gt_i32_e32 vcc, 0, v85
	s_cbranch_vccnz .LBB82_106
; %bb.102:                              ;   in Loop: Header=BB82_64 Depth=1
	v_mul_lo_u32 v85, v85, s57
	s_mul_i32 vcc_lo, s52, 9
	v_add_u32_e32 v85, vcc_lo, v85
	v_add_u32_e32 v86, v85, v81
	v_ashrrev_i32_e32 v87, 31, v86
	v_lshl_add_u64 v[86:87], v[86:87], 2, v[4:5]
	global_load_dword v85, v[86:87], off
.LBB82_103:                             ;   in Loop: Header=BB82_64 Depth=1
	s_andn2_b64 vcc, exec, s[30:31]
	s_waitcnt vmcnt(0)
	ds_write_b32 v83, v85 offset:2440
	s_cbranch_vccnz .LBB82_108
.LBB82_104:                             ;   in Loop: Header=BB82_64 Depth=1
	ds_read_b32 v6, v82 offset:40
	s_waitcnt lgkmcnt(0)
	v_cmp_gt_i32_e32 vcc, 0, v6
	s_cbranch_vccnz .LBB82_107
; %bb.105:                              ;   in Loop: Header=BB82_64 Depth=1
	v_mul_lo_u32 v6, v6, s57
	s_mul_i32 vcc_lo, s52, 10
	v_add_u32_e32 v6, vcc_lo, v6
	v_add_u32_e32 v86, v6, v81
	v_ashrrev_i32_e32 v87, 31, v86
	v_lshl_add_u64 v[86:87], v[86:87], 2, v[4:5]
	global_load_dword v6, v[86:87], off
	s_branch .LBB82_108
.LBB82_106:                             ;   in Loop: Header=BB82_64 Depth=1
	v_mov_b32_e32 v85, 0
	s_andn2_b64 vcc, exec, s[30:31]
	ds_write_b32 v83, v85 offset:2440
	s_cbranch_vccz .LBB82_104
	s_branch .LBB82_108
.LBB82_107:                             ;   in Loop: Header=BB82_64 Depth=1
	v_mov_b32_e32 v6, 0
.LBB82_108:                             ;   in Loop: Header=BB82_64 Depth=1
	s_waitcnt vmcnt(0)
	ds_write_b32 v83, v6 offset:2704
	s_andn2_b64 vcc, exec, s[34:35]
	v_mov_b32_e32 v6, 0
	v_mov_b32_e32 v85, 0
	s_cbranch_vccz .LBB82_111
; %bb.109:                              ;   in Loop: Header=BB82_64 Depth=1
	s_andn2_b64 vcc, exec, s[36:37]
	ds_write_b32 v83, v85 offset:2968
	s_cbranch_vccz .LBB82_114
.LBB82_110:                             ;   in Loop: Header=BB82_64 Depth=1
	ds_write_b32 v83, v6 offset:3232
	s_andn2_b64 vcc, exec, s[38:39]
	v_mov_b32_e32 v6, 0
	s_cbranch_vccnz .LBB82_63
	s_branch .LBB82_117
.LBB82_111:                             ;   in Loop: Header=BB82_64 Depth=1
	ds_read_b32 v85, v82 offset:44
	s_waitcnt lgkmcnt(0)
	v_cmp_gt_i32_e32 vcc, 0, v85
	s_cbranch_vccnz .LBB82_113
; %bb.112:                              ;   in Loop: Header=BB82_64 Depth=1
	v_mul_lo_u32 v85, v85, s57
	s_mul_i32 vcc_lo, s52, 11
	v_add_u32_e32 v85, vcc_lo, v85
	v_add_u32_e32 v86, v85, v81
	v_ashrrev_i32_e32 v87, 31, v86
	v_lshl_add_u64 v[86:87], v[86:87], 2, v[4:5]
	global_load_dword v85, v[86:87], off
	s_andn2_b64 vcc, exec, s[36:37]
	s_waitcnt vmcnt(0)
	ds_write_b32 v83, v85 offset:2968
	s_cbranch_vccnz .LBB82_110
	s_branch .LBB82_114
.LBB82_113:                             ;   in Loop: Header=BB82_64 Depth=1
	v_mov_b32_e32 v85, 0
	s_andn2_b64 vcc, exec, s[36:37]
	ds_write_b32 v83, v85 offset:2968
	s_cbranch_vccnz .LBB82_110
.LBB82_114:                             ;   in Loop: Header=BB82_64 Depth=1
	ds_read_b32 v6, v82 offset:48
	s_waitcnt lgkmcnt(0)
	v_cmp_gt_i32_e32 vcc, 0, v6
	s_cbranch_vccnz .LBB82_116
; %bb.115:                              ;   in Loop: Header=BB82_64 Depth=1
	v_mul_lo_u32 v6, v6, s57
	s_mul_i32 vcc_lo, s52, 12
	v_add_u32_e32 v6, vcc_lo, v6
	v_add_u32_e32 v86, v6, v81
	v_ashrrev_i32_e32 v87, 31, v86
	v_lshl_add_u64 v[86:87], v[86:87], 2, v[4:5]
	global_load_dword v6, v[86:87], off
	s_waitcnt vmcnt(0)
	ds_write_b32 v83, v6 offset:3232
	s_andn2_b64 vcc, exec, s[38:39]
	v_mov_b32_e32 v6, 0
	s_cbranch_vccnz .LBB82_63
	s_branch .LBB82_117
.LBB82_116:                             ;   in Loop: Header=BB82_64 Depth=1
	v_mov_b32_e32 v6, 0
	ds_write_b32 v83, v6 offset:3232
	s_andn2_b64 vcc, exec, s[38:39]
	v_mov_b32_e32 v6, 0
	s_cbranch_vccnz .LBB82_63
.LBB82_117:                             ;   in Loop: Header=BB82_64 Depth=1
	ds_read_b32 v6, v82 offset:52
	s_waitcnt lgkmcnt(0)
	v_cmp_gt_i32_e32 vcc, 0, v6
	s_cbranch_vccz .LBB82_62
; %bb.118:                              ;   in Loop: Header=BB82_64 Depth=1
	v_mov_b32_e32 v6, 0
	s_branch .LBB82_63
.LBB82_119:
	s_or_b64 exec, exec, s[50:51]
	v_readlane_b32 s26, v92, 12
	v_readlane_b32 s28, v92, 16
	;; [unrolled: 1-line block ×8, first 2 shown]
.LBB82_120:
	v_readlane_b32 s0, v92, 10
	v_readlane_b32 s1, v92, 11
	s_or_b64 exec, exec, s[0:1]
	v_mul_u32_u24_e32 v0, 0x308, v80
	s_movk_i32 s1, 0x100
	v_lshlrev_b32_e32 v1, 2, v79
	v_add3_u32 v0, s1, v0, v1
	v_and_b32_e32 v4, 0x3f0, v2
	v_add_u32_e32 v5, v0, v4
	s_waitcnt lgkmcnt(0)
	s_barrier
	ds_write2_b32 v5, a12, a13 offset0:16 offset1:17
	v_or_b32_e32 v5, 12, v2
	v_add_u32_e32 v1, 64, v0
	v_and_b32_e32 v5, 0x3fc, v5
	v_add_u32_e32 v4, v1, v4
	v_add_u32_e32 v0, v0, v5
	ds_write_b32 v4, a14 offset:8
	ds_write_b32 v0, a15 offset:64
	ds_write2_b32 v4, a8, a9 offset0:16 offset1:17
	ds_write_b32 v4, a10 offset:72
	v_add_u32_e32 v0, v1, v5
	ds_write_b32 v0, a11 offset:64
	ds_write2_b32 v4, a4, a5 offset0:32 offset1:33
	ds_write_b32 v4, a6 offset:136
	ds_write_b32 v0, a7 offset:128
	ds_write2_b32 v4, a0, a1 offset0:48 offset1:49
	ds_write_b32 v4, a2 offset:200
	ds_write_b32 v0, a3 offset:192
	v_mov_b32_e32 v0, 0x100
	s_movk_i32 s0, 0x308
	v_lshl_add_u32 v7, v2, 2, v0
	v_mad_u32_u24 v1, v74, s0, v7
	s_waitcnt lgkmcnt(0)
	s_barrier
	ds_read2_b32 v[4:5], v1 offset0:16 offset1:80
	ds_read_b32 v8, v1 offset:576
	v_cmp_gt_u32_e32 vcc, 14, v74
	v_mov_b32_e32 v9, -1
	s_and_saveexec_b64 s[0:1], vcc
	s_cbranch_execz .LBB82_122
; %bb.121:
	v_lshl_add_u32 v0, v74, 2, v0
	ds_read_b32 v9, v0
.LBB82_122:
	s_or_b64 exec, exec, s[0:1]
	s_mul_hi_i32 s1, s30, s24
	s_mul_i32 s0, s30, s24
	s_lshl_b64 s[0:1], s[0:1], 2
	v_readlane_b32 s2, v92, 8
	v_mul_hi_i32 v1, v3, s53
	v_mul_lo_u32 v0, v3, s53
	v_readlane_b32 s3, v92, 9
	s_add_u32 s0, s2, s0
	s_addc_u32 s1, s3, s1
	v_lshlrev_b64 v[0:1], 2, v[0:1]
	s_waitcnt lgkmcnt(0)
	v_cmp_lt_i32_e32 vcc, -1, v9
	v_mul_u32_u24_e32 v10, 0x308, v74
	v_add_u32_e32 v6, s8, v2
	v_lshl_add_u64 v[0:1], s[0:1], 0, v[0:1]
	s_and_b64 s[2:3], vcc, s[26:27]
	s_and_saveexec_b64 s[0:1], s[2:3]
	s_cbranch_execz .LBB82_124
; %bb.123:
	v_add_f32_e32 v2, 0, v4
	v_add_f32_e32 v2, v2, v5
	;; [unrolled: 1-line block ×3, first 2 shown]
	v_mul_lo_u32 v2, v9, s58
	v_mul_lo_u32 v3, v74, s53
	v_add3_u32 v2, v6, v3, v2
	v_mov_b32_e32 v3, 0
	v_lshl_add_u64 v[2:3], v[2:3], 2, v[0:1]
	global_store_dword v[2:3], v4, off
.LBB82_124:
	s_or_b64 exec, exec, s[0:1]
	v_add_u32_e32 v4, v10, v7
	v_add_u32_e32 v2, 0x58, v4
	ds_read2st64_b32 v[2:3], v2 offset0:9 offset1:10
	ds_read_b32 v5, v4 offset:2904
	v_cmp_gt_u32_e32 vcc, 11, v74
	v_mov_b32_e32 v7, -1
	s_and_saveexec_b64 s[0:1], vcc
	s_cbranch_execz .LBB82_126
; %bb.125:
	v_mov_b32_e32 v7, 0x100
	v_lshl_add_u32 v7, v74, 2, v7
	ds_read_b32 v7, v7 offset:12
.LBB82_126:
	s_or_b64 exec, exec, s[0:1]
	v_readlane_b32 s0, v92, 0
	s_waitcnt lgkmcnt(0)
	v_cmp_lt_i32_e32 vcc, -1, v7
	v_readlane_b32 s1, v92, 1
	s_and_b64 s[2:3], vcc, s[0:1]
	s_and_saveexec_b64 s[0:1], s[2:3]
	s_cbranch_execz .LBB82_128
; %bb.127:
	v_add_f32_e32 v2, 0, v2
	v_add_f32_e32 v2, v2, v3
	v_add_f32_e32 v5, v2, v5
	v_mul_lo_u32 v2, v7, s58
	v_mul_lo_u32 v3, v75, s53
	v_add3_u32 v2, v6, v3, v2
	v_mov_b32_e32 v3, 0
	v_lshl_add_u64 v[2:3], v[2:3], 2, v[0:1]
	global_store_dword v[2:3], v5, off
.LBB82_128:
	s_or_b64 exec, exec, s[0:1]
	v_add_u32_e32 v2, 0x70, v4
	ds_read2st64_b32 v[2:3], v2 offset0:18 offset1:19
	ds_read_b32 v5, v4 offset:5232
	v_cmp_gt_u32_e32 vcc, 8, v74
	v_mov_b32_e32 v7, -1
	s_and_saveexec_b64 s[0:1], vcc
	s_cbranch_execz .LBB82_130
; %bb.129:
	v_mov_b32_e32 v7, 0x100
	v_lshl_add_u32 v7, v74, 2, v7
	ds_read_b32 v7, v7 offset:24
.LBB82_130:
	s_or_b64 exec, exec, s[0:1]
	v_readlane_b32 s0, v92, 2
	s_waitcnt lgkmcnt(0)
	v_cmp_lt_i32_e32 vcc, -1, v7
	v_readlane_b32 s1, v92, 3
	s_and_b64 s[2:3], vcc, s[0:1]
	s_and_saveexec_b64 s[0:1], s[2:3]
	s_cbranch_execz .LBB82_132
; %bb.131:
	v_add_f32_e32 v2, 0, v2
	v_add_f32_e32 v2, v2, v3
	v_add_f32_e32 v5, v2, v5
	v_mul_lo_u32 v2, v7, s58
	v_mul_lo_u32 v3, v76, s53
	v_add3_u32 v2, v6, v3, v2
	v_mov_b32_e32 v3, 0
	v_lshl_add_u64 v[2:3], v[2:3], 2, v[0:1]
	global_store_dword v[2:3], v5, off
.LBB82_132:
	s_or_b64 exec, exec, s[0:1]
	v_add_u32_e32 v2, 0x88, v4
	ds_read2st64_b32 v[2:3], v2 offset0:27 offset1:28
	ds_read_b32 v5, v4 offset:7560
	v_cmp_gt_u32_e32 vcc, 5, v74
	v_mov_b32_e32 v7, -1
	s_and_saveexec_b64 s[0:1], vcc
	s_cbranch_execz .LBB82_134
; %bb.133:
	v_mov_b32_e32 v7, 0x100
	v_lshl_add_u32 v7, v74, 2, v7
	ds_read_b32 v7, v7 offset:36
.LBB82_134:
	s_or_b64 exec, exec, s[0:1]
	v_readlane_b32 s0, v92, 4
	s_waitcnt lgkmcnt(0)
	v_cmp_lt_i32_e32 vcc, -1, v7
	v_readlane_b32 s1, v92, 5
	s_and_b64 s[2:3], vcc, s[0:1]
	s_and_saveexec_b64 s[0:1], s[2:3]
	s_cbranch_execz .LBB82_136
; %bb.135:
	v_add_f32_e32 v2, 0, v2
	v_add_f32_e32 v2, v2, v3
	v_add_f32_e32 v5, v2, v5
	v_mul_lo_u32 v2, v7, s58
	v_mul_lo_u32 v3, v77, s53
	v_add3_u32 v2, v6, v3, v2
	v_mov_b32_e32 v3, 0
	v_lshl_add_u64 v[2:3], v[2:3], 2, v[0:1]
	global_store_dword v[2:3], v5, off
.LBB82_136:
	s_or_b64 exec, exec, s[0:1]
	v_cmp_gt_u32_e32 vcc, 2, v74
	s_and_saveexec_b64 s[0:1], vcc
	s_cbranch_execz .LBB82_139
; %bb.137:
	v_mov_b32_e32 v2, 0x100
	v_lshl_add_u32 v2, v74, 2, v2
	ds_read_b32 v2, v2 offset:48
	v_readlane_b32 s0, v92, 6
	v_readlane_b32 s1, v92, 7
	s_waitcnt lgkmcnt(0)
	v_cmp_lt_i32_e32 vcc, -1, v2
	s_and_b64 s[0:1], vcc, s[0:1]
	s_and_b64 exec, exec, s[0:1]
	s_cbranch_execz .LBB82_139
; %bb.138:
	v_add_u32_e32 v3, 0xa0, v4
	ds_read2st64_b32 v[8:9], v3 offset0:36 offset1:37
	ds_read_b32 v3, v4 offset:9888
	v_mul_lo_u32 v2, v2, s58
	v_mul_lo_u32 v4, v78, s53
	v_add3_u32 v2, v6, v4, v2
	s_waitcnt lgkmcnt(1)
	v_add_f32_e32 v4, 0, v8
	v_add_f32_e32 v4, v4, v9
	s_waitcnt lgkmcnt(0)
	v_add_f32_e32 v4, v4, v3
	v_mov_b32_e32 v3, 0
	v_lshl_add_u64 v[0:1], v[2:3], 2, v[0:1]
	global_store_dword v[0:1], v4, off
.LBB82_139:
	s_endpgm
	.section	.rodata,"a",@progbits
	.p2align	6, 0x0
	.amdhsa_kernel _ZL9mul_mat_fIfLi64ELi14ELi3ELb1EEvPKT_PKfPKiPfiiiiiiiiiiiiiiii
		.amdhsa_group_segment_fixed_size 256
		.amdhsa_private_segment_fixed_size 0
		.amdhsa_kernarg_size 352
		.amdhsa_user_sgpr_count 2
		.amdhsa_user_sgpr_dispatch_ptr 0
		.amdhsa_user_sgpr_queue_ptr 0
		.amdhsa_user_sgpr_kernarg_segment_ptr 1
		.amdhsa_user_sgpr_dispatch_id 0
		.amdhsa_user_sgpr_kernarg_preload_length 0
		.amdhsa_user_sgpr_kernarg_preload_offset 0
		.amdhsa_user_sgpr_private_segment_size 0
		.amdhsa_uses_dynamic_stack 0
		.amdhsa_enable_private_segment 0
		.amdhsa_system_sgpr_workgroup_id_x 1
		.amdhsa_system_sgpr_workgroup_id_y 1
		.amdhsa_system_sgpr_workgroup_id_z 1
		.amdhsa_system_sgpr_workgroup_info 0
		.amdhsa_system_vgpr_workitem_id 2
		.amdhsa_next_free_vgpr 112
		.amdhsa_next_free_sgpr 100
		.amdhsa_accum_offset 96
		.amdhsa_reserve_vcc 1
		.amdhsa_float_round_mode_32 0
		.amdhsa_float_round_mode_16_64 0
		.amdhsa_float_denorm_mode_32 3
		.amdhsa_float_denorm_mode_16_64 3
		.amdhsa_dx10_clamp 1
		.amdhsa_ieee_mode 1
		.amdhsa_fp16_overflow 0
		.amdhsa_tg_split 0
		.amdhsa_exception_fp_ieee_invalid_op 0
		.amdhsa_exception_fp_denorm_src 0
		.amdhsa_exception_fp_ieee_div_zero 0
		.amdhsa_exception_fp_ieee_overflow 0
		.amdhsa_exception_fp_ieee_underflow 0
		.amdhsa_exception_fp_ieee_inexact 0
		.amdhsa_exception_int_div_zero 0
	.end_amdhsa_kernel
	.section	.text._ZL9mul_mat_fIfLi64ELi14ELi3ELb1EEvPKT_PKfPKiPfiiiiiiiiiiiiiiii,"axG",@progbits,_ZL9mul_mat_fIfLi64ELi14ELi3ELb1EEvPKT_PKfPKiPfiiiiiiiiiiiiiiii,comdat
.Lfunc_end82:
	.size	_ZL9mul_mat_fIfLi64ELi14ELi3ELb1EEvPKT_PKfPKiPfiiiiiiiiiiiiiiii, .Lfunc_end82-_ZL9mul_mat_fIfLi64ELi14ELi3ELb1EEvPKT_PKfPKiPfiiiiiiiiiiiiiiii
                                        ; -- End function
	.section	.AMDGPU.csdata,"",@progbits
; Kernel info:
; codeLenInByte = 8980
; NumSgprs: 106
; NumVgprs: 93
; NumAgprs: 16
; TotalNumVgprs: 112
; ScratchSize: 0
; MemoryBound: 0
; FloatMode: 240
; IeeeMode: 1
; LDSByteSize: 256 bytes/workgroup (compile time only)
; SGPRBlocks: 13
; VGPRBlocks: 13
; NumSGPRsForWavesPerEU: 106
; NumVGPRsForWavesPerEU: 112
; AccumOffset: 96
; Occupancy: 4
; WaveLimiterHint : 0
; COMPUTE_PGM_RSRC2:SCRATCH_EN: 0
; COMPUTE_PGM_RSRC2:USER_SGPR: 2
; COMPUTE_PGM_RSRC2:TRAP_HANDLER: 0
; COMPUTE_PGM_RSRC2:TGID_X_EN: 1
; COMPUTE_PGM_RSRC2:TGID_Y_EN: 1
; COMPUTE_PGM_RSRC2:TGID_Z_EN: 1
; COMPUTE_PGM_RSRC2:TIDIG_COMP_CNT: 2
; COMPUTE_PGM_RSRC3_GFX90A:ACCUM_OFFSET: 23
; COMPUTE_PGM_RSRC3_GFX90A:TG_SPLIT: 0
	.section	.text._ZL9mul_mat_fIfLi64ELi14ELi3ELb0EEvPKT_PKfPKiPfiiiiiiiiiiiiiiii,"axG",@progbits,_ZL9mul_mat_fIfLi64ELi14ELi3ELb0EEvPKT_PKfPKiPfiiiiiiiiiiiiiiii,comdat
	.globl	_ZL9mul_mat_fIfLi64ELi14ELi3ELb0EEvPKT_PKfPKiPfiiiiiiiiiiiiiiii ; -- Begin function _ZL9mul_mat_fIfLi64ELi14ELi3ELb0EEvPKT_PKfPKiPfiiiiiiiiiiiiiiii
	.p2align	8
	.type	_ZL9mul_mat_fIfLi64ELi14ELi3ELb0EEvPKT_PKfPKiPfiiiiiiiiiiiiiiii,@function
_ZL9mul_mat_fIfLi64ELi14ELi3ELb0EEvPKT_PKfPKiPfiiiiiiiiiiiiiiii: ; @_ZL9mul_mat_fIfLi64ELi14ELi3ELb0EEvPKT_PKfPKiPfiiiiiiiiiiiiiiii
; %bb.0:
	s_load_dword s5, s[0:1], 0x20
	s_load_dwordx4 s[16:19], s[0:1], 0x2c
	v_bfe_u32 v76, v0, 10, 10
	v_lshlrev_b32_e32 v78, 6, v76
	v_and_b32_e32 v77, 0x3ff, v0
	v_add_u32_e32 v80, v78, v77
	s_mov_b32 s20, 0
	s_waitcnt lgkmcnt(0)
	s_ashr_i32 s19, s4, 31
	v_cmp_le_i32_e32 vcc, s5, v80
	v_and_b32_e32 v79, 15, v77
	s_and_saveexec_b64 s[6:7], vcc
	s_xor_b64 s[6:7], exec, s[6:7]
; %bb.1:
	v_and_b32_e32 v79, 15, v77
                                        ; implicit-def: $vgpr80
; %bb.2:
	s_or_saveexec_b64 s[24:25], s[6:7]
	s_load_dwordx8 s[8:15], s[0:1], 0x40
	s_load_dwordx2 s[6:7], s[0:1], 0x18
	s_lshl_b32 s2, s2, 6
	v_accvgpr_write_b32 a4, s20
	v_accvgpr_write_b32 a5, s20
	;; [unrolled: 1-line block ×16, first 2 shown]
	s_xor_b64 exec, exec, s[24:25]
	s_cbranch_execz .LBB83_6
; %bb.3:
	s_waitcnt lgkmcnt(0)
	s_abs_i32 s26, s8
	v_cvt_f32_u32_e32 v0, s26
	s_abs_i32 s27, s12
	v_cvt_f32_u32_e32 v1, s27
	s_sub_i32 s20, 0, s26
	v_rcp_iflag_f32_e32 v0, v0
	s_abs_i32 s28, s3
	v_rcp_iflag_f32_e32 v1, v1
	s_sub_i32 s21, 0, s27
	v_mul_f32_e32 v0, 0x4f7ffffe, v0
	v_cvt_u32_f32_e32 v0, v0
	v_mul_f32_e32 v1, 0x4f7ffffe, v1
	v_cvt_u32_f32_e32 v1, v1
	s_abs_i32 s29, s4
	v_mul_lo_u32 v2, s20, v0
	v_mul_hi_u32 v2, v0, v2
	v_add_u32_e32 v0, v0, v2
	v_mul_hi_u32 v0, s28, v0
	v_mul_lo_u32 v3, s21, v1
	v_mul_lo_u32 v2, v0, s26
	v_mul_hi_u32 v3, v1, v3
	v_sub_u32_e32 v2, s28, v2
	v_add_u32_e32 v1, v1, v3
	v_add_u32_e32 v3, 1, v0
	v_subrev_u32_e32 v4, s26, v2
	v_cmp_le_u32_e32 vcc, s26, v2
	s_load_dwordx4 s[20:23], s[0:1], 0x0
	s_ashr_i32 s0, s3, 31
	v_cndmask_b32_e32 v0, v0, v3, vcc
	v_cndmask_b32_e32 v2, v2, v4, vcc
	s_ashr_i32 s1, s8, 31
	v_add_u32_e32 v3, 1, v0
	v_cmp_le_u32_e32 vcc, s26, v2
	s_xor_b32 s0, s0, s1
	v_mul_hi_u32 v1, s29, v1
	v_cndmask_b32_e32 v0, v0, v3, vcc
	v_xor_b32_e32 v0, s0, v0
	v_subrev_u32_e32 v2, s0, v0
	v_mul_lo_u32 v0, v1, s27
	v_sub_u32_e32 v0, s29, v0
	v_add_u32_e32 v3, 1, v1
	v_subrev_u32_e32 v4, s27, v0
	v_cmp_le_u32_e32 vcc, s27, v0
	s_ashr_i32 s8, s12, 31
	s_xor_b32 s0, s19, s8
	v_cndmask_b32_e32 v1, v1, v3, vcc
	v_cndmask_b32_e32 v0, v0, v4, vcc
	v_add_u32_e32 v3, 1, v1
	v_cmp_le_u32_e32 vcc, s27, v0
	v_mul_lo_u32 v2, v2, s9
	s_mul_i32 s12, s3, s10
	v_cndmask_b32_e32 v0, v1, v3, vcc
	v_xor_b32_e32 v0, s0, v0
	v_subrev_u32_e32 v0, s0, v0
	v_mul_hi_i32 v1, v0, s13
	v_mul_lo_u32 v0, v0, s13
	v_ashrrev_i32_e32 v3, 31, v2
	s_mul_i32 s0, s2, s16
	s_ashr_i32 s1, s0, 31
	v_lshlrev_b64 v[4:5], 2, v[0:1]
	v_lshlrev_b64 v[0:1], 2, v[2:3]
	s_mul_hi_i32 s9, s14, s4
	s_mul_i32 s8, s14, s4
	s_lshl_b64 s[0:1], s[0:1], 2
	s_waitcnt lgkmcnt(0)
	v_lshl_add_u64 v[0:1], s[20:21], 0, v[0:1]
	s_ashr_i32 s13, s12, 31
	v_lshl_add_u64 v[6:7], v[0:1], 0, s[0:1]
	s_lshl_b64 s[8:9], s[8:9], 2
	s_lshl_b64 s[0:1], s[12:13], 2
	s_add_u32 s12, s22, s0
	s_addc_u32 s13, s23, s1
	s_movk_i32 s10, 0x1080
	v_lshrrev_b32_e32 v9, 1, v77
	s_add_u32 s0, s12, s8
	v_mad_u32_u24 v3, v76, s10, 0
	v_lshlrev_b32_e32 v2, 2, v77
	v_mul_u32_u24_e32 v8, 0x108, v79
	v_and_b32_e32 v9, 0x1f8, v9
	s_addc_u32 s1, s13, s9
	v_add_u32_e32 v81, v3, v2
	v_add3_u32 v82, v3, v8, v9
	s_ashr_i32 s21, s16, 31
	s_mov_b32 s20, s16
	v_mov_b32_e32 v3, 0
	v_lshlrev_b32_e32 v8, 8, v76
	v_mov_b32_e32 v9, v3
	s_lshl_b64 s[20:21], s[20:21], 2
	v_lshl_add_u64 v[0:1], v[6:7], 0, v[4:5]
	s_ashr_i32 s23, s17, 31
	s_mov_b32 s22, s17
	v_lshl_add_u64 v[10:11], v[4:5], 0, v[8:9]
	v_lshl_add_u64 v[4:5], v[6:7], 0, s[20:21]
	;; [unrolled: 1-line block ×5, first 2 shown]
	s_lshl_b64 s[8:9], s[22:23], 2
	s_add_u32 s8, s12, s8
	s_addc_u32 s9, s13, s9
	v_lshl_add_u64 v[8:9], s[8:9], 0, v[10:11]
	v_lshl_add_u64 v[10:11], s[12:13], 0, v[10:11]
	s_lshl_b32 s10, s17, 1
	s_mul_i32 s14, s17, 3
	s_lshl_b32 s19, s17, 2
	s_mul_i32 s20, s17, 5
	s_mul_i32 s21, s17, 6
	;; [unrolled: 1-line block ×3, first 2 shown]
	s_lshl_b32 s23, s17, 3
	s_mul_i32 s26, s17, 9
	s_mul_i32 s27, s17, 10
	;; [unrolled: 1-line block ×5, first 2 shown]
	s_lshl_b32 s30, s16, 1
	s_mul_i32 s31, s16, 3
	s_lshl_b32 s33, s16, 2
	s_mul_i32 s34, s16, 5
	s_mul_i32 s35, s16, 6
	;; [unrolled: 1-line block ×3, first 2 shown]
	s_lshl_b32 s37, s16, 3
	s_mul_i32 s38, s16, 9
	s_mul_i32 s39, s16, 10
	;; [unrolled: 1-line block ×7, first 2 shown]
	s_lshl_b32 s45, s16, 4
	s_mul_i32 s46, s16, 17
	s_mul_i32 s47, s16, 18
	;; [unrolled: 1-line block ×15, first 2 shown]
	s_lshl_b32 s61, s16, 5
	s_mul_i32 s62, s16, 33
	s_mul_i32 s63, s16, 34
	;; [unrolled: 1-line block ×16, first 2 shown]
	v_mov_b32_e32 v83, 0
	v_accvgpr_write_b32 a15, 0
	v_accvgpr_write_b32 a14, 0
	;; [unrolled: 1-line block ×16, first 2 shown]
	s_mul_i32 s78, s16, 49
	s_mul_i32 s79, s16, 50
	;; [unrolled: 1-line block ×15, first 2 shown]
	s_mov_b64 s[8:9], 0
	s_mov_b64 s[12:13], 0x300
.LBB83_4:                               ; =>This Inner Loop Header: Depth=1
	v_add_u32_e32 v56, s30, v80
	v_add_u32_e32 v50, s31, v80
	;; [unrolled: 1-line block ×18, first 2 shown]
	v_ashrrev_i32_e32 v57, 31, v56
	v_ashrrev_i32_e32 v51, 31, v50
	;; [unrolled: 1-line block ×9, first 2 shown]
	v_lshl_add_u64 v[60:61], v[6:7], 0, v[2:3]
	v_lshl_add_u64 v[58:59], v[4:5], 0, v[2:3]
	v_add_u32_e32 v30, s47, v80
	v_add_u32_e32 v14, s50, v80
	v_add_u32_e32 v20, s51, v80
	v_lshl_add_u64 v[84:85], v[10:11], 0, v[2:3]
	v_lshl_add_u64 v[88:89], v[8:9], 0, v[2:3]
	;; [unrolled: 1-line block ×5, first 2 shown]
	v_ashrrev_i32_e32 v53, 31, v52
	v_lshl_add_u64 v[46:47], v[46:47], 2, v[0:1]
	v_ashrrev_i32_e32 v49, 31, v48
	v_lshl_add_u64 v[42:43], v[42:43], 2, v[0:1]
	;; [unrolled: 2-line block ×4, first 2 shown]
	v_lshl_add_u64 v[28:29], v[28:29], 2, v[0:1]
	v_lshl_add_u64 v[34:35], v[34:35], 2, v[0:1]
	v_ashrrev_i32_e32 v23, 31, v22
	v_ashrrev_i32_e32 v37, 31, v36
	;; [unrolled: 1-line block ×5, first 2 shown]
	v_add_u32_e32 v12, s52, v80
	v_add_u32_e32 v16, s53, v80
	global_load_dword v86, v[60:61], off
	global_load_dword v87, v[58:59], off
	s_nop 0
	global_load_dword v84, v[84:85], off
	v_lshl_add_u64 v[48:49], v[48:49], 2, v[0:1]
	global_load_dword v85, v[88:89], off
	v_lshl_add_u64 v[44:45], v[44:45], 2, v[0:1]
	global_load_dword v88, v[56:57], off
	global_load_dword v54, v[50:51], off
	;; [unrolled: 1-line block ×3, first 2 shown]
	v_lshl_add_u64 v[90:91], v[52:53], 2, v[0:1]
	global_load_dword v52, v[46:47], off
	global_load_dword v53, v[90:91], off
	s_nop 0
	global_load_dword v42, v[42:43], off
	s_nop 0
	;; [unrolled: 2-line block ×4, first 2 shown]
	global_load_dword v39, v[44:45], off
	v_lshl_add_u64 v[40:41], v[40:41], 2, v[0:1]
	global_load_dword v32, v[32:33], off
	s_nop 0
	global_load_dword v33, v[40:41], off
	s_nop 0
	;; [unrolled: 2-line block ×3, first 2 shown]
	global_load_dword v29, v[34:35], off
	v_lshl_add_u64 v[22:23], v[22:23], 2, v[0:1]
	v_lshl_add_u64 v[34:35], v[36:37], 2, v[0:1]
	v_ashrrev_i32_e32 v31, 31, v30
	v_lshl_add_u64 v[24:25], v[24:25], 2, v[0:1]
	v_lshl_add_u64 v[18:19], v[18:19], 2, v[0:1]
	;; [unrolled: 1-line block ×3, first 2 shown]
	v_ashrrev_i32_e32 v15, 31, v14
	v_ashrrev_i32_e32 v21, 31, v20
	v_add_u32_e32 v70, s54, v80
	v_add_u32_e32 v74, s55, v80
	global_load_dword v23, v[22:23], off
	s_nop 0
	global_load_dword v22, v[34:35], off
	v_lshl_add_u64 v[30:31], v[30:31], 2, v[0:1]
	global_load_dword v24, v[24:25], off
	s_nop 0
	global_load_dword v25, v[30:31], off
	global_load_dword v34, v[18:19], off
	;; [unrolled: 1-line block ×3, first 2 shown]
	v_lshl_add_u64 v[14:15], v[14:15], 2, v[0:1]
	v_lshl_add_u64 v[26:27], v[20:21], 2, v[0:1]
	v_ashrrev_i32_e32 v13, 31, v12
	v_ashrrev_i32_e32 v17, 31, v16
	v_add_u32_e32 v66, s56, v80
	v_add_u32_e32 v72, s57, v80
	;; [unrolled: 1-line block ×8, first 2 shown]
	global_load_dword v20, v[14:15], off
	global_load_dword v21, v[26:27], off
	v_lshl_add_u64 v[12:13], v[12:13], 2, v[0:1]
	v_lshl_add_u64 v[26:27], v[16:17], 2, v[0:1]
	v_ashrrev_i32_e32 v71, 31, v70
	v_ashrrev_i32_e32 v75, 31, v74
	v_add_u32_e32 v68, s59, v80
	v_add_u32_e32 v60, s61, v80
	;; [unrolled: 1-line block ×6, first 2 shown]
	global_load_dword v16, v[12:13], off
	global_load_dword v17, v[26:27], off
	v_lshl_add_u64 v[26:27], v[70:71], 2, v[0:1]
	v_lshl_add_u64 v[44:45], v[74:75], 2, v[0:1]
	v_ashrrev_i32_e32 v67, 31, v66
	v_ashrrev_i32_e32 v73, 31, v72
	;; [unrolled: 1-line block ×8, first 2 shown]
	v_add_u32_e32 v94, s70, v80
	v_add_u32_e32 v18, s72, v80
	global_load_dword v36, v[26:27], off
	global_load_dword v37, v[44:45], off
	v_lshl_add_u64 v[44:45], v[66:67], 2, v[0:1]
	v_lshl_add_u64 v[66:67], v[72:73], 2, v[0:1]
	v_ashrrev_i32_e32 v69, 31, v68
	v_lshl_add_u64 v[64:65], v[64:65], 2, v[0:1]
	v_ashrrev_i32_e32 v61, 31, v60
	;; [unrolled: 2-line block ×4, first 2 shown]
	v_lshl_add_u64 v[50:51], v[50:51], 2, v[0:1]
	v_lshl_add_u64 v[48:49], v[48:49], 2, v[0:1]
	;; [unrolled: 1-line block ×3, first 2 shown]
	v_ashrrev_i32_e32 v41, 31, v40
	v_ashrrev_i32_e32 v93, 31, v92
	v_add_u32_e32 v30, s71, v80
	v_add_u32_e32 v14, s73, v80
	;; [unrolled: 1-line block ×4, first 2 shown]
	global_load_dword v44, v[44:45], off
	s_nop 0
	global_load_dword v45, v[66:67], off
	v_lshl_add_u64 v[68:69], v[68:69], 2, v[0:1]
	global_load_dword v64, v[64:65], off
	s_nop 0
	global_load_dword v65, v[68:69], off
	v_lshl_add_u64 v[70:71], v[60:61], 2, v[0:1]
	global_load_dword v61, v[62:63], off
	global_load_dword v60, v[70:71], off
	v_lshl_add_u64 v[56:57], v[56:57], 2, v[0:1]
	global_load_dword v62, v[58:59], off
	;; [unrolled: 3-line block ×3, first 2 shown]
	global_load_dword v47, v[58:59], off
	s_nop 0
	global_load_dword v50, v[48:49], off
	global_load_dword v51, v[72:73], off
	v_lshl_add_u64 v[40:41], v[40:41], 2, v[0:1]
	v_lshl_add_u64 v[72:73], v[92:93], 2, v[0:1]
	v_ashrrev_i32_e32 v95, 31, v94
	v_ashrrev_i32_e32 v19, 31, v18
	v_add_u32_e32 v66, s76, v80
	v_add_u32_e32 v68, s77, v80
	global_load_dword v74, v[40:41], off
	global_load_dword v75, v[72:73], off
	v_ashrrev_i32_e32 v31, 31, v30
	v_lshl_add_u64 v[72:73], v[94:95], 2, v[0:1]
	v_ashrrev_i32_e32 v15, 31, v14
	v_lshl_add_u64 v[18:19], v[18:19], 2, v[0:1]
	v_ashrrev_i32_e32 v13, 31, v12
	v_ashrrev_i32_e32 v27, 31, v26
	v_add_u32_e32 v70, s78, v80
	v_add_u32_e32 v56, s79, v80
	v_lshl_add_u64 v[30:31], v[30:31], 2, v[0:1]
	global_load_dword v72, v[72:73], off
	s_nop 0
	global_load_dword v73, v[30:31], off
	v_lshl_add_u64 v[14:15], v[14:15], 2, v[0:1]
	global_load_dword v90, v[18:19], off
	global_load_dword v91, v[14:15], off
	v_lshl_add_u64 v[12:13], v[12:13], 2, v[0:1]
	v_lshl_add_u64 v[18:19], v[26:27], 2, v[0:1]
	v_ashrrev_i32_e32 v67, 31, v66
	v_ashrrev_i32_e32 v69, 31, v68
	v_add_u32_e32 v58, s80, v80
	v_add_u32_e32 v48, s81, v80
	;; [unrolled: 1-line block ×4, first 2 shown]
	global_load_dword v92, v[12:13], off
	global_load_dword v93, v[18:19], off
	v_add_u32_e32 v12, s85, v80
	v_lshl_add_u64 v[18:19], v[66:67], 2, v[0:1]
	v_lshl_add_u64 v[26:27], v[68:69], 2, v[0:1]
	v_ashrrev_i32_e32 v71, 31, v70
	v_ashrrev_i32_e32 v57, 31, v56
	v_add_u32_e32 v30, s83, v80
	global_load_dword v68, v[18:19], off
	global_load_dword v69, v[26:27], off
	v_add_u32_e32 v18, s86, v80
	v_lshl_add_u64 v[26:27], v[70:71], 2, v[0:1]
	v_lshl_add_u64 v[56:57], v[56:57], 2, v[0:1]
	v_ashrrev_i32_e32 v59, 31, v58
	v_ashrrev_i32_e32 v49, 31, v48
	;; [unrolled: 1-line block ×5, first 2 shown]
	global_load_dword v94, v[26:27], off
	global_load_dword v95, v[56:57], off
	v_add_u32_e32 v26, s87, v80
	v_lshl_add_u64 v[56:57], v[58:59], 2, v[0:1]
	v_lshl_add_u64 v[48:49], v[48:49], 2, v[0:1]
	v_ashrrev_i32_e32 v31, 31, v30
	v_lshl_add_u64 v[40:41], v[40:41], 2, v[0:1]
	v_lshl_add_u64 v[14:15], v[14:15], 2, v[0:1]
	;; [unrolled: 1-line block ×3, first 2 shown]
	v_ashrrev_i32_e32 v19, 31, v18
	global_load_dword v96, v[56:57], off
	global_load_dword v97, v[48:49], off
	v_add_u32_e32 v48, s88, v80
	v_lshl_add_u64 v[30:31], v[30:31], 2, v[0:1]
	global_load_dword v98, v[40:41], off
	global_load_dword v99, v[30:31], off
	;; [unrolled: 1-line block ×4, first 2 shown]
	v_add_u32_e32 v12, s90, v80
	v_ashrrev_i32_e32 v27, 31, v26
	v_lshl_add_u64 v[14:15], v[18:19], 2, v[0:1]
	v_add_u32_e32 v30, s89, v80
	v_lshl_add_u64 v[18:19], v[26:27], 2, v[0:1]
	global_load_dword v102, v[14:15], off
	global_load_dword v103, v[18:19], off
	v_add_u32_e32 v14, s91, v80
	v_ashrrev_i32_e32 v49, 31, v48
	v_ashrrev_i32_e32 v13, 31, v12
	;; [unrolled: 1-line block ×3, first 2 shown]
	v_lshl_add_u64 v[18:19], v[48:49], 2, v[0:1]
	v_ashrrev_i32_e32 v15, 31, v14
	v_lshl_add_u64 v[12:13], v[12:13], 2, v[0:1]
	v_lshl_add_u64 v[26:27], v[30:31], 2, v[0:1]
	global_load_dword v104, v[18:19], off
	global_load_dword v105, v[26:27], off
	v_add_u32_e32 v18, s16, v80
	v_lshl_add_u64 v[14:15], v[14:15], 2, v[0:1]
	global_load_dword v106, v[12:13], off
	global_load_dword v107, v[14:15], off
	v_add_u32_e32 v12, s10, v80
	v_ashrrev_i32_e32 v19, 31, v18
	v_ashrrev_i32_e32 v13, 31, v12
	v_lshl_add_u64 v[14:15], v[18:19], 2, v[0:1]
	v_lshl_add_u64 v[12:13], v[12:13], 2, s[0:1]
	global_load_dword v108, v[14:15], off
	global_load_dword v109, v[12:13], off
	v_add_u32_e32 v12, s14, v80
	v_ashrrev_i32_e32 v13, 31, v12
	v_lshl_add_u64 v[12:13], v[12:13], 2, s[0:1]
	global_load_dword v110, v[12:13], off
	v_add_u32_e32 v12, s19, v80
	v_ashrrev_i32_e32 v13, 31, v12
	v_lshl_add_u64 v[12:13], v[12:13], 2, s[0:1]
	;; [unrolled: 4-line block ×11, first 2 shown]
	global_load_dword v119, v[12:13], off
	s_waitcnt vmcnt(62)
	ds_write_b32 v81, v86
	ds_write_b32 v81, v87 offset:264
	ds_write_b32 v81, v88 offset:528
	;; [unrolled: 1-line block ×13, first 2 shown]
	s_waitcnt vmcnt(61)
	ds_write_b32 v81, v29 offset:3696
	s_waitcnt vmcnt(60)
	ds_write_b32 v81, v23 offset:3960
	ds_read_b64 v[58:59], v82
	ds_read_b64 v[48:49], v82 offset:32
	ds_read_b64 v[40:41], v82 offset:64
	ds_read_b64 v[30:31], v82 offset:96
	ds_read_b64 v[26:27], v82 offset:128
	ds_read_b64 v[18:19], v82 offset:160
	ds_read_b64 v[14:15], v82 offset:192
	ds_read_b64 v[12:13], v82 offset:224
	s_waitcnt vmcnt(59)
	ds_write_b32 v81, v22
	s_waitcnt vmcnt(58)
	ds_write_b32 v81, v24 offset:264
	s_waitcnt vmcnt(57)
	ds_write_b32 v81, v25 offset:528
	s_waitcnt vmcnt(56)
	ds_write_b32 v81, v34 offset:792
	s_waitcnt vmcnt(55)
	ds_write_b32 v81, v35 offset:1056
	s_waitcnt vmcnt(54)
	ds_write_b32 v81, v20 offset:1320
	s_waitcnt vmcnt(53)
	ds_write_b32 v81, v21 offset:1584
	s_waitcnt vmcnt(52)
	ds_write_b32 v81, v16 offset:1848
	s_waitcnt vmcnt(51)
	ds_write_b32 v81, v17 offset:2112
	s_waitcnt vmcnt(50)
	ds_write_b32 v81, v36 offset:2376
	s_waitcnt vmcnt(49)
	ds_write_b32 v81, v37 offset:2640
	s_waitcnt vmcnt(48)
	ds_write_b32 v81, v44 offset:2904
	s_waitcnt vmcnt(47)
	ds_write_b32 v81, v45 offset:3168
	s_waitcnt vmcnt(46)
	ds_write_b32 v81, v64 offset:3432
	s_waitcnt vmcnt(45)
	ds_write_b32 v81, v65 offset:3696
	s_waitcnt vmcnt(44)
	ds_write_b32 v81, v61 offset:3960
	ds_read_b64 v[66:67], v82
	ds_read_b64 v[56:57], v82 offset:32
	ds_read_b64 v[52:53], v82 offset:64
	ds_read_b64 v[38:39], v82 offset:96
	ds_read_b64 v[36:37], v82 offset:128
	ds_read_b64 v[24:25], v82 offset:160
	ds_read_b64 v[20:21], v82 offset:192
	ds_read_b64 v[16:17], v82 offset:224
	s_waitcnt vmcnt(43)
	ds_write_b32 v81, v60
	s_waitcnt vmcnt(42)
	ds_write_b32 v81, v62 offset:264
	s_waitcnt vmcnt(41)
	ds_write_b32 v81, v63 offset:528
	s_waitcnt vmcnt(40)
	ds_write_b32 v81, v46 offset:792
	s_waitcnt vmcnt(39)
	ds_write_b32 v81, v47 offset:1056
	s_waitcnt vmcnt(38)
	ds_write_b32 v81, v50 offset:1320
	s_waitcnt vmcnt(37)
	ds_write_b32 v81, v51 offset:1584
	s_waitcnt vmcnt(36)
	ds_write_b32 v81, v74 offset:1848
	s_waitcnt vmcnt(35)
	ds_write_b32 v81, v75 offset:2112
	s_waitcnt vmcnt(34)
	ds_write_b32 v81, v72 offset:2376
	s_waitcnt vmcnt(33)
	ds_write_b32 v81, v73 offset:2640
	s_waitcnt vmcnt(32)
	ds_write_b32 v81, v90 offset:2904
	s_waitcnt vmcnt(31)
	ds_write_b32 v81, v91 offset:3168
	s_waitcnt vmcnt(30)
	ds_write_b32 v81, v92 offset:3432
	s_waitcnt vmcnt(29)
	ds_write_b32 v81, v93 offset:3696
	s_waitcnt vmcnt(28)
	ds_write_b32 v81, v68 offset:3960
	ds_read_b64 v[70:71], v82
	ds_read_b64 v[64:65], v82 offset:32
	ds_read_b64 v[62:63], v82 offset:64
	ds_read_b64 v[50:51], v82 offset:96
	ds_read_b64 v[46:47], v82 offset:128
	ds_read_b64 v[34:35], v82 offset:160
	ds_read_b64 v[32:33], v82 offset:192
	ds_read_b64 v[22:23], v82 offset:224
	s_waitcnt vmcnt(27)
	ds_write_b32 v81, v69
	s_waitcnt vmcnt(26)
	ds_write_b32 v81, v94 offset:264
	s_waitcnt vmcnt(25)
	ds_write_b32 v81, v95 offset:528
	s_waitcnt vmcnt(24)
	ds_write_b32 v81, v96 offset:792
	s_waitcnt vmcnt(23)
	ds_write_b32 v81, v97 offset:1056
	s_waitcnt vmcnt(22)
	ds_write_b32 v81, v98 offset:1320
	s_waitcnt vmcnt(21)
	ds_write_b32 v81, v99 offset:1584
	s_waitcnt vmcnt(20)
	ds_write_b32 v81, v100 offset:1848
	s_waitcnt vmcnt(19)
	ds_write_b32 v81, v101 offset:2112
	s_waitcnt vmcnt(18)
	ds_write_b32 v81, v102 offset:2376
	s_waitcnt vmcnt(17)
	ds_write_b32 v81, v103 offset:2640
	s_waitcnt vmcnt(16)
	ds_write_b32 v81, v104 offset:2904
	s_waitcnt vmcnt(15)
	ds_write_b32 v81, v105 offset:3168
	s_waitcnt vmcnt(14)
	ds_write_b32 v81, v106 offset:3432
	s_waitcnt vmcnt(13)
	ds_write_b32 v81, v107 offset:3696
	s_waitcnt vmcnt(12)
	ds_write_b32 v81, v108 offset:3960
	ds_read_b64 v[74:75], v82
	ds_read_b64 v[72:73], v82 offset:32
	ds_read_b64 v[68:69], v82 offset:64
	;; [unrolled: 1-line block ×7, first 2 shown]
	ds_write_b32 v81, v84
	ds_write_b32 v81, v85 offset:264
	s_waitcnt vmcnt(11)
	ds_write_b32 v81, v109 offset:528
	s_waitcnt vmcnt(10)
	;; [unrolled: 2-line block ×12, first 2 shown]
	ds_write_b32 v81, v119 offset:3432
	ds_write_b32 v81, v83 offset:3696
	;; [unrolled: 1-line block ×3, first 2 shown]
	ds_read_b64 v[84:85], v82
	s_waitcnt lgkmcnt(0)
	v_mfma_f32_16x16x8_xf32 a[12:15], v[58:59], v[84:85], a[12:15]
	ds_read_b64 v[58:59], v82 offset:32
	v_add_u32_e32 v80, 0xc0, v80
	v_cmp_le_i32_e32 vcc, s5, v80
	s_waitcnt lgkmcnt(0)
	v_mfma_f32_16x16x8_xf32 a[12:15], v[48:49], v[58:59], a[12:15]
	ds_read_b64 v[48:49], v82 offset:64
	v_lshl_add_u64 v[4:5], v[4:5], 0, s[12:13]
	v_lshl_add_u64 v[6:7], v[6:7], 0, s[12:13]
	v_mfma_f32_16x16x8_xf32 a[8:11], v[66:67], v[84:85], a[8:11]
	v_lshl_add_u64 v[8:9], v[8:9], 0, s[12:13]
	s_or_b64 s[8:9], vcc, s[8:9]
	v_lshl_add_u64 v[10:11], v[10:11], 0, s[12:13]
	v_mfma_f32_16x16x8_xf32 a[0:3], v[70:71], v[84:85], a[0:3]
	v_mfma_f32_16x16x8_xf32 a[4:7], v[74:75], v[84:85], a[4:7]
	s_waitcnt lgkmcnt(0)
	v_mfma_f32_16x16x8_xf32 a[12:15], v[40:41], v[48:49], a[12:15]
	ds_read_b64 v[40:41], v82 offset:96
	v_mfma_f32_16x16x8_xf32 a[8:11], v[56:57], v[58:59], a[8:11]
	v_mfma_f32_16x16x8_xf32 a[0:3], v[64:65], v[58:59], a[0:3]
	;; [unrolled: 1-line block ×6, first 2 shown]
	s_waitcnt lgkmcnt(0)
	v_mfma_f32_16x16x8_xf32 a[12:15], v[30:31], v[40:41], a[12:15]
	ds_read_b64 v[30:31], v82 offset:128
	v_mfma_f32_16x16x8_xf32 a[8:11], v[38:39], v[40:41], a[8:11]
	v_mfma_f32_16x16x8_xf32 a[0:3], v[50:51], v[40:41], a[0:3]
	v_mfma_f32_16x16x8_xf32 a[4:7], v[60:61], v[40:41], a[4:7]
	s_waitcnt lgkmcnt(0)
	v_mfma_f32_16x16x8_xf32 a[12:15], v[26:27], v[30:31], a[12:15]
	ds_read_b64 v[26:27], v82 offset:160
	v_mfma_f32_16x16x8_xf32 a[8:11], v[36:37], v[30:31], a[8:11]
	v_mfma_f32_16x16x8_xf32 a[0:3], v[46:47], v[30:31], a[0:3]
	v_mfma_f32_16x16x8_xf32 a[4:7], v[54:55], v[30:31], a[4:7]
	;; [unrolled: 6-line block ×4, first 2 shown]
	s_waitcnt lgkmcnt(0)
	v_mfma_f32_16x16x8_xf32 a[12:15], v[12:13], v[14:15], a[12:15]
	v_mfma_f32_16x16x8_xf32 a[8:11], v[16:17], v[14:15], a[8:11]
	;; [unrolled: 1-line block ×4, first 2 shown]
	s_andn2_b64 exec, exec, s[8:9]
	s_cbranch_execnz .LBB83_4
; %bb.5:
	s_or_b64 exec, exec, s[8:9]
.LBB83_6:
	s_or_b64 exec, exec, s[24:25]
	s_waitcnt lgkmcnt(0)
	s_mul_hi_i32 s1, s15, s4
	s_mul_i32 s0, s15, s4
	s_lshl_b64 s[0:1], s[0:1], 2
	s_mul_i32 s4, s3, s11
	s_add_u32 s3, s6, s0
	v_mul_u32_u24_e32 v0, 0x308, v79
	v_lshlrev_b32_e32 v1, 2, v78
	v_or_b32_e32 v2, 12, v77
	s_addc_u32 s6, s7, s1
	s_ashr_i32 s5, s4, 31
	v_add3_u32 v0, 0, v0, v1
	v_and_b32_e32 v1, 0x3f0, v77
	v_and_b32_e32 v2, 0x3fc, v2
	s_lshl_b64 s[0:1], s[4:5], 2
	v_add_u32_e32 v1, v0, v1
	v_add_u32_e32 v0, v0, v2
	s_add_u32 s0, s3, s0
	s_barrier
	s_movk_i32 s3, 0x308
	ds_write2_b32 v1, a12, a13 offset1:1
	ds_write_b32 v1, a14 offset:8
	ds_write_b32 v0, a15
	ds_write2_b32 v1, a8, a9 offset0:16 offset1:17
	ds_write_b32 v1, a10 offset:72
	ds_write_b32 v0, a11 offset:64
	ds_write2_b32 v1, a0, a1 offset0:32 offset1:33
	ds_write_b32 v1, a2 offset:136
	ds_write_b32 v0, a3 offset:128
	;; [unrolled: 3-line block ×3, first 2 shown]
	v_lshl_add_u32 v1, v77, 2, 0
	v_mad_u32_u24 v8, v76, s3, v1
	s_waitcnt lgkmcnt(0)
	s_barrier
	ds_read2st64_b32 v[2:3], v8 offset1:1
	ds_read_b32 v4, v8 offset:512
	ds_read_b32 v9, v8 offset:2840
	;; [unrolled: 1-line block ×4, first 2 shown]
	s_waitcnt lgkmcnt(4)
	v_add_f32_e32 v2, 0, v2
	v_add_f32_e32 v2, v2, v3
	s_waitcnt lgkmcnt(3)
	v_add_f32_e32 v12, v2, v4
	v_add_u32_e32 v2, 24, v8
	ds_read2st64_b32 v[4:5], v2 offset0:9 offset1:10
	v_add_u32_e32 v0, s2, v77
	v_mad_u64_u32 v[2:3], s[4:5], v76, s18, v[0:1]
	s_addc_u32 s1, s6, s1
	s_waitcnt lgkmcnt(0)
	v_add_f32_e32 v4, 0, v4
	v_add_f32_e32 v4, v4, v5
	v_add_f32_e32 v9, v4, v9
	v_add_u32_e32 v4, 48, v8
	ds_read2st64_b32 v[4:5], v4 offset0:18 offset1:19
	v_mov_b32_e32 v3, 0
	s_mul_i32 s2, s18, 3
	v_lshl_add_u64 v[6:7], v[2:3], 2, s[0:1]
	v_add_u32_e32 v2, s2, v2
	global_store_dword v[6:7], v12, off
	v_lshl_add_u64 v[6:7], v[2:3], 2, s[0:1]
	s_waitcnt lgkmcnt(0)
	v_add_f32_e32 v4, 0, v4
	global_store_dword v[6:7], v9, off
	v_add_f32_e32 v6, v4, v5
	v_add_u32_e32 v4, 0x48, v8
	ds_read2st64_b32 v[4:5], v4 offset0:27 offset1:28
	v_add_u32_e32 v2, s2, v2
	v_add_f32_e32 v8, v6, v10
	v_lshl_add_u64 v[6:7], v[2:3], 2, s[0:1]
	v_add_u32_e32 v2, s2, v2
	s_waitcnt lgkmcnt(0)
	v_add_f32_e32 v4, 0, v4
	v_add_f32_e32 v4, v4, v5
	global_store_dword v[6:7], v8, off
	v_add_f32_e32 v6, v4, v11
	v_lshl_add_u64 v[4:5], v[2:3], 2, s[0:1]
	v_cmp_gt_u32_e32 vcc, 2, v76
	global_store_dword v[4:5], v6, off
	s_and_saveexec_b64 s[4:5], vcc
	s_cbranch_execz .LBB83_8
; %bb.7:
	v_or_b32_e32 v2, 12, v76
	v_mad_u32_u24 v1, v2, s3, v1
	ds_read2st64_b32 v[4:5], v1 offset1:1
	ds_read_b32 v6, v1 offset:512
	v_mad_u64_u32 v[0:1], s[2:3], v2, s18, v[0:1]
	v_mov_b32_e32 v1, v3
	s_waitcnt lgkmcnt(1)
	v_add_f32_e32 v2, 0, v4
	v_add_f32_e32 v2, v2, v5
	s_waitcnt lgkmcnt(0)
	v_add_f32_e32 v2, v2, v6
	v_lshl_add_u64 v[0:1], v[0:1], 2, s[0:1]
	global_store_dword v[0:1], v2, off
.LBB83_8:
	s_endpgm
	.section	.rodata,"a",@progbits
	.p2align	6, 0x0
	.amdhsa_kernel _ZL9mul_mat_fIfLi64ELi14ELi3ELb0EEvPKT_PKfPKiPfiiiiiiiiiiiiiiii
		.amdhsa_group_segment_fixed_size 0
		.amdhsa_private_segment_fixed_size 0
		.amdhsa_kernarg_size 96
		.amdhsa_user_sgpr_count 2
		.amdhsa_user_sgpr_dispatch_ptr 0
		.amdhsa_user_sgpr_queue_ptr 0
		.amdhsa_user_sgpr_kernarg_segment_ptr 1
		.amdhsa_user_sgpr_dispatch_id 0
		.amdhsa_user_sgpr_kernarg_preload_length 0
		.amdhsa_user_sgpr_kernarg_preload_offset 0
		.amdhsa_user_sgpr_private_segment_size 0
		.amdhsa_uses_dynamic_stack 0
		.amdhsa_enable_private_segment 0
		.amdhsa_system_sgpr_workgroup_id_x 1
		.amdhsa_system_sgpr_workgroup_id_y 1
		.amdhsa_system_sgpr_workgroup_id_z 1
		.amdhsa_system_sgpr_workgroup_info 0
		.amdhsa_system_vgpr_workitem_id 1
		.amdhsa_next_free_vgpr 136
		.amdhsa_next_free_sgpr 92
		.amdhsa_accum_offset 120
		.amdhsa_reserve_vcc 1
		.amdhsa_float_round_mode_32 0
		.amdhsa_float_round_mode_16_64 0
		.amdhsa_float_denorm_mode_32 3
		.amdhsa_float_denorm_mode_16_64 3
		.amdhsa_dx10_clamp 1
		.amdhsa_ieee_mode 1
		.amdhsa_fp16_overflow 0
		.amdhsa_tg_split 0
		.amdhsa_exception_fp_ieee_invalid_op 0
		.amdhsa_exception_fp_denorm_src 0
		.amdhsa_exception_fp_ieee_div_zero 0
		.amdhsa_exception_fp_ieee_overflow 0
		.amdhsa_exception_fp_ieee_underflow 0
		.amdhsa_exception_fp_ieee_inexact 0
		.amdhsa_exception_int_div_zero 0
	.end_amdhsa_kernel
	.section	.text._ZL9mul_mat_fIfLi64ELi14ELi3ELb0EEvPKT_PKfPKiPfiiiiiiiiiiiiiiii,"axG",@progbits,_ZL9mul_mat_fIfLi64ELi14ELi3ELb0EEvPKT_PKfPKiPfiiiiiiiiiiiiiiii,comdat
.Lfunc_end83:
	.size	_ZL9mul_mat_fIfLi64ELi14ELi3ELb0EEvPKT_PKfPKiPfiiiiiiiiiiiiiiii, .Lfunc_end83-_ZL9mul_mat_fIfLi64ELi14ELi3ELb0EEvPKT_PKfPKiPfiiiiiiiiiiiiiiii
                                        ; -- End function
	.section	.AMDGPU.csdata,"",@progbits
; Kernel info:
; codeLenInByte = 5216
; NumSgprs: 98
; NumVgprs: 120
; NumAgprs: 16
; TotalNumVgprs: 136
; ScratchSize: 0
; MemoryBound: 0
; FloatMode: 240
; IeeeMode: 1
; LDSByteSize: 0 bytes/workgroup (compile time only)
; SGPRBlocks: 12
; VGPRBlocks: 16
; NumSGPRsForWavesPerEU: 98
; NumVGPRsForWavesPerEU: 136
; AccumOffset: 120
; Occupancy: 3
; WaveLimiterHint : 0
; COMPUTE_PGM_RSRC2:SCRATCH_EN: 0
; COMPUTE_PGM_RSRC2:USER_SGPR: 2
; COMPUTE_PGM_RSRC2:TRAP_HANDLER: 0
; COMPUTE_PGM_RSRC2:TGID_X_EN: 1
; COMPUTE_PGM_RSRC2:TGID_Y_EN: 1
; COMPUTE_PGM_RSRC2:TGID_Z_EN: 1
; COMPUTE_PGM_RSRC2:TIDIG_COMP_CNT: 1
; COMPUTE_PGM_RSRC3_GFX90A:ACCUM_OFFSET: 29
; COMPUTE_PGM_RSRC3_GFX90A:TG_SPLIT: 0
	.section	.text._ZL13mul_mat_f_idsIfLi64ELi14ELi4EEvPKT_PKfPKiS6_S6_Pfiiiiiiiiiiiiii15HIP_vector_typeIjLj3EES9_,"axG",@progbits,_ZL13mul_mat_f_idsIfLi64ELi14ELi4EEvPKT_PKfPKiS6_S6_Pfiiiiiiiiiiiiii15HIP_vector_typeIjLj3EES9_,comdat
	.globl	_ZL13mul_mat_f_idsIfLi64ELi14ELi4EEvPKT_PKfPKiS6_S6_Pfiiiiiiiiiiiiii15HIP_vector_typeIjLj3EES9_ ; -- Begin function _ZL13mul_mat_f_idsIfLi64ELi14ELi4EEvPKT_PKfPKiS6_S6_Pfiiiiiiiiiiiiii15HIP_vector_typeIjLj3EES9_
	.p2align	8
	.type	_ZL13mul_mat_f_idsIfLi64ELi14ELi4EEvPKT_PKfPKiS6_S6_Pfiiiiiiiiiiiiii15HIP_vector_typeIjLj3EES9_,@function
_ZL13mul_mat_f_idsIfLi64ELi14ELi4EEvPKT_PKfPKiS6_S6_Pfiiiiiiiiiiiiii15HIP_vector_typeIjLj3EES9_: ; @_ZL13mul_mat_f_idsIfLi64ELi14ELi4EEvPKT_PKfPKiS6_S6_Pfiiiiiiiiiiiiii15HIP_vector_typeIjLj3EES9_
; %bb.0:
	s_load_dwordx2 s[6:7], s[0:1], 0x20
	s_mov_b32 s34, s3
	s_ashr_i32 s35, s3, 31
	s_lshl_b64 s[8:9], s[34:35], 2
	s_waitcnt lgkmcnt(0)
	s_add_u32 s6, s6, s8
	s_addc_u32 s7, s7, s9
	s_load_dwordx2 s[26:27], s[6:7], 0x0
	s_waitcnt lgkmcnt(0)
	s_sub_i32 s33, s27, s26
	s_add_i32 s3, s33, 13
	s_mul_hi_i32 s5, s3, 0x92492493
	s_add_i32 s5, s5, s3
	s_lshr_b32 s3, s5, 31
	s_ashr_i32 s5, s5, 3
	s_add_i32 s5, s5, s3
	s_cmp_ge_i32 s4, s5
	s_cbranch_scc1 .LBB84_62
; %bb.1:
	v_bfe_u32 v2, v0, 10, 10
	v_lshlrev_b32_e32 v68, 6, v2
	v_and_b32_e32 v3, 0x3ff, v0
	s_load_dwordx4 s[12:15], s[0:1], 0x30
	s_load_dwordx2 s[20:21], s[0:1], 0x40
	s_load_dwordx4 s[8:11], s[0:1], 0x4c
	s_load_dwordx4 s[16:19], s[0:1], 0x68
	s_load_dwordx2 s[24:25], s[0:1], 0x78
	v_add_u32_e32 v70, v68, v3
	s_ashr_i32 s27, s26, 31
	s_waitcnt lgkmcnt(0)
	v_cmp_le_i32_e32 vcc, s12, v70
	v_and_b32_e32 v69, 15, v3
                                        ; implicit-def: $sgpr3
	s_and_saveexec_b64 s[6:7], vcc
	s_xor_b64 s[6:7], exec, s[6:7]
; %bb.2:
	v_and_b32_e32 v69, 15, v3
	s_mov_b32 s3, 0
                                        ; implicit-def: $vgpr70
; %bb.3:
	s_or_saveexec_b64 s[28:29], s[6:7]
	s_load_dwordx2 s[22:23], s[0:1], 0x18
	s_load_dwordx2 s[6:7], s[0:1], 0x28
                                        ; implicit-def: $vgpr90 : SGPR spill to VGPR lane
	s_lshl_b32 s11, s2, 6
	s_mul_i32 s2, s4, 14
	v_accvgpr_write_b32 a0, s3
	v_accvgpr_write_b32 a1, s3
	s_waitcnt lgkmcnt(0)
	v_writelane_b32 v90, s6, 0
	v_accvgpr_write_b32 a2, s3
	v_accvgpr_write_b32 a3, s3
	;; [unrolled: 1-line block ×14, first 2 shown]
	v_writelane_b32 v90, s7, 1
	s_xor_b64 exec, exec, s[28:29]
	s_cbranch_execz .LBB84_49
; %bb.4:
	v_writelane_b32 v90, s28, 2
	s_movk_i32 s3, 0x1080
	v_mad_u32_u24 v0, v2, s3, 0
	v_writelane_b32 v90, s29, 3
	v_writelane_b32 v90, s22, 4
	v_lshrrev_b32_e32 v6, 1, v3
	v_lshlrev_b32_e32 v4, 2, v3
	v_writelane_b32 v90, s23, 5
	v_writelane_b32 v90, s24, 6
	s_load_dwordx4 s[4:7], s[0:1], 0x0
	s_load_dwordx2 s[22:23], s[0:1], 0x10
	v_writelane_b32 v90, s25, 7
	s_mul_i32 s0, s34, s8
	s_mul_i32 s24, s11, s15
	s_ashr_i32 s1, s0, 31
	s_ashr_i32 s25, s24, 31
	s_lshl_b64 s[24:25], s[24:25], 2
	s_lshl_b64 s[0:1], s[0:1], 2
	s_add_u32 s24, s0, s24
	v_writelane_b32 v90, s11, 8
	s_addc_u32 s25, s1, s25
	s_waitcnt lgkmcnt(0)
	s_add_u32 s0, s24, s4
	v_writelane_b32 v90, s26, 9
	s_addc_u32 s1, s25, s5
	v_mul_u32_u24_e32 v5, 0x108, v69
	v_writelane_b32 v90, s27, 10
	s_lshl_b64 s[26:27], s[26:27], 2
	s_add_u32 s8, s22, s26
	s_addc_u32 s11, s23, s27
	s_cmp_lt_i32 s2, s33
	s_cselect_b64 s[34:35], -1, 0
	s_ashr_i32 s3, s2, 31
	s_lshl_b64 s[22:23], s[2:3], 2
	s_add_u32 s36, s8, s22
	s_addc_u32 s37, s11, s23
	s_or_b32 s3, s2, 1
	s_cmp_lt_i32 s3, s33
	s_cselect_b64 s[38:39], -1, 0
	s_add_i32 s3, s2, 2
	s_cmp_lt_i32 s3, s33
	s_cselect_b64 s[40:41], -1, 0
	s_add_i32 s3, s2, 3
	s_cmp_lt_i32 s3, s33
	v_and_b32_e32 v6, 0x1f8, v6
	s_cselect_b64 s[42:43], -1, 0
	s_add_i32 s3, s2, 4
	v_mov_b32_e32 v1, 0
	v_add_u32_e32 v71, v0, v4
	v_add3_u32 v72, v0, v5, v6
	s_cmp_lt_i32 s3, s33
	v_lshlrev_b32_e32 v0, 8, v2
	s_cselect_b64 s[44:45], -1, 0
	s_add_i32 s3, s2, 5
	v_lshl_add_u64 v[6:7], s[24:25], 0, v[0:1]
	v_mov_b32_e32 v5, v1
	s_cmp_lt_i32 s3, s33
	v_lshl_add_u64 v[0:1], v[6:7], 0, v[4:5]
	s_cselect_b64 s[46:47], -1, 0
	s_add_i32 s3, s2, 6
	v_lshl_add_u64 v[0:1], s[4:5], 0, v[0:1]
	s_mul_i32 s4, s15, 3
	s_cmp_lt_i32 s3, s33
	v_writelane_b32 v90, s4, 11
	s_mul_i32 s4, s15, 5
	s_cselect_b64 s[48:49], -1, 0
	s_add_i32 s3, s2, 7
	v_writelane_b32 v90, s4, 12
	s_mul_i32 s4, s15, 6
	s_cmp_lt_i32 s3, s33
	v_writelane_b32 v90, s4, 13
	s_mul_i32 s4, s15, 7
	s_cselect_b64 s[50:51], -1, 0
	s_add_i32 s3, s2, 8
	v_writelane_b32 v90, s4, 14
	;; [unrolled: 7-line block ×7, first 2 shown]
	s_mul_i32 s4, s15, 20
	s_cmp_lt_i32 s3, s33
	v_writelane_b32 v90, s4, 25
	s_mul_i32 s4, s15, 21
	s_cselect_b64 s[62:63], -1, 0
	s_ashr_i32 s23, s15, 31
	s_mov_b32 s22, s15
	v_writelane_b32 v90, s4, 26
	s_mul_i32 s4, s15, 22
	s_lshl_b64 s[64:65], s[22:23], 2
	s_lshl_b32 s3, s15, 1
	s_lshl_b32 s68, s15, 2
	;; [unrolled: 1-line block ×4, first 2 shown]
	v_writelane_b32 v90, s4, 27
	s_mul_i32 s87, s15, 23
	s_mul_i32 s88, s15, 24
	;; [unrolled: 1-line block ×5, first 2 shown]
	v_mov_b32_e32 v73, 0
	v_accvgpr_write_b32 a15, 0
	v_accvgpr_write_b32 a14, 0
	;; [unrolled: 1-line block ×16, first 2 shown]
	s_mul_i32 s92, s15, 28
	s_mul_i32 s93, s15, 29
	;; [unrolled: 1-line block ×4, first 2 shown]
	s_lshl_b32 s96, s15, 5
	s_mul_i32 s97, s15, 33
	s_mul_i32 s98, s15, 34
	;; [unrolled: 1-line block ×31, first 2 shown]
	s_mov_b64 s[4:5], 0
	s_mov_b64 s[66:67], 0x400
	s_branch .LBB84_6
.LBB84_5:                               ;   in Loop: Header=BB84_6 Depth=1
	s_waitcnt vmcnt(0)
	ds_write2_b32 v71, v74, v76 offset1:66
	ds_write2_b32 v71, v75, v78 offset0:132 offset1:198
	v_add_u32_e32 v74, 0x400, v71
	ds_write2_b32 v74, v77, v80 offset0:8 offset1:74
	ds_write2_b32 v74, v79, v82 offset0:140 offset1:206
	v_add_u32_e32 v74, 0x800, v71
	ds_write2_b32 v74, v81, v84 offset0:16 offset1:82
	;; [unrolled: 3-line block ×3, first 2 shown]
	ds_write2_b32 v74, v73, v73 offset0:156 offset1:222
	ds_read2_b64 v[74:77], v72 offset1:4
	v_add_u32_e32 v70, 0x100, v70
	s_waitcnt lgkmcnt(0)
	v_mfma_f32_16x16x8_xf32 a[0:3], v[10:11], v[74:75], a[0:3]
	v_cmp_le_i32_e32 vcc, s12, v70
	v_lshl_add_u64 v[0:1], v[0:1], 0, s[66:67]
	s_or_b64 s[4:5], vcc, s[4:5]
	v_mfma_f32_16x16x8_xf32 a[4:7], v[36:37], v[74:75], a[4:7]
	v_mfma_f32_16x16x8_xf32 a[8:11], v[50:51], v[74:75], a[8:11]
	;; [unrolled: 1-line block ×4, first 2 shown]
	ds_read2_b64 v[8:11], v72 offset0:8 offset1:12
	v_mfma_f32_16x16x8_xf32 a[4:7], v[32:33], v[76:77], a[4:7]
	v_mfma_f32_16x16x8_xf32 a[8:11], v[48:49], v[76:77], a[8:11]
	;; [unrolled: 1-line block ×3, first 2 shown]
	s_waitcnt lgkmcnt(0)
	v_mfma_f32_16x16x8_xf32 a[0:3], v[6:7], v[8:9], a[0:3]
	v_mfma_f32_16x16x8_xf32 a[4:7], v[30:31], v[8:9], a[4:7]
	;; [unrolled: 1-line block ×5, first 2 shown]
	ds_read2_b64 v[4:7], v72 offset0:16 offset1:20
	v_mfma_f32_16x16x8_xf32 a[4:7], v[28:29], v[10:11], a[4:7]
	v_mfma_f32_16x16x8_xf32 a[8:11], v[44:45], v[10:11], a[8:11]
	;; [unrolled: 1-line block ×3, first 2 shown]
	s_waitcnt lgkmcnt(0)
	v_mfma_f32_16x16x8_xf32 a[0:3], v[18:19], v[4:5], a[0:3]
	v_mfma_f32_16x16x8_xf32 a[4:7], v[26:27], v[4:5], a[4:7]
	;; [unrolled: 1-line block ×8, first 2 shown]
	ds_read2_b64 v[4:7], v72 offset0:24 offset1:28
	s_waitcnt lgkmcnt(0)
	v_mfma_f32_16x16x8_xf32 a[0:3], v[14:15], v[4:5], a[0:3]
	v_mfma_f32_16x16x8_xf32 a[4:7], v[22:23], v[4:5], a[4:7]
	;; [unrolled: 1-line block ×8, first 2 shown]
	s_andn2_b64 exec, exec, s[4:5]
	s_cbranch_execz .LBB84_48
.LBB84_6:                               ; =>This Inner Loop Header: Depth=1
	v_readlane_b32 s86, v90, 11
	v_lshl_add_u64 v[4:5], v[0:1], 0, s[64:65]
	global_load_dword v20, v[0:1], off
	global_load_dword v21, v[4:5], off
	v_add_u32_e32 v6, s86, v70
	v_readlane_b32 s86, v90, 12
	v_add_u32_e32 v4, s3, v70
	v_add_u32_e32 v16, s72, v70
	;; [unrolled: 1-line block ×3, first 2 shown]
	v_readlane_b32 s86, v90, 13
	v_ashrrev_i32_e32 v5, 31, v4
	v_add_u32_e32 v8, s68, v70
	v_add_u32_e32 v12, s86, v70
	v_readlane_b32 s86, v90, 14
	v_ashrrev_i32_e32 v17, 31, v16
	v_lshl_add_u64 v[4:5], v[4:5], 2, s[0:1]
	v_add_u32_e32 v14, s86, v70
	v_readlane_b32 s86, v90, 15
	v_ashrrev_i32_e32 v7, 31, v6
	v_ashrrev_i32_e32 v9, 31, v8
	v_add_u32_e32 v18, s86, v70
	v_ashrrev_i32_e32 v11, 31, v10
	v_ashrrev_i32_e32 v13, 31, v12
	;; [unrolled: 1-line block ×3, first 2 shown]
	v_lshl_add_u64 v[16:17], v[16:17], 2, s[0:1]
	v_ashrrev_i32_e32 v19, 31, v18
	v_readlane_b32 s86, v90, 16
	v_lshl_add_u64 v[6:7], v[6:7], 2, s[0:1]
	v_lshl_add_u64 v[8:9], v[8:9], 2, s[0:1]
	;; [unrolled: 1-line block ×6, first 2 shown]
	global_load_dword v22, v[4:5], off
	global_load_dword v23, v[6:7], off
	global_load_dword v24, v[8:9], off
	global_load_dword v25, v[10:11], off
	global_load_dword v26, v[12:13], off
	global_load_dword v27, v[14:15], off
	s_nop 0
	global_load_dword v16, v[16:17], off
	s_nop 0
	global_load_dword v17, v[18:19], off
	v_add_u32_e32 v4, s86, v70
	v_readlane_b32 s86, v90, 17
	v_ashrrev_i32_e32 v5, 31, v4
	v_lshl_add_u64 v[4:5], v[4:5], 2, s[0:1]
	v_add_u32_e32 v6, s86, v70
	v_readlane_b32 s86, v90, 18
	v_ashrrev_i32_e32 v7, 31, v6
	v_lshl_add_u64 v[6:7], v[6:7], 2, s[0:1]
	;; [unrolled: 4-line block ×5, first 2 shown]
	v_add_u32_e32 v14, s86, v70
	v_ashrrev_i32_e32 v15, 31, v14
	v_lshl_add_u64 v[14:15], v[14:15], 2, s[0:1]
	global_load_dword v18, v[4:5], off
	global_load_dword v19, v[6:7], off
	s_nop 0
	global_load_dword v8, v[8:9], off
	s_nop 0
	;; [unrolled: 2-line block ×3, first 2 shown]
	global_load_dword v10, v[12:13], off
	global_load_dword v11, v[14:15], off
	v_readlane_b32 s86, v90, 22
	v_add_u32_e32 v4, s80, v70
	v_ashrrev_i32_e32 v5, 31, v4
	v_add_u32_e32 v6, s86, v70
	v_readlane_b32 s86, v90, 23
	v_ashrrev_i32_e32 v7, 31, v6
	v_lshl_add_u64 v[4:5], v[4:5], 2, s[0:1]
	v_add_u32_e32 v12, s86, v70
	v_readlane_b32 s86, v90, 24
	v_lshl_add_u64 v[6:7], v[6:7], 2, s[0:1]
	global_load_dword v28, v[4:5], off
	global_load_dword v29, v[6:7], off
	v_add_u32_e32 v14, s86, v70
	v_readlane_b32 s86, v90, 25
	v_ashrrev_i32_e32 v13, 31, v12
	v_lshl_add_u64 v[12:13], v[12:13], 2, s[0:1]
	v_ashrrev_i32_e32 v15, 31, v14
	v_lshl_add_u64 v[14:15], v[14:15], 2, s[0:1]
	s_andn2_b64 vcc, exec, s[34:35]
	s_waitcnt vmcnt(17)
	ds_write_b32 v71, v20
	s_waitcnt vmcnt(16)
	ds_write_b32 v71, v21 offset:264
	s_waitcnt vmcnt(15)
	ds_write_b32 v71, v22 offset:528
	;; [unrolled: 2-line block ×15, first 2 shown]
	v_add_u32_e32 v16, s86, v70
	v_readlane_b32 s86, v90, 26
	v_add_u32_e32 v22, s87, v70
	v_add_u32_e32 v24, s88, v70
	;; [unrolled: 1-line block ×3, first 2 shown]
	v_readlane_b32 s86, v90, 27
	v_add_u32_e32 v26, s89, v70
	v_ashrrev_i32_e32 v17, 31, v16
	v_add_u32_e32 v20, s86, v70
	v_ashrrev_i32_e32 v19, 31, v18
	v_ashrrev_i32_e32 v21, 31, v20
	;; [unrolled: 1-line block ×5, first 2 shown]
	ds_read_b64 v[10:11], v72
	ds_read_b64 v[8:9], v72 offset:32
	ds_read_b64 v[6:7], v72 offset:64
	;; [unrolled: 1-line block ×3, first 2 shown]
	v_lshl_add_u64 v[16:17], v[16:17], 2, s[0:1]
	v_lshl_add_u64 v[18:19], v[18:19], 2, s[0:1]
	v_lshl_add_u64 v[20:21], v[20:21], 2, s[0:1]
	v_lshl_add_u64 v[22:23], v[22:23], 2, s[0:1]
	v_lshl_add_u64 v[24:25], v[24:25], 2, s[0:1]
	v_lshl_add_u64 v[26:27], v[26:27], 2, s[0:1]
	global_load_dword v30, v[12:13], off
	global_load_dword v31, v[14:15], off
	global_load_dword v32, v[16:17], off
	global_load_dword v33, v[18:19], off
	global_load_dword v34, v[20:21], off
	global_load_dword v35, v[22:23], off
	global_load_dword v36, v[24:25], off
	global_load_dword v37, v[26:27], off
	v_add_u32_e32 v12, s90, v70
	v_ashrrev_i32_e32 v13, 31, v12
	v_add_u32_e32 v14, s91, v70
	v_add_u32_e32 v16, s92, v70
	v_add_u32_e32 v18, s93, v70
	v_add_u32_e32 v20, s94, v70
	v_add_u32_e32 v22, s95, v70
	v_add_u32_e32 v24, s96, v70
	v_add_u32_e32 v26, s97, v70
	v_lshl_add_u64 v[12:13], v[12:13], 2, s[0:1]
	v_ashrrev_i32_e32 v15, 31, v14
	v_ashrrev_i32_e32 v17, 31, v16
	v_ashrrev_i32_e32 v19, 31, v18
	v_ashrrev_i32_e32 v21, 31, v20
	v_ashrrev_i32_e32 v23, 31, v22
	v_ashrrev_i32_e32 v25, 31, v24
	v_ashrrev_i32_e32 v27, 31, v26
	v_lshl_add_u64 v[14:15], v[14:15], 2, s[0:1]
	v_lshl_add_u64 v[16:17], v[16:17], 2, s[0:1]
	v_lshl_add_u64 v[18:19], v[18:19], 2, s[0:1]
	v_lshl_add_u64 v[20:21], v[20:21], 2, s[0:1]
	v_lshl_add_u64 v[22:23], v[22:23], 2, s[0:1]
	v_lshl_add_u64 v[24:25], v[24:25], 2, s[0:1]
	v_lshl_add_u64 v[26:27], v[26:27], 2, s[0:1]
	global_load_dword v38, v[12:13], off
	global_load_dword v39, v[14:15], off
	global_load_dword v40, v[16:17], off
	global_load_dword v41, v[18:19], off
	global_load_dword v42, v[20:21], off
	global_load_dword v43, v[22:23], off
	global_load_dword v44, v[24:25], off
	global_load_dword v45, v[26:27], off
	v_add_u32_e32 v12, s98, v70
	v_ashrrev_i32_e32 v13, 31, v12
	v_add_u32_e32 v14, s99, v70
	v_add_u32_e32 v16, s24, v70
	v_add_u32_e32 v18, s25, v70
	v_add_u32_e32 v20, s28, v70
	v_add_u32_e32 v22, s29, v70
	v_add_u32_e32 v24, s22, v70
	v_add_u32_e32 v26, s23, v70
	v_lshl_add_u64 v[12:13], v[12:13], 2, s[0:1]
	v_ashrrev_i32_e32 v15, 31, v14
	v_ashrrev_i32_e32 v17, 31, v16
	v_ashrrev_i32_e32 v19, 31, v18
	v_ashrrev_i32_e32 v21, 31, v20
	v_ashrrev_i32_e32 v23, 31, v22
	v_ashrrev_i32_e32 v25, 31, v24
	v_ashrrev_i32_e32 v27, 31, v26
	v_lshl_add_u64 v[14:15], v[14:15], 2, s[0:1]
	;; [unrolled: 32-line block ×4, first 2 shown]
	v_lshl_add_u64 v[16:17], v[16:17], 2, s[0:1]
	v_lshl_add_u64 v[18:19], v[18:19], 2, s[0:1]
	;; [unrolled: 1-line block ×6, first 2 shown]
	global_load_dword v62, v[12:13], off
	global_load_dword v63, v[14:15], off
	;; [unrolled: 1-line block ×8, first 2 shown]
	v_add_u32_e32 v12, s81, v70
	v_ashrrev_i32_e32 v13, 31, v12
	v_add_u32_e32 v14, s82, v70
	v_add_u32_e32 v16, s83, v70
	;; [unrolled: 1-line block ×5, first 2 shown]
	v_lshl_add_u64 v[12:13], v[12:13], 2, s[0:1]
	v_ashrrev_i32_e32 v15, 31, v14
	v_ashrrev_i32_e32 v17, 31, v16
	;; [unrolled: 1-line block ×5, first 2 shown]
	v_lshl_add_u64 v[14:15], v[14:15], 2, s[0:1]
	v_lshl_add_u64 v[16:17], v[16:17], 2, s[0:1]
	;; [unrolled: 1-line block ×5, first 2 shown]
	global_load_dword v76, v[12:13], off
	global_load_dword v77, v[14:15], off
	;; [unrolled: 1-line block ×6, first 2 shown]
	ds_read_b64 v[18:19], v72 offset:128
	ds_read_b64 v[16:17], v72 offset:160
	ds_read_b64 v[14:15], v72 offset:192
	ds_read_b64 v[12:13], v72 offset:224
	s_waitcnt vmcnt(47)
	ds_write_b32 v71, v28
	s_waitcnt vmcnt(46)
	ds_write_b32 v71, v29 offset:264
	s_waitcnt vmcnt(45)
	ds_write_b32 v71, v30 offset:528
	s_waitcnt vmcnt(44)
	ds_write_b32 v71, v31 offset:792
	s_waitcnt vmcnt(43)
	ds_write_b32 v71, v32 offset:1056
	s_waitcnt vmcnt(42)
	ds_write_b32 v71, v33 offset:1320
	s_waitcnt vmcnt(41)
	ds_write_b32 v71, v34 offset:1584
	s_waitcnt vmcnt(40)
	ds_write_b32 v71, v35 offset:1848
	s_waitcnt vmcnt(39)
	ds_write_b32 v71, v36 offset:2112
	s_waitcnt vmcnt(38)
	ds_write_b32 v71, v37 offset:2376
	s_waitcnt vmcnt(37)
	ds_write_b32 v71, v38 offset:2640
	s_waitcnt vmcnt(36)
	ds_write_b32 v71, v39 offset:2904
	s_waitcnt vmcnt(35)
	ds_write_b32 v71, v40 offset:3168
	s_waitcnt vmcnt(34)
	ds_write_b32 v71, v41 offset:3432
	s_waitcnt vmcnt(33)
	ds_write_b32 v71, v42 offset:3696
	s_waitcnt vmcnt(32)
	ds_write_b32 v71, v43 offset:3960
	ds_read_b64 v[36:37], v72
	ds_read_b64 v[32:33], v72 offset:32
	ds_read_b64 v[30:31], v72 offset:64
	ds_read_b64 v[28:29], v72 offset:96
	ds_read_b64 v[26:27], v72 offset:128
	ds_read_b64 v[24:25], v72 offset:160
	ds_read_b64 v[22:23], v72 offset:192
	ds_read_b64 v[20:21], v72 offset:224
	s_waitcnt vmcnt(31)
	ds_write_b32 v71, v44
	s_waitcnt vmcnt(30)
	ds_write_b32 v71, v45 offset:264
	s_waitcnt vmcnt(29)
	ds_write_b32 v71, v46 offset:528
	s_waitcnt vmcnt(28)
	ds_write_b32 v71, v47 offset:792
	s_waitcnt vmcnt(27)
	ds_write_b32 v71, v48 offset:1056
	s_waitcnt vmcnt(26)
	ds_write_b32 v71, v49 offset:1320
	s_waitcnt vmcnt(25)
	ds_write_b32 v71, v50 offset:1584
	s_waitcnt vmcnt(24)
	ds_write_b32 v71, v51 offset:1848
	s_waitcnt vmcnt(23)
	ds_write_b32 v71, v52 offset:2112
	s_waitcnt vmcnt(22)
	ds_write_b32 v71, v53 offset:2376
	s_waitcnt vmcnt(21)
	ds_write_b32 v71, v54 offset:2640
	s_waitcnt vmcnt(20)
	ds_write_b32 v71, v55 offset:2904
	s_waitcnt vmcnt(19)
	ds_write_b32 v71, v56 offset:3168
	s_waitcnt vmcnt(18)
	ds_write_b32 v71, v57 offset:3432
	s_waitcnt vmcnt(17)
	ds_write_b32 v71, v58 offset:3696
	s_waitcnt vmcnt(16)
	ds_write_b32 v71, v59 offset:3960
	ds_read_b64 v[50:51], v72
	ds_read_b64 v[48:49], v72 offset:32
	ds_read_b64 v[46:47], v72 offset:64
	ds_read_b64 v[44:45], v72 offset:96
	;; [unrolled: 40-line block ×3, first 2 shown]
	ds_read_b64 v[62:63], v72 offset:128
	ds_read_b64 v[58:59], v72 offset:160
	;; [unrolled: 1-line block ×4, first 2 shown]
	v_mov_b32_e32 v74, 0
	s_cbranch_vccnz .LBB84_9
; %bb.7:                                ;   in Loop: Header=BB84_6 Depth=1
	s_load_dword vcc_lo, s[36:37], 0x0
	v_mov_b32_e32 v74, 0
	s_waitcnt lgkmcnt(0)
	s_mul_hi_u32 vcc_hi, vcc_lo, s16
	s_add_i32 vcc_hi, vcc_lo, vcc_hi
	s_lshr_b32 s86, vcc_hi, s17
	s_cmp_ge_i32 s86, s13
	s_cbranch_scc1 .LBB84_9
; %bb.8:                                ;   in Loop: Header=BB84_6 Depth=1
	s_mul_i32 vcc_hi, s86, s18
	s_sub_i32 vcc_lo, vcc_lo, vcc_hi
	s_mul_i32 vcc_lo, vcc_lo, s9
	s_mul_i32 s86, s86, s20
	s_add_i32 s86, s86, vcc_lo
	v_add_u32_e32 v74, s86, v70
	v_ashrrev_i32_e32 v75, 31, v74
	v_lshl_add_u64 v[74:75], v[74:75], 2, s[6:7]
	global_load_dword v74, v[74:75], off
.LBB84_9:                               ;   in Loop: Header=BB84_6 Depth=1
	s_andn2_b64 vcc, exec, s[38:39]
	v_mov_b32_e32 v75, 0
	v_mov_b32_e32 v76, 0
	s_cbranch_vccnz .LBB84_12
; %bb.10:                               ;   in Loop: Header=BB84_6 Depth=1
	s_load_dword vcc_lo, s[36:37], 0x4
	v_mov_b32_e32 v76, 0
	s_waitcnt lgkmcnt(0)
	s_mul_hi_u32 s86, vcc_lo, s16
	s_add_i32 s86, vcc_lo, s86
	s_lshr_b32 vcc_hi, s86, s17
	s_cmp_ge_i32 vcc_hi, s13
	s_cbranch_scc1 .LBB84_12
; %bb.11:                               ;   in Loop: Header=BB84_6 Depth=1
	s_mul_i32 s86, vcc_hi, s18
	s_sub_i32 s86, vcc_lo, s86
	s_mul_i32 s86, s86, s9
	s_mul_i32 vcc_lo, vcc_hi, s20
	s_add_i32 vcc_lo, vcc_lo, s86
	v_add_u32_e32 v76, vcc_lo, v70
	v_ashrrev_i32_e32 v77, 31, v76
	v_lshl_add_u64 v[76:77], v[76:77], 2, s[6:7]
	global_load_dword v76, v[76:77], off
.LBB84_12:                              ;   in Loop: Header=BB84_6 Depth=1
	s_andn2_b64 vcc, exec, s[40:41]
	s_cbranch_vccnz .LBB84_15
; %bb.13:                               ;   in Loop: Header=BB84_6 Depth=1
	s_load_dword vcc_lo, s[36:37], 0x8
	v_mov_b32_e32 v75, 0
	s_waitcnt lgkmcnt(0)
	s_mul_hi_u32 s86, vcc_lo, s16
	s_add_i32 s86, vcc_lo, s86
	s_lshr_b32 vcc_hi, s86, s17
	s_cmp_ge_i32 vcc_hi, s13
	s_cbranch_scc1 .LBB84_15
; %bb.14:                               ;   in Loop: Header=BB84_6 Depth=1
	s_mul_i32 s86, vcc_hi, s18
	s_sub_i32 s86, vcc_lo, s86
	s_mul_i32 s86, s86, s9
	s_mul_i32 vcc_lo, vcc_hi, s20
	s_add_i32 vcc_lo, vcc_lo, s86
	v_add_u32_e32 v78, vcc_lo, v70
	v_ashrrev_i32_e32 v79, 31, v78
	v_lshl_add_u64 v[78:79], v[78:79], 2, s[6:7]
	global_load_dword v75, v[78:79], off
.LBB84_15:                              ;   in Loop: Header=BB84_6 Depth=1
	s_andn2_b64 vcc, exec, s[42:43]
	v_mov_b32_e32 v77, 0
	v_mov_b32_e32 v78, 0
	s_cbranch_vccnz .LBB84_18
; %bb.16:                               ;   in Loop: Header=BB84_6 Depth=1
	s_load_dword vcc_lo, s[36:37], 0xc
	v_mov_b32_e32 v78, 0
	s_waitcnt lgkmcnt(0)
	s_mul_hi_u32 s86, vcc_lo, s16
	s_add_i32 s86, vcc_lo, s86
	s_lshr_b32 vcc_hi, s86, s17
	s_cmp_ge_i32 vcc_hi, s13
	s_cbranch_scc1 .LBB84_18
; %bb.17:                               ;   in Loop: Header=BB84_6 Depth=1
	s_mul_i32 s86, vcc_hi, s18
	s_sub_i32 s86, vcc_lo, s86
	s_mul_i32 s86, s86, s9
	s_mul_i32 vcc_lo, vcc_hi, s20
	s_add_i32 vcc_lo, vcc_lo, s86
	v_add_u32_e32 v78, vcc_lo, v70
	v_ashrrev_i32_e32 v79, 31, v78
	v_lshl_add_u64 v[78:79], v[78:79], 2, s[6:7]
	global_load_dword v78, v[78:79], off
.LBB84_18:                              ;   in Loop: Header=BB84_6 Depth=1
	s_andn2_b64 vcc, exec, s[44:45]
	s_cbranch_vccnz .LBB84_21
; %bb.19:                               ;   in Loop: Header=BB84_6 Depth=1
	s_load_dword vcc_lo, s[36:37], 0x10
	v_mov_b32_e32 v77, 0
	s_waitcnt lgkmcnt(0)
	s_mul_hi_u32 s86, vcc_lo, s16
	s_add_i32 s86, vcc_lo, s86
	s_lshr_b32 vcc_hi, s86, s17
	s_cmp_ge_i32 vcc_hi, s13
	s_cbranch_scc1 .LBB84_21
; %bb.20:                               ;   in Loop: Header=BB84_6 Depth=1
	s_mul_i32 s86, vcc_hi, s18
	s_sub_i32 s86, vcc_lo, s86
	s_mul_i32 s86, s86, s9
	s_mul_i32 vcc_lo, vcc_hi, s20
	s_add_i32 vcc_lo, vcc_lo, s86
	v_add_u32_e32 v80, vcc_lo, v70
	v_ashrrev_i32_e32 v81, 31, v80
	v_lshl_add_u64 v[80:81], v[80:81], 2, s[6:7]
	global_load_dword v77, v[80:81], off
.LBB84_21:                              ;   in Loop: Header=BB84_6 Depth=1
	;; [unrolled: 46-line block ×6, first 2 shown]
	s_andn2_b64 vcc, exec, s[62:63]
	v_mov_b32_e32 v87, 0
	s_cbranch_vccnz .LBB84_5
; %bb.46:                               ;   in Loop: Header=BB84_6 Depth=1
	s_load_dword vcc_lo, s[36:37], 0x34
	v_mov_b32_e32 v87, 0
	s_waitcnt lgkmcnt(0)
	s_mul_hi_u32 s86, vcc_lo, s16
	s_add_i32 s86, vcc_lo, s86
	s_lshr_b32 vcc_hi, s86, s17
	s_cmp_ge_i32 vcc_hi, s13
	s_cbranch_scc1 .LBB84_5
; %bb.47:                               ;   in Loop: Header=BB84_6 Depth=1
	s_mul_i32 s86, vcc_hi, s18
	s_sub_i32 s86, vcc_lo, s86
	s_mul_i32 s86, s86, s9
	s_mul_i32 vcc_lo, vcc_hi, s20
	s_add_i32 vcc_lo, vcc_lo, s86
	v_add_u32_e32 v88, vcc_lo, v70
	v_ashrrev_i32_e32 v89, 31, v88
	v_lshl_add_u64 v[88:89], v[88:89], 2, s[6:7]
	global_load_dword v87, v[88:89], off
	s_branch .LBB84_5
.LBB84_48:
	s_or_b64 exec, exec, s[4:5]
	v_readlane_b32 s24, v90, 6
	v_readlane_b32 s26, v90, 9
	;; [unrolled: 1-line block ×9, first 2 shown]
.LBB84_49:
	s_or_b64 exec, exec, s[28:29]
	s_lshl_b64 s[0:1], s[26:27], 2
	v_mul_u32_u24_e32 v0, 0x408, v69
	v_lshlrev_b32_e32 v1, 2, v68
	v_or_b32_e32 v4, 12, v3
	s_add_u32 s4, s22, s0
	v_add3_u32 v0, 0, v0, v1
	v_and_b32_e32 v1, 0x3f0, v3
	v_and_b32_e32 v4, 0x3fc, v4
	s_addc_u32 s5, s23, s1
	v_add_u32_e32 v1, v0, v1
	v_add_u32_e32 v0, v0, v4
	s_barrier
	ds_write2_b32 v1, a0, a1 offset1:1
	ds_write_b32 v1, a2 offset:8
	ds_write_b32 v0, a3
	ds_write2_b32 v1, a4, a5 offset0:16 offset1:17
	ds_write_b32 v1, a6 offset:72
	ds_write_b32 v0, a7 offset:64
	ds_write2_b32 v1, a8, a9 offset0:32 offset1:33
	ds_write_b32 v1, a10 offset:136
	ds_write_b32 v0, a11 offset:128
	;; [unrolled: 3-line block ×3, first 2 shown]
	s_cmp_gt_i32 s14, 0
	v_add_u32_e32 v0, s2, v2
	s_cselect_b64 s[6:7], -1, 0
	v_cmp_gt_i32_e64 s[0:1], s33, v0
	v_cmp_gt_u32_e32 vcc, 14, v2
	s_and_b64 s[0:1], s[6:7], s[0:1]
	v_lshl_add_u32 v5, v3, 2, 0
	v_add_u32_e32 v4, s11, v3
	v_mul_u32_u24_e32 v6, 0x408, v2
	s_and_b64 s[8:9], vcc, s[0:1]
	s_waitcnt lgkmcnt(0)
	s_barrier
	s_and_saveexec_b64 s[0:1], s[8:9]
	s_cbranch_execz .LBB84_52
; %bb.50:
	v_ashrrev_i32_e32 v1, 31, v0
	v_lshl_add_u64 v[8:9], v[0:1], 2, s[4:5]
	global_load_dword v3, v[8:9], off
	s_waitcnt vmcnt(0)
	v_mul_hi_u32 v1, v3, s19
	v_add_u32_e32 v1, v3, v1
	v_lshrrev_b32_e32 v1, s24, v1
	v_cmp_gt_i32_e32 vcc, s13, v1
	s_and_b64 exec, exec, vcc
	s_cbranch_execz .LBB84_52
; %bb.51:
	v_add_u32_e32 v7, v5, v6
	ds_read2st64_b32 v[8:9], v7 offset1:1
	ds_read2st64_b32 v[10:11], v7 offset0:2 offset1:3
	v_mul_lo_u32 v12, v1, s25
	v_sub_u32_e32 v3, v3, v12
	v_mul_lo_u32 v3, v3, s10
	s_waitcnt lgkmcnt(1)
	v_add_f32_e32 v7, 0, v8
	v_add_f32_e32 v7, v7, v9
	v_mul_lo_u32 v1, v1, s21
	v_readlane_b32 s8, v90, 0
	s_waitcnt lgkmcnt(0)
	v_add_f32_e32 v7, v7, v10
	v_add3_u32 v8, v4, v1, v3
	v_mov_b32_e32 v9, 0
	v_readlane_b32 s9, v90, 1
	v_add_f32_e32 v7, v7, v11
	s_nop 0
	v_lshl_add_u64 v[8:9], v[8:9], 2, s[8:9]
	global_store_dword v[8:9], v7, off
.LBB84_52:
	s_or_b64 exec, exec, s[0:1]
	v_add_u32_e32 v1, 4, v0
	v_cmp_gt_i32_e64 s[0:1], s33, v1
	v_cmp_gt_u32_e32 vcc, 10, v2
	s_and_b64 s[0:1], s[6:7], s[0:1]
	s_and_b64 s[8:9], vcc, s[0:1]
	s_and_saveexec_b64 s[0:1], s[8:9]
	s_cbranch_execz .LBB84_55
; %bb.53:
	s_ashr_i32 s3, s2, 31
	v_mov_b32_e32 v3, 0
	v_lshl_add_u64 v[8:9], v[2:3], 0, s[2:3]
	v_lshl_add_u64 v[8:9], v[8:9], 2, s[4:5]
	global_load_dword v7, v[8:9], off offset:16
	s_waitcnt vmcnt(0)
	v_mul_hi_u32 v1, v7, s19
	v_add_u32_e32 v1, v7, v1
	v_lshrrev_b32_e32 v1, s24, v1
	v_cmp_gt_i32_e32 vcc, s13, v1
	s_and_b64 exec, exec, vcc
	s_cbranch_execz .LBB84_55
; %bb.54:
	v_add_u32_e32 v8, v6, v5
	v_add_u32_e32 v10, 32, v8
	ds_read2st64_b32 v[8:9], v10 offset0:16 offset1:17
	ds_read2st64_b32 v[10:11], v10 offset0:18 offset1:19
	v_mul_lo_u32 v12, v1, s25
	v_sub_u32_e32 v7, v7, v12
	v_mul_lo_u32 v7, v7, s10
	s_waitcnt lgkmcnt(1)
	v_add_f32_e32 v8, 0, v8
	v_add_f32_e32 v8, v8, v9
	s_waitcnt lgkmcnt(0)
	v_add_f32_e32 v8, v8, v10
	v_mul_lo_u32 v1, v1, s21
	v_readlane_b32 s8, v90, 0
	v_add_f32_e32 v10, v8, v11
	v_add3_u32 v8, v4, v1, v7
	v_mov_b32_e32 v9, v3
	v_readlane_b32 s9, v90, 1
	s_nop 1
	v_lshl_add_u64 v[8:9], v[8:9], 2, s[8:9]
	global_store_dword v[8:9], v10, off
.LBB84_55:
	s_or_b64 exec, exec, s[0:1]
	v_add_u32_e32 v0, 8, v0
	v_cmp_gt_i32_e64 s[0:1], s33, v0
	v_cmp_gt_u32_e32 vcc, 6, v2
	s_and_b64 s[0:1], s[6:7], s[0:1]
	s_and_b64 s[8:9], vcc, s[0:1]
	s_and_saveexec_b64 s[0:1], s[8:9]
	s_cbranch_execz .LBB84_58
; %bb.56:
	s_ashr_i32 s3, s2, 31
	v_mov_b32_e32 v3, 0
	v_lshl_add_u64 v[0:1], v[2:3], 0, s[2:3]
	v_lshl_add_u64 v[0:1], v[0:1], 2, s[4:5]
	global_load_dword v1, v[0:1], off offset:32
	s_waitcnt vmcnt(0)
	v_mul_hi_u32 v0, v1, s19
	v_add_u32_e32 v0, v1, v0
	v_lshrrev_b32_e32 v0, s24, v0
	v_cmp_gt_i32_e32 vcc, s13, v0
	s_and_b64 exec, exec, vcc
	s_cbranch_execz .LBB84_58
; %bb.57:
	v_add_u32_e32 v6, v5, v6
	v_add_u32_e32 v8, 64, v6
	ds_read2st64_b32 v[6:7], v8 offset0:32 offset1:33
	ds_read2st64_b32 v[8:9], v8 offset0:34 offset1:35
	v_mul_lo_u32 v10, v0, s25
	v_sub_u32_e32 v1, v1, v10
	v_mul_lo_u32 v1, v1, s10
	s_waitcnt lgkmcnt(1)
	v_add_f32_e32 v6, 0, v6
	v_add_f32_e32 v6, v6, v7
	v_mul_lo_u32 v0, v0, s21
	v_readlane_b32 s8, v90, 0
	s_waitcnt lgkmcnt(0)
	v_add_f32_e32 v6, v6, v8
	v_add3_u32 v0, v4, v0, v1
	v_mov_b32_e32 v1, v3
	v_readlane_b32 s9, v90, 1
	v_add_f32_e32 v6, v6, v9
	s_nop 0
	v_lshl_add_u64 v[0:1], v[0:1], 2, s[8:9]
	global_store_dword v[0:1], v6, off
.LBB84_58:
	s_or_b64 exec, exec, s[0:1]
	v_cmp_gt_u32_e32 vcc, 2, v2
	s_and_saveexec_b64 s[0:1], vcc
	s_cbranch_execz .LBB84_62
; %bb.59:
	v_or_b32_e32 v0, 12, v2
	v_add_u32_e32 v1, s2, v0
	v_cmp_gt_i32_e32 vcc, s33, v1
	s_and_b64 s[0:1], s[6:7], vcc
	s_and_b64 exec, exec, s[0:1]
	s_cbranch_execz .LBB84_62
; %bb.60:
	s_ashr_i32 s3, s2, 31
	v_mov_b32_e32 v3, 0
	v_lshl_add_u64 v[6:7], v[2:3], 0, s[2:3]
	v_lshl_add_u64 v[6:7], v[6:7], 2, s[4:5]
	global_load_dword v2, v[6:7], off offset:48
	s_waitcnt vmcnt(0)
	v_mul_hi_u32 v1, v2, s19
	v_add_u32_e32 v1, v2, v1
	v_lshrrev_b32_e32 v1, s24, v1
	v_cmp_gt_i32_e32 vcc, s13, v1
	s_and_b64 exec, exec, vcc
	s_cbranch_execz .LBB84_62
; %bb.61:
	s_movk_i32 s0, 0x408
	v_mad_u32_u24 v0, v0, s0, v5
	ds_read2st64_b32 v[6:7], v0 offset1:1
	ds_read2st64_b32 v[8:9], v0 offset0:2 offset1:3
	v_mul_lo_u32 v5, v1, s25
	v_sub_u32_e32 v0, v2, v5
	v_mul_lo_u32 v0, v0, s10
	s_waitcnt lgkmcnt(1)
	v_add_f32_e32 v2, 0, v6
	v_add_f32_e32 v2, v2, v7
	s_waitcnt lgkmcnt(0)
	v_add_f32_e32 v2, v2, v8
	v_mul_lo_u32 v1, v1, s21
	v_readlane_b32 s0, v90, 0
	v_add_f32_e32 v5, v2, v9
	v_add3_u32 v2, v4, v1, v0
	v_readlane_b32 s1, v90, 1
	s_nop 1
	v_lshl_add_u64 v[0:1], v[2:3], 2, s[0:1]
	global_store_dword v[0:1], v5, off
.LBB84_62:
	s_endpgm
	.section	.rodata,"a",@progbits
	.p2align	6, 0x0
	.amdhsa_kernel _ZL13mul_mat_f_idsIfLi64ELi14ELi4EEvPKT_PKfPKiS6_S6_Pfiiiiiiiiiiiiii15HIP_vector_typeIjLj3EES9_
		.amdhsa_group_segment_fixed_size 0
		.amdhsa_private_segment_fixed_size 0
		.amdhsa_kernarg_size 128
		.amdhsa_user_sgpr_count 2
		.amdhsa_user_sgpr_dispatch_ptr 0
		.amdhsa_user_sgpr_queue_ptr 0
		.amdhsa_user_sgpr_kernarg_segment_ptr 1
		.amdhsa_user_sgpr_dispatch_id 0
		.amdhsa_user_sgpr_kernarg_preload_length 0
		.amdhsa_user_sgpr_kernarg_preload_offset 0
		.amdhsa_user_sgpr_private_segment_size 0
		.amdhsa_uses_dynamic_stack 0
		.amdhsa_enable_private_segment 0
		.amdhsa_system_sgpr_workgroup_id_x 1
		.amdhsa_system_sgpr_workgroup_id_y 1
		.amdhsa_system_sgpr_workgroup_id_z 1
		.amdhsa_system_sgpr_workgroup_info 0
		.amdhsa_system_vgpr_workitem_id 1
		.amdhsa_next_free_vgpr 108
		.amdhsa_next_free_sgpr 100
		.amdhsa_accum_offset 92
		.amdhsa_reserve_vcc 1
		.amdhsa_float_round_mode_32 0
		.amdhsa_float_round_mode_16_64 0
		.amdhsa_float_denorm_mode_32 3
		.amdhsa_float_denorm_mode_16_64 3
		.amdhsa_dx10_clamp 1
		.amdhsa_ieee_mode 1
		.amdhsa_fp16_overflow 0
		.amdhsa_tg_split 0
		.amdhsa_exception_fp_ieee_invalid_op 0
		.amdhsa_exception_fp_denorm_src 0
		.amdhsa_exception_fp_ieee_div_zero 0
		.amdhsa_exception_fp_ieee_overflow 0
		.amdhsa_exception_fp_ieee_underflow 0
		.amdhsa_exception_fp_ieee_inexact 0
		.amdhsa_exception_int_div_zero 0
	.end_amdhsa_kernel
	.section	.text._ZL13mul_mat_f_idsIfLi64ELi14ELi4EEvPKT_PKfPKiS6_S6_Pfiiiiiiiiiiiiii15HIP_vector_typeIjLj3EES9_,"axG",@progbits,_ZL13mul_mat_f_idsIfLi64ELi14ELi4EEvPKT_PKfPKiS6_S6_Pfiiiiiiiiiiiiii15HIP_vector_typeIjLj3EES9_,comdat
.Lfunc_end84:
	.size	_ZL13mul_mat_f_idsIfLi64ELi14ELi4EEvPKT_PKfPKiS6_S6_Pfiiiiiiiiiiiiii15HIP_vector_typeIjLj3EES9_, .Lfunc_end84-_ZL13mul_mat_f_idsIfLi64ELi14ELi4EEvPKT_PKfPKiS6_S6_Pfiiiiiiiiiiiiii15HIP_vector_typeIjLj3EES9_
                                        ; -- End function
	.section	.AMDGPU.csdata,"",@progbits
; Kernel info:
; codeLenInByte = 6888
; NumSgprs: 106
; NumVgprs: 91
; NumAgprs: 16
; TotalNumVgprs: 108
; ScratchSize: 0
; MemoryBound: 0
; FloatMode: 240
; IeeeMode: 1
; LDSByteSize: 0 bytes/workgroup (compile time only)
; SGPRBlocks: 13
; VGPRBlocks: 13
; NumSGPRsForWavesPerEU: 106
; NumVGPRsForWavesPerEU: 108
; AccumOffset: 92
; Occupancy: 4
; WaveLimiterHint : 1
; COMPUTE_PGM_RSRC2:SCRATCH_EN: 0
; COMPUTE_PGM_RSRC2:USER_SGPR: 2
; COMPUTE_PGM_RSRC2:TRAP_HANDLER: 0
; COMPUTE_PGM_RSRC2:TGID_X_EN: 1
; COMPUTE_PGM_RSRC2:TGID_Y_EN: 1
; COMPUTE_PGM_RSRC2:TGID_Z_EN: 1
; COMPUTE_PGM_RSRC2:TIDIG_COMP_CNT: 1
; COMPUTE_PGM_RSRC3_GFX90A:ACCUM_OFFSET: 22
; COMPUTE_PGM_RSRC3_GFX90A:TG_SPLIT: 0
	.section	.text._ZL9mul_mat_fIfLi64ELi14ELi4ELb1EEvPKT_PKfPKiPfiiiiiiiiiiiiiiii,"axG",@progbits,_ZL9mul_mat_fIfLi64ELi14ELi4ELb1EEvPKT_PKfPKiPfiiiiiiiiiiiiiiii,comdat
	.globl	_ZL9mul_mat_fIfLi64ELi14ELi4ELb1EEvPKT_PKfPKiPfiiiiiiiiiiiiiiii ; -- Begin function _ZL9mul_mat_fIfLi64ELi14ELi4ELb1EEvPKT_PKfPKiPfiiiiiiiiiiiiiiii
	.p2align	8
	.type	_ZL9mul_mat_fIfLi64ELi14ELi4ELb1EEvPKT_PKfPKiPfiiiiiiiiiiiiiiii,@function
_ZL9mul_mat_fIfLi64ELi14ELi4ELb1EEvPKT_PKfPKiPfiiiiiiiiiiiiiiii: ; @_ZL9mul_mat_fIfLi64ELi14ELi4ELb1EEvPKT_PKfPKiPfiiiiiiiiiiiiiiii
; %bb.0:
	s_load_dwordx8 s[44:51], s[0:1], 0x20
	s_load_dword s7, s[0:1], 0x64
	s_load_dwordx4 s[52:55], s[0:1], 0x44
	s_load_dwordx2 s[8:9], s[0:1], 0x10
	v_bfe_u32 v74, v0, 10, 10
	s_waitcnt lgkmcnt(0)
	s_add_i32 s6, s45, 13
	s_mul_hi_i32 s5, s6, 0x92492493
	s_add_i32 s5, s5, s6
	s_lshr_b32 s6, s5, 31
	s_ashr_i32 s5, s5, 3
	s_add_i32 s5, s5, s6
	v_cvt_f32_u32_e32 v1, s5
	s_add_u32 s12, s0, 0x60
	s_addc_u32 s13, s1, 0
	s_sub_i32 s6, 0, s5
	v_rcp_iflag_f32_e32 v1, v1
	s_abs_i32 s22, s55
	v_mul_f32_e32 v1, 0x4f7ffffe, v1
	v_cvt_u32_f32_e32 v1, v1
	v_mul_lo_u32 v2, s6, v1
	v_mul_hi_u32 v2, v1, v2
	v_add_u32_e32 v1, v1, v2
	v_mul_hi_u32 v1, s7, v1
	v_mul_lo_u32 v2, v1, s5
	v_sub_u32_e32 v2, s7, v2
	v_add_u32_e32 v3, 1, v1
	v_subrev_u32_e32 v4, s5, v2
	v_cmp_le_u32_e32 vcc, s5, v2
	s_nop 1
	v_cndmask_b32_e32 v1, v1, v3, vcc
	v_cndmask_b32_e32 v2, v2, v4, vcc
	v_add_u32_e32 v3, 1, v1
	v_cmp_le_u32_e32 vcc, s5, v2
	s_nop 1
	v_cndmask_b32_e32 v1, v1, v3, vcc
	v_cvt_f32_u32_e32 v2, v1
	v_sub_u32_e32 v4, 0, v1
	v_rcp_iflag_f32_e32 v2, v2
	s_nop 0
	v_mul_f32_e32 v2, 0x4f7ffffe, v2
	v_cvt_u32_f32_e32 v3, v2
	v_and_b32_e32 v2, 0x3ff, v0
	v_cmp_eq_u32_e32 vcc, 0, v2
	v_mul_lo_u32 v4, v4, v3
	v_mul_hi_u32 v4, v3, v4
	v_add_u32_e32 v3, v3, v4
	v_mul_hi_u32 v3, s3, v3
	s_and_saveexec_b64 s[6:7], vcc
	s_cbranch_execz .LBB85_2
; %bb.1:
	v_mov_b32_e32 v4, 0x100
	v_lshl_add_u32 v4, v74, 2, v4
	v_mov_b32_e32 v5, -1
	ds_write_b32 v4, v5
.LBB85_2:
	s_or_b64 exec, exec, s[6:7]
	v_mul_lo_u32 v4, v3, v1
	v_sub_u32_e32 v4, s3, v4
	v_add_u32_e32 v5, 1, v3
	v_sub_u32_e32 v6, v4, v1
	v_cmp_ge_u32_e64 s[6:7], v4, v1
	v_cvt_f32_u32_e32 v11, s22
	s_nop 0
	v_cndmask_b32_e64 v3, v3, v5, s[6:7]
	v_cndmask_b32_e64 v4, v4, v6, s[6:7]
	v_add_u32_e32 v5, 1, v3
	v_cmp_ge_u32_e64 s[6:7], v4, v1
	s_nop 1
	v_cndmask_b32_e64 v3, v3, v5, s[6:7]
	v_mul_lo_u32 v1, v3, v1
	v_mul_lo_u32 v3, v3, 14
	v_mul_hi_i32 v5, v3, s51
	v_mul_lo_u32 v4, v3, s51
	v_sub_u32_e32 v10, s3, v1
	v_lshlrev_b64 v[4:5], 2, v[4:5]
	v_add_u32_e32 v1, v74, v3
	v_lshl_add_u64 v[4:5], s[8:9], 0, v[4:5]
	v_cmp_gt_i32_e64 s[8:9], s46, v2
	v_cmp_gt_i32_e64 s[24:25], s45, v1
	v_mov_b32_e32 v1, 0
	s_and_saveexec_b64 s[14:15], s[24:25]
	s_cbranch_execz .LBB85_10
; %bb.3:
	v_mov_b32_e32 v1, 0
	s_and_saveexec_b64 s[16:17], s[8:9]
	s_cbranch_execz .LBB85_9
; %bb.4:
	v_mul_lo_u32 v6, v74, s51
	v_ashrrev_i32_e32 v7, 31, v6
	v_mov_b32_e32 v1, 0x100
	v_lshl_add_u64 v[6:7], v[6:7], 2, v[4:5]
	v_lshl_add_u32 v12, v74, 2, v1
	v_mul_lo_u32 v8, v2, s50
	s_lshl_b32 s3, s50, 6
	s_mov_b64 s[18:19], 0
	v_mov_b32_e32 v1, 0
	v_mov_b32_e32 v13, v2
	s_branch .LBB85_6
.LBB85_5:                               ;   in Loop: Header=BB85_6 Depth=1
	s_or_b64 exec, exec, s[20:21]
	v_add_u32_e32 v13, 64, v13
	v_cmp_le_i32_e64 s[10:11], s46, v13
	s_xor_b64 s[6:7], s[6:7], -1
	s_or_b64 s[6:7], s[6:7], s[10:11]
	s_and_b64 s[6:7], exec, s[6:7]
	s_or_b64 s[18:19], s[6:7], s[18:19]
	v_add_u32_e32 v8, s3, v8
	s_andn2_b64 exec, exec, s[18:19]
	s_cbranch_execz .LBB85_8
.LBB85_6:                               ; =>This Inner Loop Header: Depth=1
	v_ashrrev_i32_e32 v9, 31, v8
	v_lshl_add_u64 v[14:15], v[8:9], 2, v[6:7]
	global_load_dword v9, v[14:15], off
	s_waitcnt vmcnt(0)
	v_cmp_ne_u32_e64 s[6:7], v9, v10
	v_cmp_eq_u32_e64 s[10:11], v9, v10
	s_and_saveexec_b64 s[20:21], s[10:11]
	s_cbranch_execz .LBB85_5
; %bb.7:                                ;   in Loop: Header=BB85_6 Depth=1
	v_mov_b32_e32 v1, 1
	ds_write_b32 v12, v13
	s_branch .LBB85_5
.LBB85_8:
	s_or_b64 exec, exec, s[18:19]
.LBB85_9:
	s_or_b64 exec, exec, s[16:17]
.LBB85_10:
	s_or_b64 exec, exec, s[14:15]
	v_rcp_iflag_f32_e32 v6, v11
	s_and_saveexec_b64 s[6:7], vcc
	s_cbranch_execz .LBB85_12
; %bb.11:
	v_mov_b32_e32 v7, 0x100
	v_lshl_add_u32 v7, v74, 2, v7
	v_mov_b32_e32 v8, -1
	ds_write_b32 v7, v8 offset:16
.LBB85_12:
	s_or_b64 exec, exec, s[6:7]
	v_add_u32_e32 v75, 4, v74
	v_mul_f32_e32 v11, 0x4f7ffffe, v6
	v_add_u32_e32 v6, v75, v3
	v_cmp_gt_i32_e64 s[6:7], s45, v6
	s_mov_b64 s[14:15], exec
                                        ; implicit-def: $vgpr91 : SGPR spill to VGPR lane
	s_nop 0
	v_writelane_b32 v91, s6, 0
	s_nop 1
	v_writelane_b32 v91, s7, 1
	s_and_b64 s[6:7], s[14:15], s[6:7]
	s_mov_b64 exec, s[6:7]
	s_cbranch_execz .LBB85_20
; %bb.13:
	s_and_saveexec_b64 s[16:17], s[8:9]
	s_cbranch_execz .LBB85_19
; %bb.14:
	v_mul_lo_u32 v6, v75, s51
	v_ashrrev_i32_e32 v7, 31, v6
	v_mov_b32_e32 v8, 0x100
	v_lshl_add_u64 v[6:7], v[6:7], 2, v[4:5]
	v_lshl_add_u32 v12, v74, 2, v8
	v_mul_lo_u32 v8, v2, s50
	s_lshl_b32 s3, s50, 6
	s_mov_b64 s[18:19], 0
	v_mov_b32_e32 v13, v2
	s_branch .LBB85_16
.LBB85_15:                              ;   in Loop: Header=BB85_16 Depth=1
	s_or_b64 exec, exec, s[20:21]
	v_add_u32_e32 v13, 64, v13
	v_cmp_le_i32_e64 s[10:11], s46, v13
	s_xor_b64 s[6:7], s[6:7], -1
	s_or_b64 s[6:7], s[6:7], s[10:11]
	s_and_b64 s[6:7], exec, s[6:7]
	s_or_b64 s[18:19], s[6:7], s[18:19]
	v_add_u32_e32 v8, s3, v8
	s_andn2_b64 exec, exec, s[18:19]
	s_cbranch_execz .LBB85_18
.LBB85_16:                              ; =>This Inner Loop Header: Depth=1
	v_ashrrev_i32_e32 v9, 31, v8
	v_lshl_add_u64 v[14:15], v[8:9], 2, v[6:7]
	global_load_dword v9, v[14:15], off
	s_waitcnt vmcnt(0)
	v_cmp_ne_u32_e64 s[6:7], v9, v10
	v_cmp_eq_u32_e64 s[10:11], v9, v10
	s_and_saveexec_b64 s[20:21], s[10:11]
	s_cbranch_execz .LBB85_15
; %bb.17:                               ;   in Loop: Header=BB85_16 Depth=1
	v_mov_b32_e32 v1, 1
	ds_write_b32 v12, v13 offset:16
	s_branch .LBB85_15
.LBB85_18:
	s_or_b64 exec, exec, s[18:19]
.LBB85_19:
	s_or_b64 exec, exec, s[16:17]
.LBB85_20:
	s_or_b64 exec, exec, s[14:15]
	v_cvt_u32_f32_e32 v11, v11
	s_sub_i32 s3, 0, s22
	s_and_saveexec_b64 s[6:7], vcc
	s_cbranch_execz .LBB85_22
; %bb.21:
	v_mov_b32_e32 v6, 0x100
	v_lshl_add_u32 v6, v74, 2, v6
	v_mov_b32_e32 v7, -1
	ds_write_b32 v6, v7 offset:32
.LBB85_22:
	s_or_b64 exec, exec, s[6:7]
	v_add_u32_e32 v76, 8, v74
	v_mul_lo_u32 v12, s3, v11
	v_add_u32_e32 v6, v76, v3
	v_cmp_gt_i32_e64 s[6:7], s45, v6
	s_mov_b64 s[14:15], exec
	s_nop 0
	v_writelane_b32 v91, s6, 2
	s_nop 1
	v_writelane_b32 v91, s7, 3
	s_and_b64 s[6:7], s[14:15], s[6:7]
	s_mov_b64 exec, s[6:7]
	s_cbranch_execz .LBB85_30
; %bb.23:
	s_and_saveexec_b64 s[16:17], s[8:9]
	s_cbranch_execz .LBB85_29
; %bb.24:
	v_mul_lo_u32 v6, v76, s51
	v_ashrrev_i32_e32 v7, 31, v6
	v_mov_b32_e32 v8, 0x100
	v_lshl_add_u64 v[6:7], v[6:7], 2, v[4:5]
	v_lshl_add_u32 v13, v74, 2, v8
	v_mul_lo_u32 v8, v2, s50
	s_lshl_b32 s3, s50, 6
	s_mov_b64 s[18:19], 0
	v_mov_b32_e32 v14, v2
	s_branch .LBB85_26
.LBB85_25:                              ;   in Loop: Header=BB85_26 Depth=1
	s_or_b64 exec, exec, s[20:21]
	v_add_u32_e32 v14, 64, v14
	v_cmp_le_i32_e64 s[10:11], s46, v14
	s_xor_b64 s[6:7], s[6:7], -1
	s_or_b64 s[6:7], s[6:7], s[10:11]
	s_and_b64 s[6:7], exec, s[6:7]
	s_or_b64 s[18:19], s[6:7], s[18:19]
	v_add_u32_e32 v8, s3, v8
	s_andn2_b64 exec, exec, s[18:19]
	s_cbranch_execz .LBB85_28
.LBB85_26:                              ; =>This Inner Loop Header: Depth=1
	v_ashrrev_i32_e32 v9, 31, v8
	v_lshl_add_u64 v[16:17], v[8:9], 2, v[6:7]
	global_load_dword v9, v[16:17], off
	s_waitcnt vmcnt(0)
	v_cmp_ne_u32_e64 s[6:7], v9, v10
	v_cmp_eq_u32_e64 s[10:11], v9, v10
	s_and_saveexec_b64 s[20:21], s[10:11]
	s_cbranch_execz .LBB85_25
; %bb.27:                               ;   in Loop: Header=BB85_26 Depth=1
	v_mov_b32_e32 v1, 1
	ds_write_b32 v13, v14 offset:32
	s_branch .LBB85_25
.LBB85_28:
	s_or_b64 exec, exec, s[18:19]
.LBB85_29:
	s_or_b64 exec, exec, s[16:17]
.LBB85_30:
	s_or_b64 exec, exec, s[14:15]
	v_mul_hi_u32 v6, v11, v12
	s_and_saveexec_b64 s[6:7], vcc
	s_cbranch_execz .LBB85_32
; %bb.31:
	v_mov_b32_e32 v7, 0x100
	v_lshl_add_u32 v7, v74, 2, v7
	v_mov_b32_e32 v8, -1
	ds_write_b32 v7, v8 offset:48
.LBB85_32:
	s_or_b64 exec, exec, s[6:7]
	s_load_dwordx4 s[28:31], s[0:1], 0x54
	v_add_u32_e32 v77, 12, v74
	s_abs_i32 s3, s4
	v_add_u32_e32 v8, v11, v6
	v_add_u32_e32 v6, v77, v3
	v_cmp_gt_i32_e64 s[6:7], s45, v6
	s_mov_b64 s[10:11], exec
	s_nop 0
	v_writelane_b32 v91, s6, 4
	s_nop 1
	v_writelane_b32 v91, s7, 5
	s_and_b64 s[6:7], s[10:11], s[6:7]
	s_mov_b64 exec, s[6:7]
	s_cbranch_execz .LBB85_40
; %bb.33:
	s_and_saveexec_b64 s[14:15], s[8:9]
	s_cbranch_execz .LBB85_39
; %bb.34:
	v_mul_lo_u32 v6, v77, s51
	v_ashrrev_i32_e32 v7, 31, v6
	v_lshl_add_u64 v[4:5], v[6:7], 2, v[4:5]
	v_mov_b32_e32 v6, 0x100
	v_lshl_add_u32 v9, v74, 2, v6
	v_mul_lo_u32 v6, v2, s50
	s_lshl_b32 s5, s50, 6
	s_mov_b64 s[16:17], 0
	v_mov_b32_e32 v11, v2
	s_branch .LBB85_36
.LBB85_35:                              ;   in Loop: Header=BB85_36 Depth=1
	s_or_b64 exec, exec, s[18:19]
	v_add_u32_e32 v11, 64, v11
	v_cmp_le_i32_e64 s[8:9], s46, v11
	s_xor_b64 s[6:7], vcc, -1
	s_or_b64 s[6:7], s[6:7], s[8:9]
	s_and_b64 s[6:7], exec, s[6:7]
	s_or_b64 s[16:17], s[6:7], s[16:17]
	v_add_u32_e32 v6, s5, v6
	s_andn2_b64 exec, exec, s[16:17]
	s_cbranch_execz .LBB85_38
.LBB85_36:                              ; =>This Inner Loop Header: Depth=1
	v_ashrrev_i32_e32 v7, 31, v6
	v_lshl_add_u64 v[12:13], v[6:7], 2, v[4:5]
	global_load_dword v7, v[12:13], off
	s_waitcnt vmcnt(0)
	v_cmp_ne_u32_e32 vcc, v7, v10
	v_cmp_eq_u32_e64 s[8:9], v7, v10
	s_and_saveexec_b64 s[18:19], s[8:9]
	s_cbranch_execz .LBB85_35
; %bb.37:                               ;   in Loop: Header=BB85_36 Depth=1
	v_mov_b32_e32 v1, 1
	ds_write_b32 v9, v11 offset:48
	s_branch .LBB85_35
.LBB85_38:
	s_or_b64 exec, exec, s[16:17]
.LBB85_39:
	s_or_b64 exec, exec, s[14:15]
.LBB85_40:
	s_or_b64 exec, exec, s[10:11]
	s_load_dwordx2 s[6:7], s[12:13], 0xc
	s_load_dwordx2 s[10:11], s[0:1], 0x8
	;; [unrolled: 1-line block ×3, first 2 shown]
	v_cmp_ne_u32_e32 vcc, 0, v1
	v_mul_hi_u32 v4, s3, v8
	s_waitcnt lgkmcnt(0)
	s_and_b32 s5, s7, 0xffff
	v_cndmask_b32_e64 v1, 0, 1, vcc
	v_writelane_b32 v91, s8, 6
	s_lshr_b32 s7, s6, 16
	v_or_b32_dpp v1, v1, v1 row_shl:1 row_mask:0xf bank_mask:0xf bound_ctrl:1
	s_and_b32 s6, s6, 0xffff
	v_writelane_b32 v91, s9, 7
	v_or_b32_dpp v1, v1, v1 row_shl:2 row_mask:0xf bank_mask:0xf bound_ctrl:1
	s_mul_i32 s8, s7, s6
	s_bfe_i32 s8, s8, 0x180000
	v_or_b32_dpp v1, v1, v1 row_shl:4 row_mask:0xf bank_mask:0xf bound_ctrl:1
	s_mul_i32 s5, s8, s5
	s_add_i32 s8, s5, 63
	v_or_b32_dpp v1, v1, v1 row_shl:8 row_mask:0xf bank_mask:0xf bound_ctrl:1
	s_bitcmp1_b32 exec_hi, 0
                                        ; kill: killed $sgpr12 killed $sgpr13
	s_nop 0
	v_mov_b32_dpp v5, v1 wave_shl:1 row_mask:0xf bank_mask:0xf bound_ctrl:1
	s_nop 1
	v_or_b32_dpp v1, v5, v1 row_mirror row_mask:0xf bank_mask:0xf bound_ctrl:1
	s_nop 0
	v_readlane_b32 s5, v1, 32
	s_cselect_b32 s5, s5, 0
	v_readlane_b32 s9, v1, 0
	s_or_b32 s5, s5, s9
	s_andn2_b32 s8, s8, 63
	s_cmp_lg_u32 s8, 64
	v_mov_b32_e32 v1, s5
	s_cbranch_scc0 .LBB85_47
; %bb.41:
	v_bfe_u32 v0, v0, 20, 10
	v_mbcnt_lo_u32_b32 v1, -1, 0
	v_mad_u32_u24 v0, v0, s7, v74
	v_mbcnt_hi_u32_b32 v5, -1, v1
	v_mad_u64_u32 v[0:1], s[6:7], v0, s6, v[2:3]
	v_lshrrev_b32_e32 v1, 6, v0
	v_or_b32_e32 v1, v5, v1
	v_cmp_eq_u32_e32 vcc, 0, v1
	s_and_saveexec_b64 s[8:9], vcc
	s_cbranch_execz .LBB85_43
; %bb.42:
	v_mov_b32_e32 v1, 0
	v_mov_b32_e32 v6, s5
	ds_write_b32 v1, v6
.LBB85_43:
	s_or_b64 exec, exec, s[8:9]
	v_cmp_eq_u32_e32 vcc, 0, v5
	v_cmp_lt_u32_e64 s[8:9], 63, v0
	s_and_b64 s[6:7], s[8:9], vcc
	s_waitcnt lgkmcnt(0)
	s_barrier
	s_and_saveexec_b64 s[8:9], s[6:7]
	s_cbranch_execz .LBB85_46
; %bb.44:
	v_mbcnt_lo_u32_b32 v0, exec_lo, 0
	v_mbcnt_hi_u32_b32 v0, exec_hi, v0
	v_cmp_eq_u32_e32 vcc, 0, v0
	s_and_b64 exec, exec, vcc
	s_cbranch_execz .LBB85_46
; %bb.45:
	v_mov_b32_e32 v0, 0
	v_mov_b32_e32 v1, s5
	ds_or_b32 v0, v1
.LBB85_46:
	s_or_b64 exec, exec, s[8:9]
	v_mov_b32_e32 v0, 0
	s_waitcnt lgkmcnt(0)
	s_barrier
	ds_read_b32 v1, v0
	s_waitcnt lgkmcnt(0)
	s_barrier
.LBB85_47:
	s_load_dwordx2 s[8:9], s[0:1], 0x0
	v_cmp_ne_u32_e32 vcc, 0, v1
	s_ashr_i32 s5, s4, 31
	s_ashr_i32 s6, s55, 31
	s_cbranch_vccz .LBB85_125
; %bb.48:
	v_lshlrev_b32_e32 v78, 6, v74
	v_add_u32_e32 v80, v78, v2
	v_cmp_le_i32_e32 vcc, s44, v80
	v_and_b32_e32 v79, 15, v2
                                        ; implicit-def: $sgpr7
	s_and_saveexec_b64 s[0:1], vcc
	s_xor_b64 s[0:1], exec, s[0:1]
; %bb.49:
	v_and_b32_e32 v79, 15, v2
	s_mov_b32 s7, 0
                                        ; implicit-def: $vgpr80
                                        ; implicit-def: $vgpr4
                                        ; implicit-def: $vgpr10
; %bb.50:
	s_or_saveexec_b64 s[0:1], s[0:1]
	s_lshl_b32 s12, s2, 6
	v_accvgpr_write_b32 a0, s7
	v_accvgpr_write_b32 a1, s7
	;; [unrolled: 1-line block ×16, first 2 shown]
	v_writelane_b32 v91, s0, 8
	s_nop 1
	v_writelane_b32 v91, s1, 9
	s_xor_b64 exec, exec, s[0:1]
	s_cbranch_execz .LBB85_110
; %bb.51:
	v_mul_lo_u32 v0, v4, s22
	v_sub_u32_e32 v0, s3, v0
	v_add_u32_e32 v1, 1, v4
	v_subrev_u32_e32 v5, s22, v0
	v_cmp_le_u32_e32 vcc, s22, v0
	v_writelane_b32 v91, s24, 10
	s_xor_b32 s0, s5, s6
	v_cndmask_b32_e32 v1, v4, v1, vcc
	v_cndmask_b32_e32 v0, v0, v5, vcc
	v_add_u32_e32 v4, 1, v1
	v_cmp_le_u32_e32 vcc, s22, v0
	v_writelane_b32 v91, s25, 11
	v_writelane_b32 v91, s12, 12
	v_cndmask_b32_e32 v0, v1, v4, vcc
	v_xor_b32_e32 v0, s0, v0
	v_subrev_u32_e32 v0, s0, v0
	s_mul_i32 s0, s12, s47
	s_movk_i32 s2, 0x1080
	v_mov_b32_e32 v81, 0x100
	v_writelane_b32 v91, s4, 13
	v_mul_hi_i32 v1, v0, s28
	v_mul_lo_u32 v0, v0, s28
	v_mul_lo_u32 v4, v10, s52
	s_ashr_i32 s1, s0, 31
	v_mad_u32_u24 v10, v74, s2, v81
	s_mul_hi_i32 s3, s29, s4
	v_writelane_b32 v91, s28, 14
	s_mul_i32 s2, s29, s4
	v_ashrrev_i32_e32 v5, 31, v4
	s_lshl_b64 s[0:1], s[0:1], 2
	s_lshl_b64 s[2:3], s[2:3], 2
	v_lshlrev_b64 v[8:9], 2, v[4:5]
	v_writelane_b32 v91, s29, 15
	v_mul_hi_i32 v5, v3, s48
	v_mul_lo_u32 v4, v3, s48
	s_add_u32 s2, s10, s2
	v_lshlrev_b64 v[6:7], 2, v[0:1]
	v_writelane_b32 v91, s30, 16
	s_addc_u32 s3, s11, s3
	v_lshlrev_b64 v[4:5], 2, v[4:5]
	s_waitcnt lgkmcnt(0)
	v_lshl_add_u64 v[0:1], s[8:9], 0, v[6:7]
	v_writelane_b32 v91, s31, 17
	v_lshl_add_u64 v[4:5], s[2:3], 0, v[4:5]
	s_lshl_b32 s2, s48, 2
	v_lshl_add_u64 v[0:1], v[0:1], 0, v[8:9]
	v_writelane_b32 v91, s2, 18
	s_lshl_b32 s2, s48, 3
	v_lshl_add_u64 v[0:1], v[0:1], 0, s[0:1]
	v_lshrrev_b32_e32 v12, 1, v2
	v_writelane_b32 v91, s2, 19
	v_lshl_add_u64 v[6:7], v[6:7], 0, s[0:1]
	s_mul_i32 s0, s47, 3
	v_mul_u32_u24_e32 v11, 0x108, v79
	v_and_b32_e32 v12, 0x1f8, v12
	v_lshl_add_u64 v[8:9], v[6:7], 0, v[8:9]
	v_writelane_b32 v91, s0, 20
	s_mul_i32 s0, s47, 5
	v_lshl_add_u32 v82, v2, 2, v10
	v_add3_u32 v83, v10, v11, v12
	v_or_b32_e32 v10, 1, v3
	v_add_u32_e32 v11, 2, v3
	s_lshl_b32 s46, s48, 1
	v_add_u32_e32 v12, 3, v3
	v_add_u32_e32 v13, 4, v3
	;; [unrolled: 1-line block ×11, first 2 shown]
	s_ashr_i32 s3, s47, 31
	s_mov_b32 s2, s47
	v_lshlrev_b32_e32 v6, 2, v80
	v_mov_b32_e32 v7, 0
	v_lshl_add_u64 v[8:9], s[8:9], 0, v[8:9]
	v_writelane_b32 v91, s0, 21
	s_mul_i32 s0, s47, 6
	s_lshl_b64 s[2:3], s[2:3], 2
	v_lshl_add_u64 v[8:9], v[8:9], 0, v[6:7]
	s_lshl_b32 s68, s47, 1
	s_lshl_b32 s70, s47, 2
	v_writelane_b32 v91, s0, 22
	s_mul_i32 s73, s47, 7
	s_lshl_b32 s74, s47, 3
	s_mul_i32 s75, s47, 9
	s_mul_i32 s76, s47, 10
	s_mul_i32 s77, s47, 11
	s_mul_i32 s78, s47, 12
	s_mul_i32 s79, s47, 13
	s_mul_i32 s80, s47, 14
	s_mul_i32 s81, s47, 15
	s_lshl_b32 s82, s47, 4
	s_mul_i32 s83, s47, 17
	s_mul_i32 s84, s47, 18
	;; [unrolled: 1-line block ×15, first 2 shown]
	s_lshl_b32 s98, s47, 5
	s_mul_i32 s99, s47, 33
	s_mul_i32 s50, s47, 34
	;; [unrolled: 1-line block ×11, first 2 shown]
	v_cmp_gt_i32_e64 s[8:9], s45, v3
	s_mul_i32 s38, s47, 44
	s_mul_i32 s39, s47, 45
	v_accvgpr_write_b32 a15, 0
	v_accvgpr_write_b32 a14, 0
	;; [unrolled: 1-line block ×16, first 2 shown]
	s_mul_i32 s60, s47, 46
	s_mul_i32 s61, s47, 47
	;; [unrolled: 1-line block ×18, first 2 shown]
	v_cmp_gt_i32_e64 s[10:11], s45, v10
	v_cmp_gt_i32_e64 s[12:13], s45, v11
	;; [unrolled: 1-line block ×13, first 2 shown]
	s_mov_b32 s45, s46
	s_mov_b64 s[46:47], 0
	s_mov_b64 s[56:57], 0x400
	s_branch .LBB85_54
.LBB85_52:                              ;   in Loop: Header=BB85_54 Depth=1
	v_mul_lo_u32 v6, v6, s53
	s_mul_i32 vcc_lo, s48, 13
	v_add_u32_e32 v6, vcc_lo, v6
	v_add_u32_e32 v84, v6, v80
	v_ashrrev_i32_e32 v85, 31, v84
	v_lshl_add_u64 v[84:85], v[84:85], 2, v[4:5]
	global_load_dword v6, v[84:85], off
.LBB85_53:                              ;   in Loop: Header=BB85_54 Depth=1
	v_add_u32_e32 v84, 0xc00, v82
	s_waitcnt vmcnt(0)
	ds_write2_b32 v84, v6, v7 offset0:106 offset1:172
	ds_write_b32 v82, v7 offset:4024
	ds_read2_b64 v[84:87], v83 offset0:8 offset1:12
	v_add_u32_e32 v80, 0x100, v80
	v_cmp_le_i32_e32 vcc, s44, v80
	v_lshl_add_u64 v[8:9], v[8:9], 0, s[56:57]
	s_or_b64 s[46:47], vcc, s[46:47]
	s_waitcnt lgkmcnt(0)
	v_mfma_f32_16x16x8_xf32 a[12:15], v[16:17], v[84:85], a[12:15]
	v_mfma_f32_16x16x8_xf32 a[8:11], v[42:43], v[84:85], a[8:11]
	;; [unrolled: 1-line block ×5, first 2 shown]
	ds_read2_b64 v[14:17], v83 offset0:16 offset1:20
	v_mfma_f32_16x16x8_xf32 a[8:11], v[38:39], v[86:87], a[8:11]
	v_mfma_f32_16x16x8_xf32 a[4:7], v[54:55], v[86:87], a[4:7]
	;; [unrolled: 1-line block ×3, first 2 shown]
	s_waitcnt lgkmcnt(0)
	v_mfma_f32_16x16x8_xf32 a[12:15], v[12:13], v[14:15], a[12:15]
	v_mfma_f32_16x16x8_xf32 a[8:11], v[36:37], v[14:15], a[8:11]
	;; [unrolled: 1-line block ×5, first 2 shown]
	ds_read2_b64 v[10:13], v83 offset0:24 offset1:28
	v_mfma_f32_16x16x8_xf32 a[8:11], v[34:35], v[16:17], a[8:11]
	v_mfma_f32_16x16x8_xf32 a[4:7], v[50:51], v[16:17], a[4:7]
	;; [unrolled: 1-line block ×3, first 2 shown]
	s_waitcnt lgkmcnt(0)
	v_mfma_f32_16x16x8_xf32 a[12:15], v[24:25], v[10:11], a[12:15]
	v_mfma_f32_16x16x8_xf32 a[8:11], v[32:33], v[10:11], a[8:11]
	;; [unrolled: 1-line block ×8, first 2 shown]
	ds_read2_b64 v[10:13], v83 offset0:32 offset1:36
	s_waitcnt lgkmcnt(0)
	v_mfma_f32_16x16x8_xf32 a[12:15], v[20:21], v[10:11], a[12:15]
	v_mfma_f32_16x16x8_xf32 a[8:11], v[28:29], v[10:11], a[8:11]
	;; [unrolled: 1-line block ×8, first 2 shown]
	s_andn2_b64 exec, exec, s[46:47]
	s_cbranch_execz .LBB85_109
.LBB85_54:                              ; =>This Inner Loop Header: Depth=1
	v_readlane_b32 vcc_lo, v91, 20
	v_lshl_add_u64 v[10:11], v[8:9], 0, s[2:3]
	global_load_dword v6, v[8:9], off
	global_load_dword v26, v[10:11], off
	v_add_u32_e32 v12, vcc_lo, v80
	v_readlane_b32 vcc_lo, v91, 21
	v_add_u32_e32 v10, s68, v80
	v_add_u32_e32 v14, s70, v80
	v_add_u32_e32 v16, vcc_lo, v80
	v_readlane_b32 vcc_lo, v91, 22
	v_add_u32_e32 v22, s74, v80
	v_ashrrev_i32_e32 v11, 31, v10
	v_ashrrev_i32_e32 v15, 31, v14
	;; [unrolled: 1-line block ×3, first 2 shown]
	v_add_u32_e32 v18, vcc_lo, v80
	v_add_u32_e32 v20, s73, v80
	v_ashrrev_i32_e32 v23, 31, v22
	v_add_u32_e32 v24, s75, v80
	v_lshl_add_u64 v[10:11], v[10:11], 2, v[0:1]
	v_ashrrev_i32_e32 v13, 31, v12
	v_lshl_add_u64 v[14:15], v[14:15], 2, v[0:1]
	v_lshl_add_u64 v[16:17], v[16:17], 2, v[0:1]
	v_ashrrev_i32_e32 v19, 31, v18
	v_ashrrev_i32_e32 v21, 31, v20
	v_lshl_add_u64 v[22:23], v[22:23], 2, v[0:1]
	v_ashrrev_i32_e32 v25, 31, v24
	v_lshl_add_u64 v[12:13], v[12:13], 2, v[0:1]
	v_lshl_add_u64 v[18:19], v[18:19], 2, v[0:1]
	;; [unrolled: 1-line block ×4, first 2 shown]
	global_load_dword v27, v[10:11], off
	global_load_dword v28, v[12:13], off
	;; [unrolled: 1-line block ×6, first 2 shown]
	s_nop 0
	global_load_dword v22, v[22:23], off
	s_nop 0
	global_load_dword v23, v[24:25], off
	v_add_u32_e32 v10, s76, v80
	v_add_u32_e32 v14, s78, v80
	;; [unrolled: 1-line block ×3, first 2 shown]
	v_ashrrev_i32_e32 v11, 31, v10
	v_add_u32_e32 v12, s77, v80
	v_ashrrev_i32_e32 v15, 31, v14
	v_ashrrev_i32_e32 v17, 31, v16
	v_add_u32_e32 v18, s80, v80
	v_add_u32_e32 v20, s81, v80
	v_lshl_add_u64 v[10:11], v[10:11], 2, v[0:1]
	v_ashrrev_i32_e32 v13, 31, v12
	v_lshl_add_u64 v[14:15], v[14:15], 2, v[0:1]
	v_lshl_add_u64 v[16:17], v[16:17], 2, v[0:1]
	v_ashrrev_i32_e32 v19, 31, v18
	v_ashrrev_i32_e32 v21, 31, v20
	v_lshl_add_u64 v[12:13], v[12:13], 2, v[0:1]
	v_lshl_add_u64 v[18:19], v[18:19], 2, v[0:1]
	v_lshl_add_u64 v[20:21], v[20:21], 2, v[0:1]
	global_load_dword v24, v[10:11], off
	global_load_dword v25, v[12:13], off
	s_nop 0
	global_load_dword v14, v[14:15], off
	s_nop 0
	;; [unrolled: 2-line block ×3, first 2 shown]
	global_load_dword v16, v[18:19], off
	global_load_dword v17, v[20:21], off
	v_add_u32_e32 v10, s82, v80
	v_add_u32_e32 v12, s83, v80
	v_ashrrev_i32_e32 v11, 31, v10
	v_ashrrev_i32_e32 v13, 31, v12
	v_lshl_add_u64 v[10:11], v[10:11], 2, v[0:1]
	v_add_u32_e32 v18, s84, v80
	v_lshl_add_u64 v[12:13], v[12:13], 2, v[0:1]
	global_load_dword v34, v[10:11], off
	global_load_dword v35, v[12:13], off
	v_ashrrev_i32_e32 v19, 31, v18
	v_add_u32_e32 v20, s85, v80
	v_lshl_add_u64 v[18:19], v[18:19], 2, v[0:1]
	v_ashrrev_i32_e32 v21, 31, v20
	v_lshl_add_u64 v[20:21], v[20:21], 2, v[0:1]
	s_andn2_b64 vcc, exec, s[8:9]
	s_waitcnt vmcnt(17)
	ds_write_b32 v82, v6 offset:64
	s_waitcnt vmcnt(16)
	ds_write_b32 v82, v26 offset:328
	;; [unrolled: 2-line block ×16, first 2 shown]
	v_add_u32_e32 v22, s86, v80
	v_add_u32_e32 v24, s87, v80
	;; [unrolled: 1-line block ×6, first 2 shown]
	v_ashrrev_i32_e32 v23, 31, v22
	v_ashrrev_i32_e32 v25, 31, v24
	;; [unrolled: 1-line block ×6, first 2 shown]
	ds_read_b64 v[16:17], v83 offset:64
	ds_read_b64 v[14:15], v83 offset:96
	;; [unrolled: 1-line block ×4, first 2 shown]
	v_lshl_add_u64 v[22:23], v[22:23], 2, v[0:1]
	v_lshl_add_u64 v[24:25], v[24:25], 2, v[0:1]
	v_lshl_add_u64 v[26:27], v[26:27], 2, v[0:1]
	v_lshl_add_u64 v[28:29], v[28:29], 2, v[0:1]
	v_lshl_add_u64 v[30:31], v[30:31], 2, v[0:1]
	v_lshl_add_u64 v[32:33], v[32:33], 2, v[0:1]
	global_load_dword v6, v[18:19], off
	global_load_dword v36, v[20:21], off
	global_load_dword v37, v[22:23], off
	global_load_dword v38, v[24:25], off
	global_load_dword v39, v[26:27], off
	global_load_dword v40, v[28:29], off
	global_load_dword v41, v[30:31], off
	global_load_dword v42, v[32:33], off
	v_add_u32_e32 v18, s92, v80
	v_ashrrev_i32_e32 v19, 31, v18
	v_add_u32_e32 v20, s93, v80
	v_add_u32_e32 v22, s94, v80
	v_add_u32_e32 v24, s95, v80
	v_add_u32_e32 v26, s96, v80
	v_add_u32_e32 v28, s97, v80
	v_add_u32_e32 v30, s98, v80
	v_add_u32_e32 v32, s99, v80
	v_lshl_add_u64 v[18:19], v[18:19], 2, v[0:1]
	v_ashrrev_i32_e32 v21, 31, v20
	v_ashrrev_i32_e32 v23, 31, v22
	v_ashrrev_i32_e32 v25, 31, v24
	v_ashrrev_i32_e32 v27, 31, v26
	v_ashrrev_i32_e32 v29, 31, v28
	v_ashrrev_i32_e32 v31, 31, v30
	v_ashrrev_i32_e32 v33, 31, v32
	v_lshl_add_u64 v[20:21], v[20:21], 2, v[0:1]
	v_lshl_add_u64 v[22:23], v[22:23], 2, v[0:1]
	v_lshl_add_u64 v[24:25], v[24:25], 2, v[0:1]
	v_lshl_add_u64 v[26:27], v[26:27], 2, v[0:1]
	v_lshl_add_u64 v[28:29], v[28:29], 2, v[0:1]
	v_lshl_add_u64 v[30:31], v[30:31], 2, v[0:1]
	v_lshl_add_u64 v[32:33], v[32:33], 2, v[0:1]
	global_load_dword v43, v[18:19], off
	global_load_dword v44, v[20:21], off
	global_load_dword v45, v[22:23], off
	global_load_dword v46, v[24:25], off
	global_load_dword v47, v[26:27], off
	global_load_dword v48, v[28:29], off
	global_load_dword v49, v[30:31], off
	global_load_dword v50, v[32:33], off
	v_add_u32_e32 v18, s50, v80
	v_ashrrev_i32_e32 v19, 31, v18
	v_add_u32_e32 v20, s51, v80
	v_add_u32_e32 v22, s58, v80
	v_add_u32_e32 v24, s5, v80
	v_add_u32_e32 v26, s6, v80
	v_add_u32_e32 v28, s7, v80
	v_add_u32_e32 v30, s0, v80
	v_add_u32_e32 v32, s1, v80
	v_lshl_add_u64 v[18:19], v[18:19], 2, v[0:1]
	v_ashrrev_i32_e32 v21, 31, v20
	v_ashrrev_i32_e32 v23, 31, v22
	v_ashrrev_i32_e32 v25, 31, v24
	v_ashrrev_i32_e32 v27, 31, v26
	v_ashrrev_i32_e32 v29, 31, v28
	v_ashrrev_i32_e32 v31, 31, v30
	v_ashrrev_i32_e32 v33, 31, v32
	v_lshl_add_u64 v[20:21], v[20:21], 2, v[0:1]
	;; [unrolled: 32-line block ×4, first 2 shown]
	v_lshl_add_u64 v[22:23], v[22:23], 2, v[0:1]
	v_lshl_add_u64 v[24:25], v[24:25], 2, v[0:1]
	;; [unrolled: 1-line block ×6, first 2 shown]
	global_load_dword v67, v[18:19], off
	global_load_dword v68, v[20:21], off
	;; [unrolled: 1-line block ×8, first 2 shown]
	v_add_u32_e32 v18, s4, v80
	v_ashrrev_i32_e32 v19, 31, v18
	v_add_u32_e32 v20, s55, v80
	v_add_u32_e32 v22, s62, v80
	;; [unrolled: 1-line block ×5, first 2 shown]
	v_lshl_add_u64 v[18:19], v[18:19], 2, v[0:1]
	v_ashrrev_i32_e32 v21, 31, v20
	v_ashrrev_i32_e32 v23, 31, v22
	v_ashrrev_i32_e32 v25, 31, v24
	v_ashrrev_i32_e32 v27, 31, v26
	v_ashrrev_i32_e32 v29, 31, v28
	v_lshl_add_u64 v[20:21], v[20:21], 2, v[0:1]
	v_lshl_add_u64 v[22:23], v[22:23], 2, v[0:1]
	;; [unrolled: 1-line block ×5, first 2 shown]
	global_load_dword v85, v[18:19], off
	global_load_dword v86, v[20:21], off
	;; [unrolled: 1-line block ×6, first 2 shown]
	ds_read_b64 v[24:25], v83 offset:192
	ds_read_b64 v[22:23], v83 offset:224
	ds_read_b64 v[20:21], v83 offset:256
	ds_read_b64 v[18:19], v83 offset:288
	s_waitcnt vmcnt(47)
	ds_write_b32 v82, v34 offset:64
	s_waitcnt vmcnt(46)
	ds_write_b32 v82, v35 offset:328
	s_waitcnt vmcnt(45)
	ds_write_b32 v82, v6 offset:592
	s_waitcnt vmcnt(44)
	ds_write_b32 v82, v36 offset:856
	s_waitcnt vmcnt(43)
	ds_write_b32 v82, v37 offset:1120
	s_waitcnt vmcnt(42)
	ds_write_b32 v82, v38 offset:1384
	s_waitcnt vmcnt(41)
	ds_write_b32 v82, v39 offset:1648
	s_waitcnt vmcnt(40)
	ds_write_b32 v82, v40 offset:1912
	s_waitcnt vmcnt(39)
	ds_write_b32 v82, v41 offset:2176
	s_waitcnt vmcnt(38)
	ds_write_b32 v82, v42 offset:2440
	s_waitcnt vmcnt(37)
	ds_write_b32 v82, v43 offset:2704
	s_waitcnt vmcnt(36)
	ds_write_b32 v82, v44 offset:2968
	s_waitcnt vmcnt(35)
	ds_write_b32 v82, v45 offset:3232
	s_waitcnt vmcnt(34)
	ds_write_b32 v82, v46 offset:3496
	s_waitcnt vmcnt(33)
	ds_write_b32 v82, v47 offset:3760
	s_waitcnt vmcnt(32)
	ds_write_b32 v82, v48 offset:4024
	ds_read_b64 v[42:43], v83 offset:64
	ds_read_b64 v[38:39], v83 offset:96
	ds_read_b64 v[36:37], v83 offset:128
	ds_read_b64 v[34:35], v83 offset:160
	ds_read_b64 v[32:33], v83 offset:192
	ds_read_b64 v[30:31], v83 offset:224
	ds_read_b64 v[28:29], v83 offset:256
	ds_read_b64 v[26:27], v83 offset:288
	s_waitcnt vmcnt(31)
	ds_write_b32 v82, v49 offset:64
	s_waitcnt vmcnt(30)
	ds_write_b32 v82, v50 offset:328
	s_waitcnt vmcnt(29)
	ds_write_b32 v82, v51 offset:592
	s_waitcnt vmcnt(28)
	ds_write_b32 v82, v52 offset:856
	s_waitcnt vmcnt(27)
	ds_write_b32 v82, v53 offset:1120
	s_waitcnt vmcnt(26)
	ds_write_b32 v82, v54 offset:1384
	s_waitcnt vmcnt(25)
	ds_write_b32 v82, v55 offset:1648
	s_waitcnt vmcnt(24)
	ds_write_b32 v82, v56 offset:1912
	s_waitcnt vmcnt(23)
	ds_write_b32 v82, v57 offset:2176
	s_waitcnt vmcnt(22)
	ds_write_b32 v82, v58 offset:2440
	s_waitcnt vmcnt(21)
	ds_write_b32 v82, v59 offset:2704
	s_waitcnt vmcnt(20)
	ds_write_b32 v82, v60 offset:2968
	s_waitcnt vmcnt(19)
	ds_write_b32 v82, v61 offset:3232
	s_waitcnt vmcnt(18)
	ds_write_b32 v82, v62 offset:3496
	s_waitcnt vmcnt(17)
	ds_write_b32 v82, v63 offset:3760
	s_waitcnt vmcnt(16)
	ds_write_b32 v82, v64 offset:4024
	ds_read_b64 v[56:57], v83 offset:64
	ds_read_b64 v[54:55], v83 offset:96
	ds_read_b64 v[52:53], v83 offset:128
	ds_read_b64 v[50:51], v83 offset:160
	;; [unrolled: 40-line block ×3, first 2 shown]
	ds_read_b64 v[68:69], v83 offset:192
	ds_read_b64 v[64:65], v83 offset:224
	;; [unrolled: 1-line block ×4, first 2 shown]
	v_mov_b32_e32 v6, 0
	s_cbranch_vccnz .LBB85_58
; %bb.55:                               ;   in Loop: Header=BB85_54 Depth=1
	ds_read_b32 v6, v81
	s_waitcnt lgkmcnt(0)
	v_cmp_gt_i32_e32 vcc, 0, v6
	s_cbranch_vccnz .LBB85_57
; %bb.56:                               ;   in Loop: Header=BB85_54 Depth=1
	v_mul_lo_u32 v6, v6, s53
	v_add_u32_e32 v84, v80, v6
	v_ashrrev_i32_e32 v85, 31, v84
	v_lshl_add_u64 v[84:85], v[84:85], 2, v[4:5]
	global_load_dword v6, v[84:85], off
	s_branch .LBB85_58
.LBB85_57:                              ;   in Loop: Header=BB85_54 Depth=1
	v_mov_b32_e32 v6, 0
.LBB85_58:                              ;   in Loop: Header=BB85_54 Depth=1
	s_waitcnt vmcnt(0)
	ds_write_b32 v82, v6 offset:64
	s_andn2_b64 vcc, exec, s[10:11]
	v_mov_b32_e32 v6, 0
	v_mov_b32_e32 v84, 0
	s_cbranch_vccnz .LBB85_61
; %bb.59:                               ;   in Loop: Header=BB85_54 Depth=1
	ds_read_b32 v84, v81 offset:4
	s_waitcnt lgkmcnt(0)
	v_cmp_gt_i32_e32 vcc, 0, v84
	s_cbranch_vccnz .LBB85_64
; %bb.60:                               ;   in Loop: Header=BB85_54 Depth=1
	v_mul_lo_u32 v84, v84, s53
	v_add_u32_e32 v84, s48, v84
	v_add_u32_e32 v84, v84, v80
	v_ashrrev_i32_e32 v85, 31, v84
	v_lshl_add_u64 v[84:85], v[84:85], 2, v[4:5]
	global_load_dword v84, v[84:85], off
.LBB85_61:                              ;   in Loop: Header=BB85_54 Depth=1
	s_andn2_b64 vcc, exec, s[12:13]
	s_waitcnt vmcnt(0)
	ds_write_b32 v82, v84 offset:328
	s_cbranch_vccnz .LBB85_66
.LBB85_62:                              ;   in Loop: Header=BB85_54 Depth=1
	ds_read_b32 v6, v81 offset:8
	s_waitcnt lgkmcnt(0)
	v_cmp_gt_i32_e32 vcc, 0, v6
	s_cbranch_vccnz .LBB85_65
; %bb.63:                               ;   in Loop: Header=BB85_54 Depth=1
	v_mul_lo_u32 v6, v6, s53
	v_add_u32_e32 v6, s45, v6
	v_add_u32_e32 v84, v6, v80
	v_ashrrev_i32_e32 v85, 31, v84
	v_lshl_add_u64 v[84:85], v[84:85], 2, v[4:5]
	global_load_dword v6, v[84:85], off
	s_branch .LBB85_66
.LBB85_64:                              ;   in Loop: Header=BB85_54 Depth=1
	v_mov_b32_e32 v84, 0
	s_andn2_b64 vcc, exec, s[12:13]
	ds_write_b32 v82, v84 offset:328
	s_cbranch_vccz .LBB85_62
	s_branch .LBB85_66
.LBB85_65:                              ;   in Loop: Header=BB85_54 Depth=1
	v_mov_b32_e32 v6, 0
.LBB85_66:                              ;   in Loop: Header=BB85_54 Depth=1
	s_waitcnt vmcnt(0)
	ds_write_b32 v82, v6 offset:592
	s_andn2_b64 vcc, exec, s[14:15]
	v_mov_b32_e32 v6, 0
	v_mov_b32_e32 v84, 0
	s_cbranch_vccnz .LBB85_69
; %bb.67:                               ;   in Loop: Header=BB85_54 Depth=1
	ds_read_b32 v84, v81 offset:12
	s_waitcnt lgkmcnt(0)
	v_cmp_gt_i32_e32 vcc, 0, v84
	s_cbranch_vccnz .LBB85_72
; %bb.68:                               ;   in Loop: Header=BB85_54 Depth=1
	v_mul_lo_u32 v84, v84, s53
	s_mul_i32 vcc_lo, s48, 3
	v_add_u32_e32 v84, vcc_lo, v84
	v_add_u32_e32 v84, v84, v80
	v_ashrrev_i32_e32 v85, 31, v84
	v_lshl_add_u64 v[84:85], v[84:85], 2, v[4:5]
	global_load_dword v84, v[84:85], off
.LBB85_69:                              ;   in Loop: Header=BB85_54 Depth=1
	s_andn2_b64 vcc, exec, s[16:17]
	s_waitcnt vmcnt(0)
	ds_write_b32 v82, v84 offset:856
	s_cbranch_vccnz .LBB85_74
.LBB85_70:                              ;   in Loop: Header=BB85_54 Depth=1
	ds_read_b32 v6, v81 offset:16
	s_waitcnt lgkmcnt(0)
	v_cmp_gt_i32_e32 vcc, 0, v6
	s_cbranch_vccnz .LBB85_73
; %bb.71:                               ;   in Loop: Header=BB85_54 Depth=1
	v_mul_lo_u32 v6, v6, s53
	v_readlane_b32 vcc_lo, v91, 18
	s_nop 1
	v_add_u32_e32 v6, vcc_lo, v6
	v_add_u32_e32 v84, v6, v80
	v_ashrrev_i32_e32 v85, 31, v84
	v_lshl_add_u64 v[84:85], v[84:85], 2, v[4:5]
	global_load_dword v6, v[84:85], off
	s_branch .LBB85_74
.LBB85_72:                              ;   in Loop: Header=BB85_54 Depth=1
	v_mov_b32_e32 v84, 0
	s_andn2_b64 vcc, exec, s[16:17]
	ds_write_b32 v82, v84 offset:856
	s_cbranch_vccz .LBB85_70
	s_branch .LBB85_74
.LBB85_73:                              ;   in Loop: Header=BB85_54 Depth=1
	v_mov_b32_e32 v6, 0
.LBB85_74:                              ;   in Loop: Header=BB85_54 Depth=1
	s_waitcnt vmcnt(0)
	ds_write_b32 v82, v6 offset:1120
	s_andn2_b64 vcc, exec, s[18:19]
	v_mov_b32_e32 v6, 0
	v_mov_b32_e32 v84, 0
	s_cbranch_vccnz .LBB85_77
; %bb.75:                               ;   in Loop: Header=BB85_54 Depth=1
	ds_read_b32 v84, v81 offset:20
	s_waitcnt lgkmcnt(0)
	v_cmp_gt_i32_e32 vcc, 0, v84
	s_cbranch_vccnz .LBB85_80
; %bb.76:                               ;   in Loop: Header=BB85_54 Depth=1
	v_mul_lo_u32 v84, v84, s53
	s_mul_i32 vcc_lo, s48, 5
	v_add_u32_e32 v84, vcc_lo, v84
	v_add_u32_e32 v84, v84, v80
	v_ashrrev_i32_e32 v85, 31, v84
	v_lshl_add_u64 v[84:85], v[84:85], 2, v[4:5]
	global_load_dword v84, v[84:85], off
.LBB85_77:                              ;   in Loop: Header=BB85_54 Depth=1
	s_andn2_b64 vcc, exec, s[20:21]
	s_waitcnt vmcnt(0)
	ds_write_b32 v82, v84 offset:1384
	s_cbranch_vccnz .LBB85_82
.LBB85_78:                              ;   in Loop: Header=BB85_54 Depth=1
	ds_read_b32 v6, v81 offset:24
	s_waitcnt lgkmcnt(0)
	v_cmp_gt_i32_e32 vcc, 0, v6
	s_cbranch_vccnz .LBB85_81
; %bb.79:                               ;   in Loop: Header=BB85_54 Depth=1
	v_mul_lo_u32 v6, v6, s53
	s_mul_i32 vcc_lo, s48, 6
	v_add_u32_e32 v6, vcc_lo, v6
	v_add_u32_e32 v84, v6, v80
	v_ashrrev_i32_e32 v85, 31, v84
	v_lshl_add_u64 v[84:85], v[84:85], 2, v[4:5]
	global_load_dword v6, v[84:85], off
	s_branch .LBB85_82
.LBB85_80:                              ;   in Loop: Header=BB85_54 Depth=1
	v_mov_b32_e32 v84, 0
	s_andn2_b64 vcc, exec, s[20:21]
	ds_write_b32 v82, v84 offset:1384
	s_cbranch_vccz .LBB85_78
	s_branch .LBB85_82
.LBB85_81:                              ;   in Loop: Header=BB85_54 Depth=1
	v_mov_b32_e32 v6, 0
.LBB85_82:                              ;   in Loop: Header=BB85_54 Depth=1
	s_waitcnt vmcnt(0)
	ds_write_b32 v82, v6 offset:1648
	s_andn2_b64 vcc, exec, s[22:23]
	v_mov_b32_e32 v6, 0
	v_mov_b32_e32 v84, 0
	s_cbranch_vccnz .LBB85_85
; %bb.83:                               ;   in Loop: Header=BB85_54 Depth=1
	ds_read_b32 v84, v81 offset:28
	s_waitcnt lgkmcnt(0)
	v_cmp_gt_i32_e32 vcc, 0, v84
	s_cbranch_vccnz .LBB85_88
; %bb.84:                               ;   in Loop: Header=BB85_54 Depth=1
	v_mul_lo_u32 v84, v84, s53
	s_mul_i32 vcc_lo, s48, 7
	v_add_u32_e32 v84, vcc_lo, v84
	v_add_u32_e32 v84, v84, v80
	v_ashrrev_i32_e32 v85, 31, v84
	v_lshl_add_u64 v[84:85], v[84:85], 2, v[4:5]
	global_load_dword v84, v[84:85], off
.LBB85_85:                              ;   in Loop: Header=BB85_54 Depth=1
	s_andn2_b64 vcc, exec, s[24:25]
	s_waitcnt vmcnt(0)
	ds_write_b32 v82, v84 offset:1912
	s_cbranch_vccnz .LBB85_90
.LBB85_86:                              ;   in Loop: Header=BB85_54 Depth=1
	ds_read_b32 v6, v81 offset:32
	s_waitcnt lgkmcnt(0)
	v_cmp_gt_i32_e32 vcc, 0, v6
	s_cbranch_vccnz .LBB85_89
; %bb.87:                               ;   in Loop: Header=BB85_54 Depth=1
	v_mul_lo_u32 v6, v6, s53
	v_readlane_b32 vcc_lo, v91, 19
	s_nop 1
	v_add_u32_e32 v6, vcc_lo, v6
	v_add_u32_e32 v84, v6, v80
	v_ashrrev_i32_e32 v85, 31, v84
	v_lshl_add_u64 v[84:85], v[84:85], 2, v[4:5]
	global_load_dword v6, v[84:85], off
	s_branch .LBB85_90
.LBB85_88:                              ;   in Loop: Header=BB85_54 Depth=1
	v_mov_b32_e32 v84, 0
	s_andn2_b64 vcc, exec, s[24:25]
	ds_write_b32 v82, v84 offset:1912
	s_cbranch_vccz .LBB85_86
	s_branch .LBB85_90
.LBB85_89:                              ;   in Loop: Header=BB85_54 Depth=1
	v_mov_b32_e32 v6, 0
.LBB85_90:                              ;   in Loop: Header=BB85_54 Depth=1
	s_waitcnt vmcnt(0)
	ds_write_b32 v82, v6 offset:2176
	s_andn2_b64 vcc, exec, s[26:27]
	v_mov_b32_e32 v6, 0
	v_mov_b32_e32 v84, 0
	s_cbranch_vccnz .LBB85_93
; %bb.91:                               ;   in Loop: Header=BB85_54 Depth=1
	ds_read_b32 v84, v81 offset:36
	s_waitcnt lgkmcnt(0)
	v_cmp_gt_i32_e32 vcc, 0, v84
	s_cbranch_vccnz .LBB85_96
; %bb.92:                               ;   in Loop: Header=BB85_54 Depth=1
	v_mul_lo_u32 v84, v84, s53
	s_mul_i32 vcc_lo, s48, 9
	v_add_u32_e32 v84, vcc_lo, v84
	v_add_u32_e32 v84, v84, v80
	v_ashrrev_i32_e32 v85, 31, v84
	v_lshl_add_u64 v[84:85], v[84:85], 2, v[4:5]
	global_load_dword v84, v[84:85], off
.LBB85_93:                              ;   in Loop: Header=BB85_54 Depth=1
	s_andn2_b64 vcc, exec, s[28:29]
	s_waitcnt vmcnt(0)
	ds_write_b32 v82, v84 offset:2440
	s_cbranch_vccnz .LBB85_98
.LBB85_94:                              ;   in Loop: Header=BB85_54 Depth=1
	ds_read_b32 v6, v81 offset:40
	s_waitcnt lgkmcnt(0)
	v_cmp_gt_i32_e32 vcc, 0, v6
	s_cbranch_vccnz .LBB85_97
; %bb.95:                               ;   in Loop: Header=BB85_54 Depth=1
	v_mul_lo_u32 v6, v6, s53
	s_mul_i32 vcc_lo, s48, 10
	v_add_u32_e32 v6, vcc_lo, v6
	v_add_u32_e32 v84, v6, v80
	v_ashrrev_i32_e32 v85, 31, v84
	v_lshl_add_u64 v[84:85], v[84:85], 2, v[4:5]
	global_load_dword v6, v[84:85], off
	s_branch .LBB85_98
.LBB85_96:                              ;   in Loop: Header=BB85_54 Depth=1
	v_mov_b32_e32 v84, 0
	s_andn2_b64 vcc, exec, s[28:29]
	ds_write_b32 v82, v84 offset:2440
	s_cbranch_vccz .LBB85_94
	s_branch .LBB85_98
.LBB85_97:                              ;   in Loop: Header=BB85_54 Depth=1
	v_mov_b32_e32 v6, 0
.LBB85_98:                              ;   in Loop: Header=BB85_54 Depth=1
	s_waitcnt vmcnt(0)
	ds_write_b32 v82, v6 offset:2704
	s_andn2_b64 vcc, exec, s[30:31]
	v_mov_b32_e32 v6, 0
	v_mov_b32_e32 v84, 0
	s_cbranch_vccz .LBB85_101
; %bb.99:                               ;   in Loop: Header=BB85_54 Depth=1
	s_andn2_b64 vcc, exec, s[34:35]
	ds_write_b32 v82, v84 offset:2968
	s_cbranch_vccz .LBB85_104
.LBB85_100:                             ;   in Loop: Header=BB85_54 Depth=1
	ds_write_b32 v82, v6 offset:3232
	s_andn2_b64 vcc, exec, s[36:37]
	v_mov_b32_e32 v6, 0
	s_cbranch_vccnz .LBB85_53
	s_branch .LBB85_107
.LBB85_101:                             ;   in Loop: Header=BB85_54 Depth=1
	ds_read_b32 v84, v81 offset:44
	s_waitcnt lgkmcnt(0)
	v_cmp_gt_i32_e32 vcc, 0, v84
	s_cbranch_vccnz .LBB85_103
; %bb.102:                              ;   in Loop: Header=BB85_54 Depth=1
	v_mul_lo_u32 v84, v84, s53
	s_mul_i32 vcc_lo, s48, 11
	v_add_u32_e32 v84, vcc_lo, v84
	v_add_u32_e32 v84, v84, v80
	v_ashrrev_i32_e32 v85, 31, v84
	v_lshl_add_u64 v[84:85], v[84:85], 2, v[4:5]
	global_load_dword v84, v[84:85], off
	s_andn2_b64 vcc, exec, s[34:35]
	s_waitcnt vmcnt(0)
	ds_write_b32 v82, v84 offset:2968
	s_cbranch_vccnz .LBB85_100
	s_branch .LBB85_104
.LBB85_103:                             ;   in Loop: Header=BB85_54 Depth=1
	v_mov_b32_e32 v84, 0
	s_andn2_b64 vcc, exec, s[34:35]
	ds_write_b32 v82, v84 offset:2968
	s_cbranch_vccnz .LBB85_100
.LBB85_104:                             ;   in Loop: Header=BB85_54 Depth=1
	ds_read_b32 v6, v81 offset:48
	s_waitcnt lgkmcnt(0)
	v_cmp_gt_i32_e32 vcc, 0, v6
	s_cbranch_vccnz .LBB85_106
; %bb.105:                              ;   in Loop: Header=BB85_54 Depth=1
	v_mul_lo_u32 v6, v6, s53
	s_mul_i32 vcc_lo, s48, 12
	v_add_u32_e32 v6, vcc_lo, v6
	v_add_u32_e32 v84, v6, v80
	v_ashrrev_i32_e32 v85, 31, v84
	v_lshl_add_u64 v[84:85], v[84:85], 2, v[4:5]
	global_load_dword v6, v[84:85], off
	s_waitcnt vmcnt(0)
	ds_write_b32 v82, v6 offset:3232
	s_andn2_b64 vcc, exec, s[36:37]
	v_mov_b32_e32 v6, 0
	s_cbranch_vccnz .LBB85_53
	s_branch .LBB85_107
.LBB85_106:                             ;   in Loop: Header=BB85_54 Depth=1
	v_mov_b32_e32 v6, 0
	ds_write_b32 v82, v6 offset:3232
	s_andn2_b64 vcc, exec, s[36:37]
	v_mov_b32_e32 v6, 0
	s_cbranch_vccnz .LBB85_53
.LBB85_107:                             ;   in Loop: Header=BB85_54 Depth=1
	ds_read_b32 v6, v81 offset:52
	s_waitcnt lgkmcnt(0)
	v_cmp_gt_i32_e32 vcc, 0, v6
	s_cbranch_vccz .LBB85_52
; %bb.108:                              ;   in Loop: Header=BB85_54 Depth=1
	v_mov_b32_e32 v6, 0
	s_branch .LBB85_53
.LBB85_109:
	s_or_b64 exec, exec, s[46:47]
	v_readlane_b32 s24, v91, 10
	v_readlane_b32 s28, v91, 14
	;; [unrolled: 1-line block ×8, first 2 shown]
.LBB85_110:
	v_readlane_b32 s0, v91, 8
	v_readlane_b32 s1, v91, 9
	s_or_b64 exec, exec, s[0:1]
	v_mul_u32_u24_e32 v0, 0x408, v79
	s_movk_i32 s1, 0x100
	v_lshlrev_b32_e32 v1, 2, v78
	v_add3_u32 v0, s1, v0, v1
	v_and_b32_e32 v4, 0x3f0, v2
	v_add_u32_e32 v5, v0, v4
	s_waitcnt lgkmcnt(0)
	s_barrier
	ds_write2_b32 v5, a12, a13 offset0:16 offset1:17
	v_or_b32_e32 v5, 12, v2
	v_add_u32_e32 v1, 64, v0
	v_and_b32_e32 v5, 0x3fc, v5
	v_add_u32_e32 v4, v1, v4
	v_add_u32_e32 v0, v0, v5
	ds_write_b32 v4, a14 offset:8
	ds_write_b32 v0, a15 offset:64
	ds_write2_b32 v4, a8, a9 offset0:16 offset1:17
	ds_write_b32 v4, a10 offset:72
	v_add_u32_e32 v0, v1, v5
	ds_write_b32 v0, a11 offset:64
	ds_write2_b32 v4, a4, a5 offset0:32 offset1:33
	ds_write_b32 v4, a6 offset:136
	ds_write_b32 v0, a7 offset:128
	ds_write2_b32 v4, a0, a1 offset0:48 offset1:49
	ds_write_b32 v4, a2 offset:200
	ds_write_b32 v0, a3 offset:192
	v_mov_b32_e32 v0, 0x100
	s_movk_i32 s0, 0x408
	v_lshl_add_u32 v9, v2, 2, v0
	v_mad_u32_u24 v1, v74, s0, v9
	s_waitcnt lgkmcnt(0)
	s_barrier
	ds_read2_b32 v[6:7], v1 offset0:16 offset1:80
	ds_read2_b32 v[4:5], v1 offset0:144 offset1:208
	v_cmp_gt_u32_e32 vcc, 14, v74
	v_mov_b32_e32 v10, -1
	s_and_saveexec_b64 s[0:1], vcc
	s_cbranch_execz .LBB85_112
; %bb.111:
	v_lshl_add_u32 v0, v74, 2, v0
	ds_read_b32 v10, v0
.LBB85_112:
	s_or_b64 exec, exec, s[0:1]
	s_mul_hi_i32 s1, s30, s4
	s_mul_i32 s0, s30, s4
	s_lshl_b64 s[0:1], s[0:1], 2
	v_readlane_b32 s2, v91, 6
	v_mul_hi_i32 v1, v3, s49
	v_mul_lo_u32 v0, v3, s49
	v_readlane_b32 s3, v91, 7
	s_add_u32 s0, s2, s0
	s_addc_u32 s1, s3, s1
	v_lshlrev_b64 v[0:1], 2, v[0:1]
	s_waitcnt lgkmcnt(0)
	v_cmp_lt_i32_e32 vcc, -1, v10
	v_mul_u32_u24_e32 v11, 0x408, v74
	v_add_u32_e32 v8, s12, v2
	v_lshl_add_u64 v[0:1], s[0:1], 0, v[0:1]
	s_and_b64 s[2:3], vcc, s[24:25]
	s_and_saveexec_b64 s[0:1], s[2:3]
	s_cbranch_execz .LBB85_114
; %bb.113:
	v_add_f32_e32 v2, 0, v6
	v_add_f32_e32 v2, v2, v7
	;; [unrolled: 1-line block ×4, first 2 shown]
	v_mul_lo_u32 v2, v10, s54
	v_mul_lo_u32 v3, v74, s49
	v_add3_u32 v2, v8, v3, v2
	v_mov_b32_e32 v3, 0
	v_lshl_add_u64 v[2:3], v[2:3], 2, v[0:1]
	global_store_dword v[2:3], v4, off
.LBB85_114:
	s_or_b64 exec, exec, s[0:1]
	v_add_u32_e32 v6, v11, v9
	v_add_u32_e32 v2, 0x60, v6
	ds_read2st64_b32 v[4:5], v2 offset0:16 offset1:17
	ds_read2st64_b32 v[2:3], v2 offset0:18 offset1:19
	v_cmp_gt_u32_e32 vcc, 10, v74
	v_mov_b32_e32 v7, -1
	s_and_saveexec_b64 s[0:1], vcc
	s_cbranch_execz .LBB85_116
; %bb.115:
	v_mov_b32_e32 v7, 0x100
	v_lshl_add_u32 v7, v74, 2, v7
	ds_read_b32 v7, v7 offset:16
.LBB85_116:
	s_or_b64 exec, exec, s[0:1]
	v_readlane_b32 s0, v91, 0
	s_waitcnt lgkmcnt(0)
	v_cmp_lt_i32_e32 vcc, -1, v7
	v_readlane_b32 s1, v91, 1
	s_and_b64 s[2:3], vcc, s[0:1]
	s_and_saveexec_b64 s[0:1], s[2:3]
	s_cbranch_execz .LBB85_118
; %bb.117:
	v_add_f32_e32 v4, 0, v4
	v_add_f32_e32 v4, v4, v5
	;; [unrolled: 1-line block ×4, first 2 shown]
	v_mul_lo_u32 v2, v7, s54
	v_mul_lo_u32 v3, v75, s49
	v_add3_u32 v2, v8, v3, v2
	v_mov_b32_e32 v3, 0
	v_lshl_add_u64 v[2:3], v[2:3], 2, v[0:1]
	global_store_dword v[2:3], v4, off
.LBB85_118:
	s_or_b64 exec, exec, s[0:1]
	v_add_u32_e32 v2, 0x80, v6
	ds_read2st64_b32 v[4:5], v2 offset0:32 offset1:33
	ds_read2st64_b32 v[2:3], v2 offset0:34 offset1:35
	v_cmp_gt_u32_e32 vcc, 6, v74
	v_mov_b32_e32 v7, -1
	s_and_saveexec_b64 s[0:1], vcc
	s_cbranch_execz .LBB85_120
; %bb.119:
	v_mov_b32_e32 v7, 0x100
	v_lshl_add_u32 v7, v74, 2, v7
	ds_read_b32 v7, v7 offset:32
.LBB85_120:
	s_or_b64 exec, exec, s[0:1]
	v_readlane_b32 s0, v91, 2
	s_waitcnt lgkmcnt(0)
	v_cmp_lt_i32_e32 vcc, -1, v7
	v_readlane_b32 s1, v91, 3
	s_and_b64 s[2:3], vcc, s[0:1]
	s_and_saveexec_b64 s[0:1], s[2:3]
	s_cbranch_execz .LBB85_122
; %bb.121:
	v_add_f32_e32 v4, 0, v4
	v_add_f32_e32 v4, v4, v5
	;; [unrolled: 1-line block ×4, first 2 shown]
	v_mul_lo_u32 v2, v7, s54
	v_mul_lo_u32 v3, v76, s49
	v_add3_u32 v2, v8, v3, v2
	v_mov_b32_e32 v3, 0
	v_lshl_add_u64 v[2:3], v[2:3], 2, v[0:1]
	global_store_dword v[2:3], v4, off
.LBB85_122:
	s_or_b64 exec, exec, s[0:1]
	v_cmp_gt_u32_e32 vcc, 2, v74
	s_and_saveexec_b64 s[0:1], vcc
	s_cbranch_execz .LBB85_125
; %bb.123:
	v_mov_b32_e32 v2, 0x100
	v_lshl_add_u32 v2, v74, 2, v2
	ds_read_b32 v2, v2 offset:48
	v_readlane_b32 s0, v91, 4
	v_readlane_b32 s1, v91, 5
	s_waitcnt lgkmcnt(0)
	v_cmp_lt_i32_e32 vcc, -1, v2
	s_and_b64 s[0:1], vcc, s[0:1]
	s_and_b64 exec, exec, s[0:1]
	s_cbranch_execz .LBB85_125
; %bb.124:
	v_add_u32_e32 v3, 0xa0, v6
	ds_read2st64_b32 v[4:5], v3 offset0:48 offset1:49
	v_mul_lo_u32 v6, v2, s54
	ds_read2st64_b32 v[2:3], v3 offset0:50 offset1:51
	v_mul_lo_u32 v7, v77, s49
	v_add3_u32 v6, v8, v7, v6
	s_waitcnt lgkmcnt(1)
	v_add_f32_e32 v4, 0, v4
	v_add_f32_e32 v4, v4, v5
	s_waitcnt lgkmcnt(0)
	v_add_f32_e32 v2, v4, v2
	v_mov_b32_e32 v7, 0
	v_add_f32_e32 v2, v2, v3
	v_lshl_add_u64 v[0:1], v[6:7], 2, v[0:1]
	global_store_dword v[0:1], v2, off
.LBB85_125:
	s_endpgm
	.section	.rodata,"a",@progbits
	.p2align	6, 0x0
	.amdhsa_kernel _ZL9mul_mat_fIfLi64ELi14ELi4ELb1EEvPKT_PKfPKiPfiiiiiiiiiiiiiiii
		.amdhsa_group_segment_fixed_size 256
		.amdhsa_private_segment_fixed_size 0
		.amdhsa_kernarg_size 352
		.amdhsa_user_sgpr_count 2
		.amdhsa_user_sgpr_dispatch_ptr 0
		.amdhsa_user_sgpr_queue_ptr 0
		.amdhsa_user_sgpr_kernarg_segment_ptr 1
		.amdhsa_user_sgpr_dispatch_id 0
		.amdhsa_user_sgpr_kernarg_preload_length 0
		.amdhsa_user_sgpr_kernarg_preload_offset 0
		.amdhsa_user_sgpr_private_segment_size 0
		.amdhsa_uses_dynamic_stack 0
		.amdhsa_enable_private_segment 0
		.amdhsa_system_sgpr_workgroup_id_x 1
		.amdhsa_system_sgpr_workgroup_id_y 1
		.amdhsa_system_sgpr_workgroup_id_z 1
		.amdhsa_system_sgpr_workgroup_info 0
		.amdhsa_system_vgpr_workitem_id 2
		.amdhsa_next_free_vgpr 108
		.amdhsa_next_free_sgpr 100
		.amdhsa_accum_offset 92
		.amdhsa_reserve_vcc 1
		.amdhsa_float_round_mode_32 0
		.amdhsa_float_round_mode_16_64 0
		.amdhsa_float_denorm_mode_32 3
		.amdhsa_float_denorm_mode_16_64 3
		.amdhsa_dx10_clamp 1
		.amdhsa_ieee_mode 1
		.amdhsa_fp16_overflow 0
		.amdhsa_tg_split 0
		.amdhsa_exception_fp_ieee_invalid_op 0
		.amdhsa_exception_fp_denorm_src 0
		.amdhsa_exception_fp_ieee_div_zero 0
		.amdhsa_exception_fp_ieee_overflow 0
		.amdhsa_exception_fp_ieee_underflow 0
		.amdhsa_exception_fp_ieee_inexact 0
		.amdhsa_exception_int_div_zero 0
	.end_amdhsa_kernel
	.section	.text._ZL9mul_mat_fIfLi64ELi14ELi4ELb1EEvPKT_PKfPKiPfiiiiiiiiiiiiiiii,"axG",@progbits,_ZL9mul_mat_fIfLi64ELi14ELi4ELb1EEvPKT_PKfPKiPfiiiiiiiiiiiiiiii,comdat
.Lfunc_end85:
	.size	_ZL9mul_mat_fIfLi64ELi14ELi4ELb1EEvPKT_PKfPKiPfiiiiiiiiiiiiiiii, .Lfunc_end85-_ZL9mul_mat_fIfLi64ELi14ELi4ELb1EEvPKT_PKfPKiPfiiiiiiiiiiiiiiii
                                        ; -- End function
	.section	.AMDGPU.csdata,"",@progbits
; Kernel info:
; codeLenInByte = 8540
; NumSgprs: 106
; NumVgprs: 92
; NumAgprs: 16
; TotalNumVgprs: 108
; ScratchSize: 0
; MemoryBound: 0
; FloatMode: 240
; IeeeMode: 1
; LDSByteSize: 256 bytes/workgroup (compile time only)
; SGPRBlocks: 13
; VGPRBlocks: 13
; NumSGPRsForWavesPerEU: 106
; NumVGPRsForWavesPerEU: 108
; AccumOffset: 92
; Occupancy: 4
; WaveLimiterHint : 0
; COMPUTE_PGM_RSRC2:SCRATCH_EN: 0
; COMPUTE_PGM_RSRC2:USER_SGPR: 2
; COMPUTE_PGM_RSRC2:TRAP_HANDLER: 0
; COMPUTE_PGM_RSRC2:TGID_X_EN: 1
; COMPUTE_PGM_RSRC2:TGID_Y_EN: 1
; COMPUTE_PGM_RSRC2:TGID_Z_EN: 1
; COMPUTE_PGM_RSRC2:TIDIG_COMP_CNT: 2
; COMPUTE_PGM_RSRC3_GFX90A:ACCUM_OFFSET: 22
; COMPUTE_PGM_RSRC3_GFX90A:TG_SPLIT: 0
	.section	.text._ZL9mul_mat_fIfLi64ELi14ELi4ELb0EEvPKT_PKfPKiPfiiiiiiiiiiiiiiii,"axG",@progbits,_ZL9mul_mat_fIfLi64ELi14ELi4ELb0EEvPKT_PKfPKiPfiiiiiiiiiiiiiiii,comdat
	.globl	_ZL9mul_mat_fIfLi64ELi14ELi4ELb0EEvPKT_PKfPKiPfiiiiiiiiiiiiiiii ; -- Begin function _ZL9mul_mat_fIfLi64ELi14ELi4ELb0EEvPKT_PKfPKiPfiiiiiiiiiiiiiiii
	.p2align	8
	.type	_ZL9mul_mat_fIfLi64ELi14ELi4ELb0EEvPKT_PKfPKiPfiiiiiiiiiiiiiiii,@function
_ZL9mul_mat_fIfLi64ELi14ELi4ELb0EEvPKT_PKfPKiPfiiiiiiiiiiiiiiii: ; @_ZL9mul_mat_fIfLi64ELi14ELi4ELb0EEvPKT_PKfPKiPfiiiiiiiiiiiiiiii
; %bb.0:
	s_load_dword s5, s[0:1], 0x20
	s_load_dwordx4 s[16:19], s[0:1], 0x2c
	v_bfe_u32 v76, v0, 10, 10
	v_lshlrev_b32_e32 v78, 6, v76
	v_and_b32_e32 v77, 0x3ff, v0
	v_add_u32_e32 v80, v78, v77
	s_mov_b32 s20, 0
	s_waitcnt lgkmcnt(0)
	s_ashr_i32 s19, s4, 31
	v_cmp_le_i32_e32 vcc, s5, v80
	v_and_b32_e32 v79, 15, v77
	s_and_saveexec_b64 s[6:7], vcc
	s_xor_b64 s[6:7], exec, s[6:7]
; %bb.1:
	v_and_b32_e32 v79, 15, v77
                                        ; implicit-def: $vgpr80
; %bb.2:
	s_or_saveexec_b64 s[24:25], s[6:7]
	s_load_dwordx8 s[8:15], s[0:1], 0x40
	s_load_dwordx2 s[6:7], s[0:1], 0x18
	s_lshl_b32 s2, s2, 6
	v_accvgpr_write_b32 a4, s20
	v_accvgpr_write_b32 a5, s20
	v_accvgpr_write_b32 a6, s20
	v_accvgpr_write_b32 a7, s20
	v_accvgpr_write_b32 a0, s20
	v_accvgpr_write_b32 a1, s20
	v_accvgpr_write_b32 a2, s20
	v_accvgpr_write_b32 a3, s20
	v_accvgpr_write_b32 a8, s20
	v_accvgpr_write_b32 a9, s20
	v_accvgpr_write_b32 a10, s20
	v_accvgpr_write_b32 a11, s20
	v_accvgpr_write_b32 a12, s20
	v_accvgpr_write_b32 a13, s20
	v_accvgpr_write_b32 a14, s20
	v_accvgpr_write_b32 a15, s20
	s_xor_b64 exec, exec, s[24:25]
	s_cbranch_execz .LBB86_6
; %bb.3:
	s_waitcnt lgkmcnt(0)
	s_abs_i32 s26, s8
	v_cvt_f32_u32_e32 v0, s26
	s_abs_i32 s27, s12
	v_cvt_f32_u32_e32 v1, s27
	s_sub_i32 s20, 0, s26
	v_rcp_iflag_f32_e32 v0, v0
	s_abs_i32 s28, s3
	v_rcp_iflag_f32_e32 v1, v1
	s_sub_i32 s21, 0, s27
	v_mul_f32_e32 v0, 0x4f7ffffe, v0
	v_cvt_u32_f32_e32 v0, v0
	v_mul_f32_e32 v1, 0x4f7ffffe, v1
	v_cvt_u32_f32_e32 v1, v1
	s_abs_i32 s29, s4
	v_mul_lo_u32 v2, s20, v0
	v_mul_hi_u32 v2, v0, v2
	v_add_u32_e32 v0, v0, v2
	v_mul_hi_u32 v0, s28, v0
	v_mul_lo_u32 v3, s21, v1
	v_mul_lo_u32 v2, v0, s26
	v_mul_hi_u32 v3, v1, v3
	v_sub_u32_e32 v2, s28, v2
	v_add_u32_e32 v1, v1, v3
	v_add_u32_e32 v3, 1, v0
	v_subrev_u32_e32 v4, s26, v2
	v_cmp_le_u32_e32 vcc, s26, v2
	s_load_dwordx4 s[20:23], s[0:1], 0x0
	s_ashr_i32 s0, s3, 31
	v_cndmask_b32_e32 v0, v0, v3, vcc
	v_cndmask_b32_e32 v2, v2, v4, vcc
	s_ashr_i32 s1, s8, 31
	v_add_u32_e32 v3, 1, v0
	v_cmp_le_u32_e32 vcc, s26, v2
	s_xor_b32 s0, s0, s1
	v_mul_hi_u32 v1, s29, v1
	v_cndmask_b32_e32 v0, v0, v3, vcc
	v_xor_b32_e32 v0, s0, v0
	v_subrev_u32_e32 v2, s0, v0
	v_mul_lo_u32 v0, v1, s27
	v_sub_u32_e32 v0, s29, v0
	v_add_u32_e32 v3, 1, v1
	v_subrev_u32_e32 v4, s27, v0
	v_cmp_le_u32_e32 vcc, s27, v0
	s_ashr_i32 s8, s12, 31
	s_xor_b32 s0, s19, s8
	v_cndmask_b32_e32 v1, v1, v3, vcc
	v_cndmask_b32_e32 v0, v0, v4, vcc
	v_add_u32_e32 v3, 1, v1
	v_cmp_le_u32_e32 vcc, s27, v0
	v_mul_lo_u32 v2, v2, s9
	s_mul_i32 s12, s3, s10
	v_cndmask_b32_e32 v0, v1, v3, vcc
	v_xor_b32_e32 v0, s0, v0
	v_subrev_u32_e32 v0, s0, v0
	v_mul_hi_i32 v1, v0, s13
	v_mul_lo_u32 v0, v0, s13
	v_ashrrev_i32_e32 v3, 31, v2
	s_mul_i32 s0, s2, s16
	s_ashr_i32 s1, s0, 31
	v_lshlrev_b64 v[4:5], 2, v[0:1]
	v_lshlrev_b64 v[0:1], 2, v[2:3]
	s_mul_hi_i32 s9, s14, s4
	s_mul_i32 s8, s14, s4
	s_lshl_b64 s[0:1], s[0:1], 2
	s_waitcnt lgkmcnt(0)
	v_lshl_add_u64 v[0:1], s[20:21], 0, v[0:1]
	s_ashr_i32 s13, s12, 31
	v_lshl_add_u64 v[6:7], v[0:1], 0, s[0:1]
	s_lshl_b64 s[8:9], s[8:9], 2
	s_lshl_b64 s[0:1], s[12:13], 2
	s_add_u32 s12, s22, s0
	s_addc_u32 s13, s23, s1
	s_movk_i32 s10, 0x1080
	v_lshrrev_b32_e32 v9, 1, v77
	s_add_u32 s0, s12, s8
	v_mad_u32_u24 v3, v76, s10, 0
	v_lshlrev_b32_e32 v2, 2, v77
	v_mul_u32_u24_e32 v8, 0x108, v79
	v_and_b32_e32 v9, 0x1f8, v9
	s_addc_u32 s1, s13, s9
	v_add_u32_e32 v81, v3, v2
	v_add3_u32 v82, v3, v8, v9
	s_ashr_i32 s21, s16, 31
	s_mov_b32 s20, s16
	v_mov_b32_e32 v3, 0
	v_lshlrev_b32_e32 v8, 8, v76
	v_mov_b32_e32 v9, v3
	s_lshl_b64 s[20:21], s[20:21], 2
	v_lshl_add_u64 v[0:1], v[6:7], 0, v[4:5]
	s_ashr_i32 s23, s17, 31
	s_mov_b32 s22, s17
	v_lshl_add_u64 v[10:11], v[4:5], 0, v[8:9]
	v_lshl_add_u64 v[4:5], v[6:7], 0, s[20:21]
	;; [unrolled: 1-line block ×5, first 2 shown]
	s_lshl_b64 s[8:9], s[22:23], 2
	s_add_u32 s8, s12, s8
	s_addc_u32 s9, s13, s9
	v_lshl_add_u64 v[8:9], s[8:9], 0, v[10:11]
	v_lshl_add_u64 v[10:11], s[12:13], 0, v[10:11]
	s_lshl_b32 s10, s17, 1
	s_mul_i32 s14, s17, 3
	s_lshl_b32 s19, s17, 2
	s_mul_i32 s20, s17, 5
	s_mul_i32 s21, s17, 6
	;; [unrolled: 1-line block ×3, first 2 shown]
	s_lshl_b32 s23, s17, 3
	s_mul_i32 s26, s17, 9
	s_mul_i32 s27, s17, 10
	;; [unrolled: 1-line block ×5, first 2 shown]
	s_lshl_b32 s30, s16, 1
	s_mul_i32 s31, s16, 3
	s_lshl_b32 s33, s16, 2
	s_mul_i32 s34, s16, 5
	s_mul_i32 s35, s16, 6
	;; [unrolled: 1-line block ×3, first 2 shown]
	s_lshl_b32 s37, s16, 3
	s_mul_i32 s38, s16, 9
	s_mul_i32 s39, s16, 10
	;; [unrolled: 1-line block ×7, first 2 shown]
	s_lshl_b32 s45, s16, 4
	s_mul_i32 s46, s16, 17
	s_mul_i32 s47, s16, 18
	;; [unrolled: 1-line block ×15, first 2 shown]
	s_lshl_b32 s61, s16, 5
	s_mul_i32 s62, s16, 33
	s_mul_i32 s63, s16, 34
	;; [unrolled: 1-line block ×16, first 2 shown]
	v_mov_b32_e32 v83, 0
	v_accvgpr_write_b32 a15, 0
	v_accvgpr_write_b32 a14, 0
	;; [unrolled: 1-line block ×16, first 2 shown]
	s_mul_i32 s78, s16, 49
	s_mul_i32 s79, s16, 50
	;; [unrolled: 1-line block ×15, first 2 shown]
	s_mov_b64 s[8:9], 0
	s_mov_b64 s[12:13], 0x400
.LBB86_4:                               ; =>This Inner Loop Header: Depth=1
	v_add_u32_e32 v56, s30, v80
	v_add_u32_e32 v50, s31, v80
	;; [unrolled: 1-line block ×18, first 2 shown]
	v_ashrrev_i32_e32 v57, 31, v56
	v_ashrrev_i32_e32 v51, 31, v50
	v_ashrrev_i32_e32 v55, 31, v54
	v_ashrrev_i32_e32 v47, 31, v46
	v_ashrrev_i32_e32 v43, 31, v42
	v_ashrrev_i32_e32 v39, 31, v38
	v_ashrrev_i32_e32 v33, 31, v32
	v_ashrrev_i32_e32 v29, 31, v28
	v_ashrrev_i32_e32 v35, 31, v34
	v_lshl_add_u64 v[60:61], v[6:7], 0, v[2:3]
	v_lshl_add_u64 v[58:59], v[4:5], 0, v[2:3]
	v_add_u32_e32 v30, s47, v80
	v_add_u32_e32 v14, s50, v80
	;; [unrolled: 1-line block ×3, first 2 shown]
	v_lshl_add_u64 v[84:85], v[10:11], 0, v[2:3]
	v_lshl_add_u64 v[88:89], v[8:9], 0, v[2:3]
	;; [unrolled: 1-line block ×5, first 2 shown]
	v_ashrrev_i32_e32 v53, 31, v52
	v_lshl_add_u64 v[46:47], v[46:47], 2, v[0:1]
	v_ashrrev_i32_e32 v49, 31, v48
	v_lshl_add_u64 v[42:43], v[42:43], 2, v[0:1]
	;; [unrolled: 2-line block ×4, first 2 shown]
	v_lshl_add_u64 v[28:29], v[28:29], 2, v[0:1]
	v_lshl_add_u64 v[34:35], v[34:35], 2, v[0:1]
	v_ashrrev_i32_e32 v23, 31, v22
	v_ashrrev_i32_e32 v37, 31, v36
	;; [unrolled: 1-line block ×5, first 2 shown]
	v_add_u32_e32 v12, s52, v80
	v_add_u32_e32 v16, s53, v80
	global_load_dword v86, v[60:61], off
	global_load_dword v87, v[58:59], off
	s_nop 0
	global_load_dword v84, v[84:85], off
	v_lshl_add_u64 v[48:49], v[48:49], 2, v[0:1]
	global_load_dword v85, v[88:89], off
	v_lshl_add_u64 v[44:45], v[44:45], 2, v[0:1]
	global_load_dword v88, v[56:57], off
	global_load_dword v54, v[50:51], off
	;; [unrolled: 1-line block ×3, first 2 shown]
	v_lshl_add_u64 v[90:91], v[52:53], 2, v[0:1]
	global_load_dword v52, v[46:47], off
	global_load_dword v53, v[90:91], off
	s_nop 0
	global_load_dword v42, v[42:43], off
	s_nop 0
	;; [unrolled: 2-line block ×4, first 2 shown]
	global_load_dword v39, v[44:45], off
	v_lshl_add_u64 v[40:41], v[40:41], 2, v[0:1]
	global_load_dword v32, v[32:33], off
	s_nop 0
	global_load_dword v33, v[40:41], off
	s_nop 0
	;; [unrolled: 2-line block ×3, first 2 shown]
	global_load_dword v29, v[34:35], off
	v_lshl_add_u64 v[22:23], v[22:23], 2, v[0:1]
	v_lshl_add_u64 v[34:35], v[36:37], 2, v[0:1]
	v_ashrrev_i32_e32 v31, 31, v30
	v_lshl_add_u64 v[24:25], v[24:25], 2, v[0:1]
	v_lshl_add_u64 v[18:19], v[18:19], 2, v[0:1]
	;; [unrolled: 1-line block ×3, first 2 shown]
	v_ashrrev_i32_e32 v15, 31, v14
	v_ashrrev_i32_e32 v21, 31, v20
	v_add_u32_e32 v70, s54, v80
	v_add_u32_e32 v74, s55, v80
	global_load_dword v23, v[22:23], off
	s_nop 0
	global_load_dword v22, v[34:35], off
	v_lshl_add_u64 v[30:31], v[30:31], 2, v[0:1]
	global_load_dword v24, v[24:25], off
	s_nop 0
	global_load_dword v25, v[30:31], off
	global_load_dword v34, v[18:19], off
	;; [unrolled: 1-line block ×3, first 2 shown]
	v_lshl_add_u64 v[14:15], v[14:15], 2, v[0:1]
	v_lshl_add_u64 v[26:27], v[20:21], 2, v[0:1]
	v_ashrrev_i32_e32 v13, 31, v12
	v_ashrrev_i32_e32 v17, 31, v16
	v_add_u32_e32 v66, s56, v80
	v_add_u32_e32 v72, s57, v80
	v_add_u32_e32 v64, s58, v80
	v_add_u32_e32 v62, s60, v80
	v_add_u32_e32 v58, s62, v80
	v_add_u32_e32 v50, s64, v80
	v_add_u32_e32 v48, s66, v80
	v_add_u32_e32 v90, s67, v80
	global_load_dword v20, v[14:15], off
	global_load_dword v21, v[26:27], off
	v_lshl_add_u64 v[12:13], v[12:13], 2, v[0:1]
	v_lshl_add_u64 v[26:27], v[16:17], 2, v[0:1]
	v_ashrrev_i32_e32 v71, 31, v70
	v_ashrrev_i32_e32 v75, 31, v74
	v_add_u32_e32 v68, s59, v80
	v_add_u32_e32 v60, s61, v80
	;; [unrolled: 1-line block ×6, first 2 shown]
	global_load_dword v16, v[12:13], off
	global_load_dword v17, v[26:27], off
	v_lshl_add_u64 v[26:27], v[70:71], 2, v[0:1]
	v_lshl_add_u64 v[44:45], v[74:75], 2, v[0:1]
	v_ashrrev_i32_e32 v67, 31, v66
	v_ashrrev_i32_e32 v73, 31, v72
	;; [unrolled: 1-line block ×8, first 2 shown]
	v_add_u32_e32 v94, s70, v80
	v_add_u32_e32 v18, s72, v80
	global_load_dword v36, v[26:27], off
	global_load_dword v37, v[44:45], off
	v_lshl_add_u64 v[44:45], v[66:67], 2, v[0:1]
	v_lshl_add_u64 v[66:67], v[72:73], 2, v[0:1]
	v_ashrrev_i32_e32 v69, 31, v68
	v_lshl_add_u64 v[64:65], v[64:65], 2, v[0:1]
	v_ashrrev_i32_e32 v61, 31, v60
	v_lshl_add_u64 v[62:63], v[62:63], 2, v[0:1]
	v_ashrrev_i32_e32 v57, 31, v56
	v_lshl_add_u64 v[58:59], v[58:59], 2, v[0:1]
	v_ashrrev_i32_e32 v47, 31, v46
	v_lshl_add_u64 v[50:51], v[50:51], 2, v[0:1]
	v_lshl_add_u64 v[48:49], v[48:49], 2, v[0:1]
	;; [unrolled: 1-line block ×3, first 2 shown]
	v_ashrrev_i32_e32 v41, 31, v40
	v_ashrrev_i32_e32 v93, 31, v92
	v_add_u32_e32 v30, s71, v80
	v_add_u32_e32 v14, s73, v80
	;; [unrolled: 1-line block ×4, first 2 shown]
	global_load_dword v44, v[44:45], off
	s_nop 0
	global_load_dword v45, v[66:67], off
	v_lshl_add_u64 v[68:69], v[68:69], 2, v[0:1]
	global_load_dword v64, v[64:65], off
	s_nop 0
	global_load_dword v65, v[68:69], off
	v_lshl_add_u64 v[70:71], v[60:61], 2, v[0:1]
	global_load_dword v61, v[62:63], off
	global_load_dword v60, v[70:71], off
	v_lshl_add_u64 v[56:57], v[56:57], 2, v[0:1]
	global_load_dword v62, v[58:59], off
	;; [unrolled: 3-line block ×3, first 2 shown]
	global_load_dword v47, v[58:59], off
	s_nop 0
	global_load_dword v50, v[48:49], off
	global_load_dword v51, v[72:73], off
	v_lshl_add_u64 v[40:41], v[40:41], 2, v[0:1]
	v_lshl_add_u64 v[72:73], v[92:93], 2, v[0:1]
	v_ashrrev_i32_e32 v95, 31, v94
	v_ashrrev_i32_e32 v19, 31, v18
	v_add_u32_e32 v66, s76, v80
	v_add_u32_e32 v68, s77, v80
	global_load_dword v74, v[40:41], off
	global_load_dword v75, v[72:73], off
	v_ashrrev_i32_e32 v31, 31, v30
	v_lshl_add_u64 v[72:73], v[94:95], 2, v[0:1]
	v_ashrrev_i32_e32 v15, 31, v14
	v_lshl_add_u64 v[18:19], v[18:19], 2, v[0:1]
	v_ashrrev_i32_e32 v13, 31, v12
	v_ashrrev_i32_e32 v27, 31, v26
	v_add_u32_e32 v70, s78, v80
	v_add_u32_e32 v56, s79, v80
	v_lshl_add_u64 v[30:31], v[30:31], 2, v[0:1]
	global_load_dword v72, v[72:73], off
	s_nop 0
	global_load_dword v73, v[30:31], off
	v_lshl_add_u64 v[14:15], v[14:15], 2, v[0:1]
	global_load_dword v90, v[18:19], off
	global_load_dword v91, v[14:15], off
	v_lshl_add_u64 v[12:13], v[12:13], 2, v[0:1]
	v_lshl_add_u64 v[18:19], v[26:27], 2, v[0:1]
	v_ashrrev_i32_e32 v67, 31, v66
	v_ashrrev_i32_e32 v69, 31, v68
	v_add_u32_e32 v58, s80, v80
	v_add_u32_e32 v48, s81, v80
	;; [unrolled: 1-line block ×4, first 2 shown]
	global_load_dword v92, v[12:13], off
	global_load_dword v93, v[18:19], off
	v_add_u32_e32 v12, s85, v80
	v_lshl_add_u64 v[18:19], v[66:67], 2, v[0:1]
	v_lshl_add_u64 v[26:27], v[68:69], 2, v[0:1]
	v_ashrrev_i32_e32 v71, 31, v70
	v_ashrrev_i32_e32 v57, 31, v56
	v_add_u32_e32 v30, s83, v80
	global_load_dword v68, v[18:19], off
	global_load_dword v69, v[26:27], off
	v_add_u32_e32 v18, s86, v80
	v_lshl_add_u64 v[26:27], v[70:71], 2, v[0:1]
	v_lshl_add_u64 v[56:57], v[56:57], 2, v[0:1]
	v_ashrrev_i32_e32 v59, 31, v58
	v_ashrrev_i32_e32 v49, 31, v48
	;; [unrolled: 1-line block ×5, first 2 shown]
	global_load_dword v94, v[26:27], off
	global_load_dword v95, v[56:57], off
	v_add_u32_e32 v26, s87, v80
	v_lshl_add_u64 v[56:57], v[58:59], 2, v[0:1]
	v_lshl_add_u64 v[48:49], v[48:49], 2, v[0:1]
	v_ashrrev_i32_e32 v31, 31, v30
	v_lshl_add_u64 v[40:41], v[40:41], 2, v[0:1]
	v_lshl_add_u64 v[14:15], v[14:15], 2, v[0:1]
	v_lshl_add_u64 v[12:13], v[12:13], 2, v[0:1]
	v_ashrrev_i32_e32 v19, 31, v18
	global_load_dword v96, v[56:57], off
	global_load_dword v97, v[48:49], off
	v_add_u32_e32 v48, s88, v80
	v_lshl_add_u64 v[30:31], v[30:31], 2, v[0:1]
	global_load_dword v98, v[40:41], off
	global_load_dword v99, v[30:31], off
	;; [unrolled: 1-line block ×4, first 2 shown]
	v_add_u32_e32 v12, s90, v80
	v_ashrrev_i32_e32 v27, 31, v26
	v_lshl_add_u64 v[14:15], v[18:19], 2, v[0:1]
	v_add_u32_e32 v30, s89, v80
	v_lshl_add_u64 v[18:19], v[26:27], 2, v[0:1]
	global_load_dword v102, v[14:15], off
	global_load_dword v103, v[18:19], off
	v_add_u32_e32 v14, s91, v80
	v_ashrrev_i32_e32 v49, 31, v48
	v_ashrrev_i32_e32 v13, 31, v12
	;; [unrolled: 1-line block ×3, first 2 shown]
	v_lshl_add_u64 v[18:19], v[48:49], 2, v[0:1]
	v_ashrrev_i32_e32 v15, 31, v14
	v_lshl_add_u64 v[12:13], v[12:13], 2, v[0:1]
	v_lshl_add_u64 v[26:27], v[30:31], 2, v[0:1]
	global_load_dword v104, v[18:19], off
	global_load_dword v105, v[26:27], off
	v_add_u32_e32 v18, s16, v80
	v_lshl_add_u64 v[14:15], v[14:15], 2, v[0:1]
	global_load_dword v106, v[12:13], off
	global_load_dword v107, v[14:15], off
	v_add_u32_e32 v12, s10, v80
	v_ashrrev_i32_e32 v19, 31, v18
	v_ashrrev_i32_e32 v13, 31, v12
	v_lshl_add_u64 v[14:15], v[18:19], 2, v[0:1]
	v_lshl_add_u64 v[12:13], v[12:13], 2, s[0:1]
	global_load_dword v108, v[14:15], off
	global_load_dword v109, v[12:13], off
	v_add_u32_e32 v12, s14, v80
	v_ashrrev_i32_e32 v13, 31, v12
	v_lshl_add_u64 v[12:13], v[12:13], 2, s[0:1]
	global_load_dword v110, v[12:13], off
	v_add_u32_e32 v12, s19, v80
	v_ashrrev_i32_e32 v13, 31, v12
	v_lshl_add_u64 v[12:13], v[12:13], 2, s[0:1]
	;; [unrolled: 4-line block ×11, first 2 shown]
	global_load_dword v119, v[12:13], off
	s_waitcnt vmcnt(62)
	ds_write_b32 v81, v86
	ds_write_b32 v81, v87 offset:264
	ds_write_b32 v81, v88 offset:528
	;; [unrolled: 1-line block ×13, first 2 shown]
	s_waitcnt vmcnt(61)
	ds_write_b32 v81, v29 offset:3696
	s_waitcnt vmcnt(60)
	ds_write_b32 v81, v23 offset:3960
	ds_read_b64 v[58:59], v82
	ds_read_b64 v[48:49], v82 offset:32
	ds_read_b64 v[40:41], v82 offset:64
	ds_read_b64 v[30:31], v82 offset:96
	ds_read_b64 v[26:27], v82 offset:128
	ds_read_b64 v[18:19], v82 offset:160
	ds_read_b64 v[14:15], v82 offset:192
	ds_read_b64 v[12:13], v82 offset:224
	s_waitcnt vmcnt(59)
	ds_write_b32 v81, v22
	s_waitcnt vmcnt(58)
	ds_write_b32 v81, v24 offset:264
	s_waitcnt vmcnt(57)
	ds_write_b32 v81, v25 offset:528
	s_waitcnt vmcnt(56)
	ds_write_b32 v81, v34 offset:792
	s_waitcnt vmcnt(55)
	ds_write_b32 v81, v35 offset:1056
	s_waitcnt vmcnt(54)
	ds_write_b32 v81, v20 offset:1320
	s_waitcnt vmcnt(53)
	ds_write_b32 v81, v21 offset:1584
	s_waitcnt vmcnt(52)
	ds_write_b32 v81, v16 offset:1848
	s_waitcnt vmcnt(51)
	ds_write_b32 v81, v17 offset:2112
	s_waitcnt vmcnt(50)
	ds_write_b32 v81, v36 offset:2376
	s_waitcnt vmcnt(49)
	ds_write_b32 v81, v37 offset:2640
	s_waitcnt vmcnt(48)
	ds_write_b32 v81, v44 offset:2904
	s_waitcnt vmcnt(47)
	ds_write_b32 v81, v45 offset:3168
	s_waitcnt vmcnt(46)
	ds_write_b32 v81, v64 offset:3432
	s_waitcnt vmcnt(45)
	ds_write_b32 v81, v65 offset:3696
	s_waitcnt vmcnt(44)
	ds_write_b32 v81, v61 offset:3960
	ds_read_b64 v[66:67], v82
	ds_read_b64 v[56:57], v82 offset:32
	ds_read_b64 v[52:53], v82 offset:64
	ds_read_b64 v[38:39], v82 offset:96
	ds_read_b64 v[36:37], v82 offset:128
	ds_read_b64 v[24:25], v82 offset:160
	ds_read_b64 v[20:21], v82 offset:192
	ds_read_b64 v[16:17], v82 offset:224
	s_waitcnt vmcnt(43)
	ds_write_b32 v81, v60
	s_waitcnt vmcnt(42)
	ds_write_b32 v81, v62 offset:264
	s_waitcnt vmcnt(41)
	ds_write_b32 v81, v63 offset:528
	s_waitcnt vmcnt(40)
	ds_write_b32 v81, v46 offset:792
	s_waitcnt vmcnt(39)
	ds_write_b32 v81, v47 offset:1056
	s_waitcnt vmcnt(38)
	ds_write_b32 v81, v50 offset:1320
	s_waitcnt vmcnt(37)
	ds_write_b32 v81, v51 offset:1584
	s_waitcnt vmcnt(36)
	ds_write_b32 v81, v74 offset:1848
	s_waitcnt vmcnt(35)
	ds_write_b32 v81, v75 offset:2112
	s_waitcnt vmcnt(34)
	ds_write_b32 v81, v72 offset:2376
	s_waitcnt vmcnt(33)
	ds_write_b32 v81, v73 offset:2640
	s_waitcnt vmcnt(32)
	ds_write_b32 v81, v90 offset:2904
	s_waitcnt vmcnt(31)
	ds_write_b32 v81, v91 offset:3168
	s_waitcnt vmcnt(30)
	ds_write_b32 v81, v92 offset:3432
	;; [unrolled: 40-line block ×3, first 2 shown]
	s_waitcnt vmcnt(13)
	ds_write_b32 v81, v107 offset:3696
	s_waitcnt vmcnt(12)
	ds_write_b32 v81, v108 offset:3960
	ds_read_b64 v[74:75], v82
	ds_read_b64 v[72:73], v82 offset:32
	ds_read_b64 v[68:69], v82 offset:64
	ds_read_b64 v[60:61], v82 offset:96
	ds_read_b64 v[54:55], v82 offset:128
	ds_read_b64 v[44:45], v82 offset:160
	ds_read_b64 v[42:43], v82 offset:192
	ds_read_b64 v[28:29], v82 offset:224
	ds_write_b32 v81, v84
	ds_write_b32 v81, v85 offset:264
	s_waitcnt vmcnt(11)
	ds_write_b32 v81, v109 offset:528
	s_waitcnt vmcnt(10)
	;; [unrolled: 2-line block ×12, first 2 shown]
	ds_write_b32 v81, v119 offset:3432
	ds_write_b32 v81, v83 offset:3696
	;; [unrolled: 1-line block ×3, first 2 shown]
	ds_read_b64 v[84:85], v82
	s_waitcnt lgkmcnt(0)
	v_mfma_f32_16x16x8_xf32 a[12:15], v[58:59], v[84:85], a[12:15]
	ds_read_b64 v[58:59], v82 offset:32
	v_add_u32_e32 v80, 0x100, v80
	v_cmp_le_i32_e32 vcc, s5, v80
	s_waitcnt lgkmcnt(0)
	v_mfma_f32_16x16x8_xf32 a[12:15], v[48:49], v[58:59], a[12:15]
	ds_read_b64 v[48:49], v82 offset:64
	v_lshl_add_u64 v[4:5], v[4:5], 0, s[12:13]
	v_lshl_add_u64 v[6:7], v[6:7], 0, s[12:13]
	v_mfma_f32_16x16x8_xf32 a[8:11], v[66:67], v[84:85], a[8:11]
	v_lshl_add_u64 v[8:9], v[8:9], 0, s[12:13]
	s_or_b64 s[8:9], vcc, s[8:9]
	v_lshl_add_u64 v[10:11], v[10:11], 0, s[12:13]
	v_mfma_f32_16x16x8_xf32 a[0:3], v[70:71], v[84:85], a[0:3]
	v_mfma_f32_16x16x8_xf32 a[4:7], v[74:75], v[84:85], a[4:7]
	s_waitcnt lgkmcnt(0)
	v_mfma_f32_16x16x8_xf32 a[12:15], v[40:41], v[48:49], a[12:15]
	ds_read_b64 v[40:41], v82 offset:96
	v_mfma_f32_16x16x8_xf32 a[8:11], v[56:57], v[58:59], a[8:11]
	v_mfma_f32_16x16x8_xf32 a[0:3], v[64:65], v[58:59], a[0:3]
	;; [unrolled: 1-line block ×6, first 2 shown]
	s_waitcnt lgkmcnt(0)
	v_mfma_f32_16x16x8_xf32 a[12:15], v[30:31], v[40:41], a[12:15]
	ds_read_b64 v[30:31], v82 offset:128
	v_mfma_f32_16x16x8_xf32 a[8:11], v[38:39], v[40:41], a[8:11]
	v_mfma_f32_16x16x8_xf32 a[0:3], v[50:51], v[40:41], a[0:3]
	v_mfma_f32_16x16x8_xf32 a[4:7], v[60:61], v[40:41], a[4:7]
	s_waitcnt lgkmcnt(0)
	v_mfma_f32_16x16x8_xf32 a[12:15], v[26:27], v[30:31], a[12:15]
	ds_read_b64 v[26:27], v82 offset:160
	v_mfma_f32_16x16x8_xf32 a[8:11], v[36:37], v[30:31], a[8:11]
	v_mfma_f32_16x16x8_xf32 a[0:3], v[46:47], v[30:31], a[0:3]
	v_mfma_f32_16x16x8_xf32 a[4:7], v[54:55], v[30:31], a[4:7]
	;; [unrolled: 6-line block ×4, first 2 shown]
	s_waitcnt lgkmcnt(0)
	v_mfma_f32_16x16x8_xf32 a[12:15], v[12:13], v[14:15], a[12:15]
	v_mfma_f32_16x16x8_xf32 a[8:11], v[16:17], v[14:15], a[8:11]
	;; [unrolled: 1-line block ×4, first 2 shown]
	s_andn2_b64 exec, exec, s[8:9]
	s_cbranch_execnz .LBB86_4
; %bb.5:
	s_or_b64 exec, exec, s[8:9]
.LBB86_6:
	s_or_b64 exec, exec, s[24:25]
	v_mul_u32_u24_e32 v0, 0x408, v79
	v_lshlrev_b32_e32 v1, 2, v78
	v_or_b32_e32 v2, 12, v77
	v_add3_u32 v0, 0, v0, v1
	v_and_b32_e32 v1, 0x3f0, v77
	v_and_b32_e32 v2, 0x3fc, v2
	v_add_u32_e32 v1, v0, v1
	v_add_u32_e32 v0, v0, v2
	s_waitcnt lgkmcnt(0)
	s_mul_hi_i32 s1, s15, s4
	s_mul_i32 s0, s15, s4
	s_mul_i32 s4, s3, s11
	s_barrier
	s_movk_i32 s3, 0x408
	ds_write2_b32 v1, a12, a13 offset1:1
	ds_write_b32 v1, a14 offset:8
	ds_write_b32 v0, a15
	ds_write2_b32 v1, a8, a9 offset0:16 offset1:17
	ds_write_b32 v1, a10 offset:72
	ds_write_b32 v0, a11 offset:64
	ds_write2_b32 v1, a0, a1 offset0:32 offset1:33
	ds_write_b32 v1, a2 offset:136
	ds_write_b32 v0, a3 offset:128
	;; [unrolled: 3-line block ×3, first 2 shown]
	v_lshl_add_u32 v1, v77, 2, 0
	v_mad_u32_u24 v10, v76, s3, v1
	s_waitcnt lgkmcnt(0)
	s_barrier
	ds_read2st64_b32 v[2:3], v10 offset1:1
	ds_read2st64_b32 v[4:5], v10 offset0:2 offset1:3
	v_add_u32_e32 v6, 32, v10
	s_lshl_b64 s[0:1], s[0:1], 2
	s_add_u32 s6, s6, s0
	s_waitcnt lgkmcnt(1)
	v_add_f32_e32 v2, 0, v2
	v_add_f32_e32 v2, v2, v3
	s_waitcnt lgkmcnt(0)
	v_add_f32_e32 v2, v2, v4
	v_add_f32_e32 v11, v2, v5
	ds_read2st64_b32 v[4:5], v6 offset0:16 offset1:17
	ds_read2st64_b32 v[6:7], v6 offset0:18 offset1:19
	s_addc_u32 s7, s7, s1
	s_ashr_i32 s5, s4, 31
	s_lshl_b64 s[0:1], s[4:5], 2
	v_add_u32_e32 v0, s2, v77
	s_add_u32 s0, s6, s0
	v_mad_u64_u32 v[2:3], s[4:5], v76, s18, v[0:1]
	s_waitcnt lgkmcnt(1)
	v_add_f32_e32 v4, 0, v4
	s_addc_u32 s1, s7, s1
	v_mov_b32_e32 v3, 0
	v_add_f32_e32 v4, v4, v5
	v_lshl_add_u64 v[8:9], v[2:3], 2, s[0:1]
	s_waitcnt lgkmcnt(0)
	v_add_f32_e32 v4, v4, v6
	v_add_u32_e32 v6, 64, v10
	global_store_dword v[8:9], v11, off
	v_add_f32_e32 v11, v4, v7
	ds_read2st64_b32 v[4:5], v6 offset0:32 offset1:33
	ds_read2st64_b32 v[6:7], v6 offset0:34 offset1:35
	s_lshl_b32 s2, s18, 2
	v_add_u32_e32 v2, s2, v2
	v_lshl_add_u64 v[8:9], v[2:3], 2, s[0:1]
	s_waitcnt lgkmcnt(1)
	v_add_f32_e32 v4, 0, v4
	v_add_f32_e32 v4, v4, v5
	s_waitcnt lgkmcnt(0)
	v_add_f32_e32 v4, v4, v6
	v_add_u32_e32 v2, s2, v2
	v_add_f32_e32 v6, v4, v7
	v_lshl_add_u64 v[4:5], v[2:3], 2, s[0:1]
	v_cmp_gt_u32_e32 vcc, 2, v76
	global_store_dword v[8:9], v11, off
	global_store_dword v[4:5], v6, off
	s_and_saveexec_b64 s[4:5], vcc
	s_cbranch_execz .LBB86_8
; %bb.7:
	v_or_b32_e32 v2, 12, v76
	v_mad_u32_u24 v1, v2, s3, v1
	ds_read2st64_b32 v[4:5], v1 offset1:1
	ds_read2st64_b32 v[6:7], v1 offset0:2 offset1:3
	v_mad_u64_u32 v[0:1], s[2:3], v2, s18, v[0:1]
	v_mov_b32_e32 v1, v3
	s_waitcnt lgkmcnt(1)
	v_add_f32_e32 v2, 0, v4
	v_add_f32_e32 v2, v2, v5
	s_waitcnt lgkmcnt(0)
	v_add_f32_e32 v2, v2, v6
	v_add_f32_e32 v2, v2, v7
	v_lshl_add_u64 v[0:1], v[0:1], 2, s[0:1]
	global_store_dword v[0:1], v2, off
.LBB86_8:
	s_endpgm
	.section	.rodata,"a",@progbits
	.p2align	6, 0x0
	.amdhsa_kernel _ZL9mul_mat_fIfLi64ELi14ELi4ELb0EEvPKT_PKfPKiPfiiiiiiiiiiiiiiii
		.amdhsa_group_segment_fixed_size 0
		.amdhsa_private_segment_fixed_size 0
		.amdhsa_kernarg_size 96
		.amdhsa_user_sgpr_count 2
		.amdhsa_user_sgpr_dispatch_ptr 0
		.amdhsa_user_sgpr_queue_ptr 0
		.amdhsa_user_sgpr_kernarg_segment_ptr 1
		.amdhsa_user_sgpr_dispatch_id 0
		.amdhsa_user_sgpr_kernarg_preload_length 0
		.amdhsa_user_sgpr_kernarg_preload_offset 0
		.amdhsa_user_sgpr_private_segment_size 0
		.amdhsa_uses_dynamic_stack 0
		.amdhsa_enable_private_segment 0
		.amdhsa_system_sgpr_workgroup_id_x 1
		.amdhsa_system_sgpr_workgroup_id_y 1
		.amdhsa_system_sgpr_workgroup_id_z 1
		.amdhsa_system_sgpr_workgroup_info 0
		.amdhsa_system_vgpr_workitem_id 1
		.amdhsa_next_free_vgpr 136
		.amdhsa_next_free_sgpr 92
		.amdhsa_accum_offset 120
		.amdhsa_reserve_vcc 1
		.amdhsa_float_round_mode_32 0
		.amdhsa_float_round_mode_16_64 0
		.amdhsa_float_denorm_mode_32 3
		.amdhsa_float_denorm_mode_16_64 3
		.amdhsa_dx10_clamp 1
		.amdhsa_ieee_mode 1
		.amdhsa_fp16_overflow 0
		.amdhsa_tg_split 0
		.amdhsa_exception_fp_ieee_invalid_op 0
		.amdhsa_exception_fp_denorm_src 0
		.amdhsa_exception_fp_ieee_div_zero 0
		.amdhsa_exception_fp_ieee_overflow 0
		.amdhsa_exception_fp_ieee_underflow 0
		.amdhsa_exception_fp_ieee_inexact 0
		.amdhsa_exception_int_div_zero 0
	.end_amdhsa_kernel
	.section	.text._ZL9mul_mat_fIfLi64ELi14ELi4ELb0EEvPKT_PKfPKiPfiiiiiiiiiiiiiiii,"axG",@progbits,_ZL9mul_mat_fIfLi64ELi14ELi4ELb0EEvPKT_PKfPKiPfiiiiiiiiiiiiiiii,comdat
.Lfunc_end86:
	.size	_ZL9mul_mat_fIfLi64ELi14ELi4ELb0EEvPKT_PKfPKiPfiiiiiiiiiiiiiiii, .Lfunc_end86-_ZL9mul_mat_fIfLi64ELi14ELi4ELb0EEvPKT_PKfPKiPfiiiiiiiiiiiiiiii
                                        ; -- End function
	.section	.AMDGPU.csdata,"",@progbits
; Kernel info:
; codeLenInByte = 5180
; NumSgprs: 98
; NumVgprs: 120
; NumAgprs: 16
; TotalNumVgprs: 136
; ScratchSize: 0
; MemoryBound: 0
; FloatMode: 240
; IeeeMode: 1
; LDSByteSize: 0 bytes/workgroup (compile time only)
; SGPRBlocks: 12
; VGPRBlocks: 16
; NumSGPRsForWavesPerEU: 98
; NumVGPRsForWavesPerEU: 136
; AccumOffset: 120
; Occupancy: 3
; WaveLimiterHint : 0
; COMPUTE_PGM_RSRC2:SCRATCH_EN: 0
; COMPUTE_PGM_RSRC2:USER_SGPR: 2
; COMPUTE_PGM_RSRC2:TRAP_HANDLER: 0
; COMPUTE_PGM_RSRC2:TGID_X_EN: 1
; COMPUTE_PGM_RSRC2:TGID_Y_EN: 1
; COMPUTE_PGM_RSRC2:TGID_Z_EN: 1
; COMPUTE_PGM_RSRC2:TIDIG_COMP_CNT: 1
; COMPUTE_PGM_RSRC3_GFX90A:ACCUM_OFFSET: 29
; COMPUTE_PGM_RSRC3_GFX90A:TG_SPLIT: 0
	.section	.text._ZL13mul_mat_f_idsIfLi64ELi14ELi5EEvPKT_PKfPKiS6_S6_Pfiiiiiiiiiiiiii15HIP_vector_typeIjLj3EES9_,"axG",@progbits,_ZL13mul_mat_f_idsIfLi64ELi14ELi5EEvPKT_PKfPKiS6_S6_Pfiiiiiiiiiiiiii15HIP_vector_typeIjLj3EES9_,comdat
	.globl	_ZL13mul_mat_f_idsIfLi64ELi14ELi5EEvPKT_PKfPKiS6_S6_Pfiiiiiiiiiiiiii15HIP_vector_typeIjLj3EES9_ ; -- Begin function _ZL13mul_mat_f_idsIfLi64ELi14ELi5EEvPKT_PKfPKiS6_S6_Pfiiiiiiiiiiiiii15HIP_vector_typeIjLj3EES9_
	.p2align	8
	.type	_ZL13mul_mat_f_idsIfLi64ELi14ELi5EEvPKT_PKfPKiS6_S6_Pfiiiiiiiiiiiiii15HIP_vector_typeIjLj3EES9_,@function
_ZL13mul_mat_f_idsIfLi64ELi14ELi5EEvPKT_PKfPKiS6_S6_Pfiiiiiiiiiiiiii15HIP_vector_typeIjLj3EES9_: ; @_ZL13mul_mat_f_idsIfLi64ELi14ELi5EEvPKT_PKfPKiS6_S6_Pfiiiiiiiiiiiiii15HIP_vector_typeIjLj3EES9_
; %bb.0:
	s_load_dwordx2 s[6:7], s[0:1], 0x20
	s_mov_b32 s34, s3
	s_ashr_i32 s35, s3, 31
	s_lshl_b64 s[8:9], s[34:35], 2
	s_waitcnt lgkmcnt(0)
	s_add_u32 s6, s6, s8
	s_addc_u32 s7, s7, s9
	s_load_dwordx2 s[26:27], s[6:7], 0x0
	s_waitcnt lgkmcnt(0)
	s_sub_i32 s33, s27, s26
	s_add_i32 s3, s33, 13
	s_mul_hi_i32 s5, s3, 0x92492493
	s_add_i32 s5, s5, s3
	s_lshr_b32 s3, s5, 31
	s_ashr_i32 s5, s5, 3
	s_add_i32 s5, s5, s3
	s_cmp_ge_i32 s4, s5
	s_cbranch_scc1 .LBB87_59
; %bb.1:
	v_bfe_u32 v16, v0, 10, 10
	v_lshlrev_b32_e32 v86, 6, v16
	v_and_b32_e32 v17, 0x3ff, v0
	s_load_dwordx4 s[12:15], s[0:1], 0x30
	s_load_dwordx2 s[20:21], s[0:1], 0x40
	s_load_dwordx4 s[8:11], s[0:1], 0x4c
	s_load_dwordx4 s[16:19], s[0:1], 0x68
	s_load_dwordx2 s[24:25], s[0:1], 0x78
	v_add_u32_e32 v88, v86, v17
	s_ashr_i32 s27, s26, 31
	s_waitcnt lgkmcnt(0)
	v_cmp_le_i32_e32 vcc, s12, v88
	v_and_b32_e32 v87, 15, v17
                                        ; implicit-def: $sgpr3
	s_and_saveexec_b64 s[6:7], vcc
	s_xor_b64 s[6:7], exec, s[6:7]
; %bb.2:
	v_and_b32_e32 v87, 15, v17
	s_mov_b32 s3, 0
                                        ; implicit-def: $vgpr88
; %bb.3:
	s_or_saveexec_b64 s[28:29], s[6:7]
	s_load_dwordx2 s[22:23], s[0:1], 0x18
	s_load_dwordx2 s[6:7], s[0:1], 0x28
                                        ; implicit-def: $vgpr106 : SGPR spill to VGPR lane
	s_lshl_b32 s11, s2, 6
	s_mul_i32 s2, s4, 14
	v_mov_b32_e32 v15, s3
	v_mov_b32_e32 v14, s3
	s_waitcnt lgkmcnt(0)
	v_writelane_b32 v106, s6, 0
	v_mov_b32_e32 v13, s3
	v_mov_b32_e32 v12, s3
	;; [unrolled: 1-line block ×14, first 2 shown]
	v_writelane_b32 v106, s7, 1
	s_xor_b64 exec, exec, s[28:29]
	s_cbranch_execz .LBB87_49
; %bb.4:
	v_writelane_b32 v106, s28, 2
	s_movk_i32 s3, 0x1080
	v_mad_u32_u24 v1, v16, s3, 0
	v_writelane_b32 v106, s29, 3
	v_writelane_b32 v106, s22, 4
	v_lshrrev_b32_e32 v3, 1, v17
	v_mov_b32_e32 v19, 0
	v_writelane_b32 v106, s23, 5
	v_writelane_b32 v106, s24, 6
	s_load_dwordx4 s[4:7], s[0:1], 0x0
	s_load_dwordx2 s[22:23], s[0:1], 0x10
	v_writelane_b32 v106, s25, 7
	s_mul_i32 s0, s34, s8
	s_mul_i32 s24, s11, s15
	s_ashr_i32 s1, s0, 31
	s_ashr_i32 s25, s24, 31
	s_lshl_b64 s[24:25], s[24:25], 2
	s_lshl_b64 s[0:1], s[0:1], 2
	s_add_u32 s24, s0, s24
	v_writelane_b32 v106, s11, 8
	s_addc_u32 s25, s1, s25
	s_waitcnt lgkmcnt(0)
	s_add_u32 s0, s24, s4
	v_writelane_b32 v106, s26, 9
	s_addc_u32 s1, s25, s5
	v_lshlrev_b32_e32 v0, 2, v17
	v_writelane_b32 v106, s27, 10
	s_lshl_b64 s[26:27], s[26:27], 2
	s_add_u32 s8, s22, s26
	s_addc_u32 s11, s23, s27
	s_cmp_lt_i32 s2, s33
	s_cselect_b64 s[34:35], -1, 0
	s_ashr_i32 s3, s2, 31
	s_lshl_b64 s[22:23], s[2:3], 2
	s_add_u32 s36, s8, s22
	s_addc_u32 s37, s11, s23
	s_or_b32 s3, s2, 1
	s_cmp_lt_i32 s3, s33
	s_cselect_b64 s[38:39], -1, 0
	s_add_i32 s3, s2, 2
	s_cmp_lt_i32 s3, s33
	s_cselect_b64 s[40:41], -1, 0
	s_add_i32 s3, s2, 3
	;; [unrolled: 3-line block ×3, first 2 shown]
	v_mul_u32_u24_e32 v2, 0x108, v87
	v_and_b32_e32 v3, 0x1f8, v3
	s_cmp_lt_i32 s3, s33
	v_lshlrev_b32_e32 v18, 8, v16
	v_add_u32_e32 v89, v1, v0
	v_add3_u32 v90, v1, v2, v3
	s_cselect_b64 s[44:45], -1, 0
	s_add_i32 s3, s2, 5
	v_lshl_add_u64 v[2:3], s[24:25], 0, v[18:19]
	v_mov_b32_e32 v1, v19
	s_cmp_lt_i32 s3, s33
	v_lshl_add_u64 v[0:1], v[2:3], 0, v[0:1]
	s_cselect_b64 s[46:47], -1, 0
	s_add_i32 s3, s2, 6
	v_lshl_add_u64 v[20:21], s[4:5], 0, v[0:1]
	s_mul_i32 s4, s15, 3
	s_cmp_lt_i32 s3, s33
	v_writelane_b32 v106, s4, 11
	s_mul_i32 s4, s15, 5
	s_cselect_b64 s[48:49], -1, 0
	s_add_i32 s3, s2, 7
	v_writelane_b32 v106, s4, 12
	s_mul_i32 s4, s15, 6
	s_cmp_lt_i32 s3, s33
	v_writelane_b32 v106, s4, 13
	s_mul_i32 s4, s15, 7
	s_cselect_b64 s[50:51], -1, 0
	s_add_i32 s3, s2, 8
	v_writelane_b32 v106, s4, 14
	;; [unrolled: 7-line block ×7, first 2 shown]
	s_mul_i32 s4, s15, 20
	s_cmp_lt_i32 s3, s33
	v_writelane_b32 v106, s4, 25
	s_mul_i32 s4, s15, 21
	s_cselect_b64 s[62:63], -1, 0
	s_ashr_i32 s23, s15, 31
	s_mov_b32 s22, s15
	v_writelane_b32 v106, s4, 26
	s_mul_i32 s4, s15, 22
	s_lshl_b64 s[64:65], s[22:23], 2
	s_lshl_b32 s3, s15, 1
	s_lshl_b32 s68, s15, 2
	;; [unrolled: 1-line block ×4, first 2 shown]
	v_writelane_b32 v106, s4, 27
	s_mul_i32 s87, s15, 23
	s_mul_i32 s88, s15, 24
	;; [unrolled: 1-line block ×5, first 2 shown]
	v_mov_b32_e32 v8, 0
	v_mov_b32_e32 v9, v19
	;; [unrolled: 1-line block ×16, first 2 shown]
	s_mul_i32 s92, s15, 28
	s_mul_i32 s93, s15, 29
	;; [unrolled: 1-line block ×4, first 2 shown]
	s_lshl_b32 s96, s15, 5
	s_mul_i32 s97, s15, 33
	s_mul_i32 s98, s15, 34
	;; [unrolled: 1-line block ×31, first 2 shown]
	s_mov_b64 s[4:5], 0
	s_mov_b64 s[66:67], 0x500
	s_branch .LBB87_6
.LBB87_5:                               ;   in Loop: Header=BB87_6 Depth=1
	s_waitcnt vmcnt(0)
	ds_write2_b32 v89, v18, v92 offset1:66
	ds_write2_b32 v89, v91, v94 offset0:132 offset1:198
	v_add_u32_e32 v18, 0x400, v89
	ds_write2_b32 v18, v93, v96 offset0:8 offset1:74
	ds_write2_b32 v18, v95, v98 offset0:140 offset1:206
	v_add_u32_e32 v18, 0x800, v89
	ds_write2_b32 v18, v97, v100 offset0:16 offset1:82
	ds_write2_b32 v18, v99, v102 offset0:148 offset1:214
	v_add_u32_e32 v18, 0xc00, v89
	ds_write2_b32 v18, v101, v103 offset0:24 offset1:90
	ds_write2_b32 v18, v19, v19 offset0:156 offset1:222
	ds_read2_b64 v[92:95], v90 offset1:4
	v_add_u32_e32 v88, 0x140, v88
	s_waitcnt lgkmcnt(0)
	v_mfma_f32_16x16x8_xf32 v[0:3], v[70:71], v[92:93], v[0:3]
	v_cmp_le_i32_e32 vcc, s12, v88
	v_lshl_add_u64 v[20:21], v[20:21], 0, s[66:67]
	s_or_b64 s[4:5], vcc, s[4:5]
	v_mfma_f32_16x16x8_xf32 v[8:11], v[38:39], v[92:93], v[8:11]
	v_mfma_f32_16x16x8_xf32 v[4:7], v[54:55], v[92:93], v[4:7]
	v_mfma_f32_16x16x8_xf32 v[12:15], v[84:85], v[92:93], v[12:15]
	v_mfma_f32_16x16x8_xf32 v[0:3], v[68:69], v[94:95], v[0:3]
	ds_read2_b64 v[68:71], v90 offset0:8 offset1:12
	v_mfma_f32_16x16x8_xf32 v[8:11], v[34:35], v[94:95], v[8:11]
	v_mfma_f32_16x16x8_xf32 v[4:7], v[50:51], v[94:95], v[4:7]
	v_mfma_f32_16x16x8_xf32 v[12:15], v[82:83], v[94:95], v[12:15]
	s_waitcnt lgkmcnt(0)
	v_mfma_f32_16x16x8_xf32 v[8:11], v[32:33], v[68:69], v[8:11]
	v_mfma_f32_16x16x8_xf32 v[4:7], v[48:49], v[68:69], v[4:7]
	v_mfma_f32_16x16x8_xf32 v[0:3], v[66:67], v[68:69], v[0:3]
	v_mfma_f32_16x16x8_xf32 v[12:15], v[78:79], v[68:69], v[12:15]
	v_mfma_f32_16x16x8_xf32 v[8:11], v[30:31], v[70:71], v[8:11]
	ds_read2_b64 v[30:33], v90 offset0:16 offset1:20
	v_mfma_f32_16x16x8_xf32 v[4:7], v[46:47], v[70:71], v[4:7]
	v_mfma_f32_16x16x8_xf32 v[0:3], v[64:65], v[70:71], v[0:3]
	v_mfma_f32_16x16x8_xf32 v[12:15], v[74:75], v[70:71], v[12:15]
	s_waitcnt lgkmcnt(0)
	v_mfma_f32_16x16x8_xf32 v[8:11], v[28:29], v[30:31], v[8:11]
	;; [unrolled: 10-line block ×3, first 2 shown]
	v_mfma_f32_16x16x8_xf32 v[4:7], v[40:41], v[26:27], v[4:7]
	v_mfma_f32_16x16x8_xf32 v[0:3], v[56:57], v[26:27], v[0:3]
	;; [unrolled: 1-line block ×7, first 2 shown]
	s_andn2_b64 exec, exec, s[4:5]
	s_cbranch_execz .LBB87_48
.LBB87_6:                               ; =>This Inner Loop Header: Depth=1
	v_readlane_b32 s86, v106, 11
	v_lshl_add_u64 v[22:23], v[20:21], 0, s[64:65]
	global_load_dword v18, v[20:21], off
	global_load_dword v48, v[22:23], off
	v_add_u32_e32 v24, s86, v88
	v_readlane_b32 s86, v106, 12
	v_add_u32_e32 v22, s3, v88
	v_ashrrev_i32_e32 v23, 31, v22
	v_add_u32_e32 v28, s86, v88
	v_readlane_b32 s86, v106, 13
	v_add_u32_e32 v26, s68, v88
	v_lshl_add_u64 v[22:23], v[22:23], 2, s[0:1]
	v_add_u32_e32 v30, s86, v88
	v_readlane_b32 s86, v106, 14
	v_ashrrev_i32_e32 v25, 31, v24
	v_ashrrev_i32_e32 v27, 31, v26
	v_add_u32_e32 v32, s86, v88
	v_ashrrev_i32_e32 v29, 31, v28
	v_ashrrev_i32_e32 v31, 31, v30
	;; [unrolled: 1-line block ×3, first 2 shown]
	v_lshl_add_u64 v[24:25], v[24:25], 2, s[0:1]
	v_lshl_add_u64 v[26:27], v[26:27], 2, s[0:1]
	;; [unrolled: 1-line block ×5, first 2 shown]
	global_load_dword v49, v[22:23], off
	global_load_dword v50, v[24:25], off
	;; [unrolled: 1-line block ×6, first 2 shown]
	v_readlane_b32 s86, v106, 15
	v_add_u32_e32 v22, s72, v88
	v_add_u32_e32 v38, s80, v88
	;; [unrolled: 1-line block ×3, first 2 shown]
	v_readlane_b32 s86, v106, 16
	v_ashrrev_i32_e32 v23, 31, v22
	v_ashrrev_i32_e32 v25, 31, v24
	v_add_u32_e32 v26, s86, v88
	v_readlane_b32 s86, v106, 17
	v_ashrrev_i32_e32 v27, 31, v26
	v_ashrrev_i32_e32 v39, 31, v38
	v_add_u32_e32 v28, s86, v88
	v_readlane_b32 s86, v106, 18
	v_ashrrev_i32_e32 v29, 31, v28
	v_lshl_add_u64 v[22:23], v[22:23], 2, s[0:1]
	v_add_u32_e32 v30, s86, v88
	v_readlane_b32 s86, v106, 19
	v_ashrrev_i32_e32 v31, 31, v30
	v_lshl_add_u64 v[24:25], v[24:25], 2, s[0:1]
	;; [unrolled: 4-line block ×6, first 2 shown]
	v_add_u32_e32 v42, s86, v88
	v_readlane_b32 s86, v106, 24
	v_lshl_add_u64 v[32:33], v[32:33], 2, s[0:1]
	v_lshl_add_u64 v[34:35], v[34:35], 2, s[0:1]
	v_add_u32_e32 v44, s86, v88
	v_readlane_b32 s86, v106, 25
	v_lshl_add_u64 v[36:37], v[36:37], 2, s[0:1]
	v_lshl_add_u64 v[38:39], v[38:39], 2, s[0:1]
	v_add_u32_e32 v46, s86, v88
	v_readlane_b32 s86, v106, 26
	global_load_dword v55, v[22:23], off
	global_load_dword v56, v[24:25], off
	;; [unrolled: 1-line block ×9, first 2 shown]
	s_nop 0
	global_load_dword v40, v[40:41], off
	v_add_u32_e32 v22, s86, v88
	v_readlane_b32 s86, v106, 27
	v_ashrrev_i32_e32 v43, 31, v42
	v_ashrrev_i32_e32 v45, 31, v44
	;; [unrolled: 1-line block ×4, first 2 shown]
	v_add_u32_e32 v24, s86, v88
	v_add_u32_e32 v26, s87, v88
	;; [unrolled: 1-line block ×4, first 2 shown]
	v_lshl_add_u64 v[42:43], v[42:43], 2, s[0:1]
	v_lshl_add_u64 v[44:45], v[44:45], 2, s[0:1]
	;; [unrolled: 1-line block ×4, first 2 shown]
	s_waitcnt vmcnt(17)
	ds_write_b32 v89, v18
	s_waitcnt vmcnt(16)
	ds_write_b32 v89, v48 offset:264
	s_waitcnt vmcnt(15)
	ds_write_b32 v89, v49 offset:528
	;; [unrolled: 2-line block ×7, first 2 shown]
	v_ashrrev_i32_e32 v25, 31, v24
	v_ashrrev_i32_e32 v27, 31, v26
	;; [unrolled: 1-line block ×4, first 2 shown]
	v_lshl_add_u64 v[24:25], v[24:25], 2, s[0:1]
	v_lshl_add_u64 v[26:27], v[26:27], 2, s[0:1]
	;; [unrolled: 1-line block ×4, first 2 shown]
	global_load_dword v18, v[42:43], off
	global_load_dword v41, v[44:45], off
	s_nop 0
	global_load_dword v42, v[46:47], off
	global_load_dword v43, v[22:23], off
	global_load_dword v44, v[24:25], off
	global_load_dword v45, v[26:27], off
	s_nop 0
	global_load_dword v46, v[28:29], off
	global_load_dword v47, v[30:31], off
	v_add_u32_e32 v22, s90, v88
	v_ashrrev_i32_e32 v23, 31, v22
	v_add_u32_e32 v24, s91, v88
	v_add_u32_e32 v26, s92, v88
	v_add_u32_e32 v28, s93, v88
	v_add_u32_e32 v30, s94, v88
	v_add_u32_e32 v32, s95, v88
	v_add_u32_e32 v34, s96, v88
	v_add_u32_e32 v36, s97, v88
	v_lshl_add_u64 v[22:23], v[22:23], 2, s[0:1]
	v_ashrrev_i32_e32 v25, 31, v24
	v_ashrrev_i32_e32 v27, 31, v26
	v_ashrrev_i32_e32 v29, 31, v28
	v_ashrrev_i32_e32 v31, 31, v30
	v_ashrrev_i32_e32 v33, 31, v32
	v_ashrrev_i32_e32 v35, 31, v34
	v_ashrrev_i32_e32 v37, 31, v36
	v_lshl_add_u64 v[24:25], v[24:25], 2, s[0:1]
	v_lshl_add_u64 v[26:27], v[26:27], 2, s[0:1]
	v_lshl_add_u64 v[28:29], v[28:29], 2, s[0:1]
	v_lshl_add_u64 v[30:31], v[30:31], 2, s[0:1]
	v_lshl_add_u64 v[32:33], v[32:33], 2, s[0:1]
	v_lshl_add_u64 v[34:35], v[34:35], 2, s[0:1]
	v_lshl_add_u64 v[36:37], v[36:37], 2, s[0:1]
	global_load_dword v48, v[22:23], off
	global_load_dword v49, v[24:25], off
	global_load_dword v50, v[26:27], off
	global_load_dword v51, v[28:29], off
	global_load_dword v52, v[30:31], off
	global_load_dword v53, v[32:33], off
	global_load_dword v64, v[34:35], off
	global_load_dword v65, v[36:37], off
	v_add_u32_e32 v22, s98, v88
	v_ashrrev_i32_e32 v23, 31, v22
	v_add_u32_e32 v24, s99, v88
	v_add_u32_e32 v26, s24, v88
	v_add_u32_e32 v28, s25, v88
	v_add_u32_e32 v30, s22, v88
	v_add_u32_e32 v32, s23, v88
	v_add_u32_e32 v34, s28, v88
	v_add_u32_e32 v36, s29, v88
	v_lshl_add_u64 v[22:23], v[22:23], 2, s[0:1]
	v_ashrrev_i32_e32 v25, 31, v24
	v_ashrrev_i32_e32 v27, 31, v26
	v_ashrrev_i32_e32 v29, 31, v28
	v_ashrrev_i32_e32 v31, 31, v30
	v_ashrrev_i32_e32 v33, 31, v32
	v_ashrrev_i32_e32 v35, 31, v34
	v_ashrrev_i32_e32 v37, 31, v36
	v_lshl_add_u64 v[24:25], v[24:25], 2, s[0:1]
	v_lshl_add_u64 v[26:27], v[26:27], 2, s[0:1]
	v_lshl_add_u64 v[28:29], v[28:29], 2, s[0:1]
	v_lshl_add_u64 v[30:31], v[30:31], 2, s[0:1]
	v_lshl_add_u64 v[32:33], v[32:33], 2, s[0:1]
	v_lshl_add_u64 v[34:35], v[34:35], 2, s[0:1]
	v_lshl_add_u64 v[36:37], v[36:37], 2, s[0:1]
	global_load_dword v66, v[22:23], off
	global_load_dword v67, v[24:25], off
	global_load_dword v68, v[26:27], off
	global_load_dword v69, v[28:29], off
	global_load_dword v70, v[30:31], off
	global_load_dword v71, v[32:33], off
	;; [unrolled: 32-line block ×4, first 2 shown]
	global_load_dword v93, v[34:35], off
	global_load_dword v94, v[36:37], off
	v_add_u32_e32 v22, s81, v88
	v_ashrrev_i32_e32 v23, 31, v22
	v_add_u32_e32 v24, s82, v88
	v_add_u32_e32 v26, s83, v88
	;; [unrolled: 1-line block ×5, first 2 shown]
	v_lshl_add_u64 v[22:23], v[22:23], 2, s[0:1]
	v_ashrrev_i32_e32 v25, 31, v24
	v_ashrrev_i32_e32 v27, 31, v26
	;; [unrolled: 1-line block ×5, first 2 shown]
	v_lshl_add_u64 v[24:25], v[24:25], 2, s[0:1]
	v_lshl_add_u64 v[26:27], v[26:27], 2, s[0:1]
	;; [unrolled: 1-line block ×5, first 2 shown]
	global_load_dword v95, v[22:23], off
	global_load_dword v96, v[24:25], off
	;; [unrolled: 1-line block ×6, first 2 shown]
	s_waitcnt vmcnt(55)
	ds_write_b32 v89, v55 offset:2112
	s_waitcnt vmcnt(54)
	ds_write_b32 v89, v56 offset:2376
	s_waitcnt vmcnt(53)
	ds_write_b32 v89, v57 offset:2640
	s_waitcnt vmcnt(52)
	ds_write_b32 v89, v58 offset:2904
	s_waitcnt vmcnt(51)
	ds_write_b32 v89, v59 offset:3168
	s_waitcnt vmcnt(50)
	ds_write_b32 v89, v60 offset:3432
	s_waitcnt vmcnt(49)
	ds_write_b32 v89, v61 offset:3696
	s_waitcnt vmcnt(48)
	ds_write_b32 v89, v62 offset:3960
	ds_read_b64 v[38:39], v90
	ds_read_b64 v[34:35], v90 offset:32
	ds_read_b64 v[32:33], v90 offset:64
	ds_read_b64 v[30:31], v90 offset:96
	ds_read_b64 v[28:29], v90 offset:128
	ds_read_b64 v[26:27], v90 offset:160
	ds_read_b64 v[24:25], v90 offset:192
	ds_read_b64 v[22:23], v90 offset:224
	s_waitcnt vmcnt(47)
	ds_write_b32 v89, v63
	s_waitcnt vmcnt(46)
	ds_write_b32 v89, v40 offset:264
	s_waitcnt vmcnt(45)
	ds_write_b32 v89, v18 offset:528
	s_waitcnt vmcnt(44)
	ds_write_b32 v89, v41 offset:792
	s_waitcnt vmcnt(43)
	ds_write_b32 v89, v42 offset:1056
	s_waitcnt vmcnt(42)
	ds_write_b32 v89, v43 offset:1320
	s_waitcnt vmcnt(41)
	ds_write_b32 v89, v44 offset:1584
	s_waitcnt vmcnt(40)
	ds_write_b32 v89, v45 offset:1848
	s_waitcnt vmcnt(39)
	ds_write_b32 v89, v46 offset:2112
	s_waitcnt vmcnt(38)
	ds_write_b32 v89, v47 offset:2376
	s_waitcnt vmcnt(37)
	ds_write_b32 v89, v48 offset:2640
	s_waitcnt vmcnt(36)
	ds_write_b32 v89, v49 offset:2904
	s_waitcnt vmcnt(35)
	ds_write_b32 v89, v50 offset:3168
	s_waitcnt vmcnt(34)
	ds_write_b32 v89, v51 offset:3432
	s_waitcnt vmcnt(33)
	ds_write_b32 v89, v52 offset:3696
	s_waitcnt vmcnt(32)
	ds_write_b32 v89, v53 offset:3960
	ds_read_b64 v[54:55], v90
	ds_read_b64 v[50:51], v90 offset:32
	ds_read_b64 v[48:49], v90 offset:64
	ds_read_b64 v[46:47], v90 offset:96
	ds_read_b64 v[44:45], v90 offset:128
	ds_read_b64 v[42:43], v90 offset:160
	ds_read_b64 v[40:41], v90 offset:192
	ds_read_b64 v[36:37], v90 offset:224
	s_waitcnt vmcnt(31)
	ds_write_b32 v89, v64
	s_waitcnt vmcnt(30)
	ds_write_b32 v89, v65 offset:264
	s_waitcnt vmcnt(29)
	ds_write_b32 v89, v66 offset:528
	s_waitcnt vmcnt(28)
	ds_write_b32 v89, v67 offset:792
	s_waitcnt vmcnt(27)
	ds_write_b32 v89, v68 offset:1056
	s_waitcnt vmcnt(26)
	ds_write_b32 v89, v69 offset:1320
	s_waitcnt vmcnt(25)
	ds_write_b32 v89, v70 offset:1584
	s_waitcnt vmcnt(24)
	ds_write_b32 v89, v71 offset:1848
	;; [unrolled: 40-line block ×3, first 2 shown]
	s_waitcnt vmcnt(7)
	ds_write_b32 v89, v93 offset:2112
	s_waitcnt vmcnt(6)
	ds_write_b32 v89, v94 offset:2376
	;; [unrolled: 2-line block ×8, first 2 shown]
	ds_read_b64 v[84:85], v90
	ds_read_b64 v[82:83], v90 offset:32
	ds_read_b64 v[78:79], v90 offset:64
	;; [unrolled: 1-line block ×7, first 2 shown]
	s_andn2_b64 vcc, exec, s[34:35]
	v_mov_b32_e32 v18, 0
	s_cbranch_vccnz .LBB87_9
; %bb.7:                                ;   in Loop: Header=BB87_6 Depth=1
	s_load_dword vcc_lo, s[36:37], 0x0
	v_mov_b32_e32 v18, 0
	s_waitcnt lgkmcnt(0)
	s_mul_hi_u32 vcc_hi, vcc_lo, s16
	s_add_i32 vcc_hi, vcc_lo, vcc_hi
	s_lshr_b32 s86, vcc_hi, s17
	s_cmp_ge_i32 s86, s13
	s_cbranch_scc1 .LBB87_9
; %bb.8:                                ;   in Loop: Header=BB87_6 Depth=1
	s_mul_i32 vcc_hi, s86, s18
	s_sub_i32 vcc_lo, vcc_lo, vcc_hi
	s_mul_i32 vcc_lo, vcc_lo, s9
	s_mul_i32 s86, s86, s20
	s_add_i32 s86, s86, vcc_lo
	v_add_u32_e32 v92, s86, v88
	v_ashrrev_i32_e32 v93, 31, v92
	v_lshl_add_u64 v[92:93], v[92:93], 2, s[6:7]
	global_load_dword v18, v[92:93], off
.LBB87_9:                               ;   in Loop: Header=BB87_6 Depth=1
	s_andn2_b64 vcc, exec, s[38:39]
	v_mov_b32_e32 v91, 0
	v_mov_b32_e32 v92, 0
	s_cbranch_vccnz .LBB87_12
; %bb.10:                               ;   in Loop: Header=BB87_6 Depth=1
	s_load_dword vcc_lo, s[36:37], 0x4
	v_mov_b32_e32 v92, 0
	s_waitcnt lgkmcnt(0)
	s_mul_hi_u32 s86, vcc_lo, s16
	s_add_i32 s86, vcc_lo, s86
	s_lshr_b32 vcc_hi, s86, s17
	s_cmp_ge_i32 vcc_hi, s13
	s_cbranch_scc1 .LBB87_12
; %bb.11:                               ;   in Loop: Header=BB87_6 Depth=1
	s_mul_i32 s86, vcc_hi, s18
	s_sub_i32 s86, vcc_lo, s86
	s_mul_i32 s86, s86, s9
	s_mul_i32 vcc_lo, vcc_hi, s20
	s_add_i32 vcc_lo, vcc_lo, s86
	v_add_u32_e32 v92, vcc_lo, v88
	v_ashrrev_i32_e32 v93, 31, v92
	v_lshl_add_u64 v[92:93], v[92:93], 2, s[6:7]
	global_load_dword v92, v[92:93], off
.LBB87_12:                              ;   in Loop: Header=BB87_6 Depth=1
	s_andn2_b64 vcc, exec, s[40:41]
	s_cbranch_vccnz .LBB87_15
; %bb.13:                               ;   in Loop: Header=BB87_6 Depth=1
	s_load_dword vcc_lo, s[36:37], 0x8
	v_mov_b32_e32 v91, 0
	s_waitcnt lgkmcnt(0)
	s_mul_hi_u32 s86, vcc_lo, s16
	s_add_i32 s86, vcc_lo, s86
	s_lshr_b32 vcc_hi, s86, s17
	s_cmp_ge_i32 vcc_hi, s13
	s_cbranch_scc1 .LBB87_15
; %bb.14:                               ;   in Loop: Header=BB87_6 Depth=1
	s_mul_i32 s86, vcc_hi, s18
	s_sub_i32 s86, vcc_lo, s86
	s_mul_i32 s86, s86, s9
	s_mul_i32 vcc_lo, vcc_hi, s20
	s_add_i32 vcc_lo, vcc_lo, s86
	v_add_u32_e32 v94, vcc_lo, v88
	v_ashrrev_i32_e32 v95, 31, v94
	v_lshl_add_u64 v[94:95], v[94:95], 2, s[6:7]
	global_load_dword v91, v[94:95], off
.LBB87_15:                              ;   in Loop: Header=BB87_6 Depth=1
	s_andn2_b64 vcc, exec, s[42:43]
	v_mov_b32_e32 v93, 0
	v_mov_b32_e32 v94, 0
	s_cbranch_vccnz .LBB87_18
; %bb.16:                               ;   in Loop: Header=BB87_6 Depth=1
	s_load_dword vcc_lo, s[36:37], 0xc
	v_mov_b32_e32 v94, 0
	s_waitcnt lgkmcnt(0)
	s_mul_hi_u32 s86, vcc_lo, s16
	s_add_i32 s86, vcc_lo, s86
	s_lshr_b32 vcc_hi, s86, s17
	s_cmp_ge_i32 vcc_hi, s13
	s_cbranch_scc1 .LBB87_18
; %bb.17:                               ;   in Loop: Header=BB87_6 Depth=1
	s_mul_i32 s86, vcc_hi, s18
	s_sub_i32 s86, vcc_lo, s86
	s_mul_i32 s86, s86, s9
	s_mul_i32 vcc_lo, vcc_hi, s20
	s_add_i32 vcc_lo, vcc_lo, s86
	v_add_u32_e32 v94, vcc_lo, v88
	v_ashrrev_i32_e32 v95, 31, v94
	v_lshl_add_u64 v[94:95], v[94:95], 2, s[6:7]
	global_load_dword v94, v[94:95], off
.LBB87_18:                              ;   in Loop: Header=BB87_6 Depth=1
	s_andn2_b64 vcc, exec, s[44:45]
	s_cbranch_vccnz .LBB87_21
; %bb.19:                               ;   in Loop: Header=BB87_6 Depth=1
	s_load_dword vcc_lo, s[36:37], 0x10
	v_mov_b32_e32 v93, 0
	s_waitcnt lgkmcnt(0)
	s_mul_hi_u32 s86, vcc_lo, s16
	s_add_i32 s86, vcc_lo, s86
	s_lshr_b32 vcc_hi, s86, s17
	s_cmp_ge_i32 vcc_hi, s13
	s_cbranch_scc1 .LBB87_21
; %bb.20:                               ;   in Loop: Header=BB87_6 Depth=1
	s_mul_i32 s86, vcc_hi, s18
	s_sub_i32 s86, vcc_lo, s86
	s_mul_i32 s86, s86, s9
	s_mul_i32 vcc_lo, vcc_hi, s20
	s_add_i32 vcc_lo, vcc_lo, s86
	v_add_u32_e32 v96, vcc_lo, v88
	v_ashrrev_i32_e32 v97, 31, v96
	v_lshl_add_u64 v[96:97], v[96:97], 2, s[6:7]
	global_load_dword v93, v[96:97], off
.LBB87_21:                              ;   in Loop: Header=BB87_6 Depth=1
	;; [unrolled: 46-line block ×6, first 2 shown]
	s_andn2_b64 vcc, exec, s[62:63]
	v_mov_b32_e32 v103, 0
	s_cbranch_vccnz .LBB87_5
; %bb.46:                               ;   in Loop: Header=BB87_6 Depth=1
	s_load_dword vcc_lo, s[36:37], 0x34
	v_mov_b32_e32 v103, 0
	s_waitcnt lgkmcnt(0)
	s_mul_hi_u32 s86, vcc_lo, s16
	s_add_i32 s86, vcc_lo, s86
	s_lshr_b32 vcc_hi, s86, s17
	s_cmp_ge_i32 vcc_hi, s13
	s_cbranch_scc1 .LBB87_5
; %bb.47:                               ;   in Loop: Header=BB87_6 Depth=1
	s_mul_i32 s86, vcc_hi, s18
	s_sub_i32 s86, vcc_lo, s86
	s_mul_i32 s86, s86, s9
	s_mul_i32 vcc_lo, vcc_hi, s20
	s_add_i32 vcc_lo, vcc_lo, s86
	v_add_u32_e32 v104, vcc_lo, v88
	v_ashrrev_i32_e32 v105, 31, v104
	v_lshl_add_u64 v[104:105], v[104:105], 2, s[6:7]
	global_load_dword v103, v[104:105], off
	s_branch .LBB87_5
.LBB87_48:
	s_or_b64 exec, exec, s[4:5]
	v_readlane_b32 s24, v106, 6
	v_readlane_b32 s26, v106, 9
	;; [unrolled: 1-line block ×9, first 2 shown]
.LBB87_49:
	s_or_b64 exec, exec, s[28:29]
	v_mul_u32_u24_e32 v18, 0x508, v87
	v_lshlrev_b32_e32 v19, 2, v86
	v_add3_u32 v18, 0, v18, v19
	v_and_b32_e32 v19, 0x3f0, v17
	v_add_u32_e32 v19, v18, v19
	s_lshl_b64 s[0:1], s[26:27], 2
	s_barrier
	ds_write2_b32 v19, v8, v9 offset1:1
	ds_write_b32 v19, v10 offset:8
	v_or_b32_e32 v8, 12, v17
	s_add_u32 s4, s22, s0
	v_and_b32_e32 v8, 0x3fc, v8
	s_addc_u32 s5, s23, s1
	v_add_u32_e32 v8, v18, v8
	ds_write_b32 v8, v11
	ds_write2_b32 v19, v4, v5 offset0:16 offset1:17
	ds_write_b32 v19, v6 offset:72
	ds_write_b32 v8, v7 offset:64
	ds_write2_b32 v19, v0, v1 offset0:32 offset1:33
	ds_write_b32 v19, v2 offset:136
	ds_write_b32 v8, v3 offset:128
	;; [unrolled: 3-line block ×3, first 2 shown]
	s_cmp_gt_i32 s14, 0
	v_add_u32_e32 v0, s2, v16
	s_cselect_b64 s[6:7], -1, 0
	v_cmp_gt_i32_e64 s[0:1], s33, v0
	v_cmp_gt_u32_e32 vcc, 14, v16
	s_and_b64 s[0:1], s[6:7], s[0:1]
	v_lshl_add_u32 v3, v17, 2, 0
	v_add_u32_e32 v2, s11, v17
	v_mul_u32_u24_e32 v4, 0x508, v16
	s_and_b64 s[8:9], vcc, s[0:1]
	s_waitcnt lgkmcnt(0)
	s_barrier
	s_and_saveexec_b64 s[0:1], s[8:9]
	s_cbranch_execz .LBB87_52
; %bb.50:
	v_ashrrev_i32_e32 v1, 31, v0
	v_lshl_add_u64 v[6:7], v[0:1], 2, s[4:5]
	global_load_dword v5, v[6:7], off
	s_waitcnt vmcnt(0)
	v_mul_hi_u32 v1, v5, s19
	v_add_u32_e32 v1, v5, v1
	v_lshrrev_b32_e32 v1, s24, v1
	v_cmp_gt_i32_e32 vcc, s13, v1
	s_and_b64 exec, exec, vcc
	s_cbranch_execz .LBB87_52
; %bb.51:
	v_add_u32_e32 v10, v3, v4
	ds_read2st64_b32 v[6:7], v10 offset1:1
	ds_read2st64_b32 v[8:9], v10 offset0:2 offset1:3
	ds_read_b32 v10, v10 offset:1024
	v_mul_lo_u32 v11, v1, s25
	v_sub_u32_e32 v5, v5, v11
	v_mul_lo_u32 v5, v5, s10
	s_waitcnt lgkmcnt(2)
	v_add_f32_e32 v6, 0, v6
	v_add_f32_e32 v6, v6, v7
	s_waitcnt lgkmcnt(1)
	v_add_f32_e32 v6, v6, v8
	v_add_f32_e32 v6, v6, v9
	v_mul_lo_u32 v1, v1, s21
	v_readlane_b32 s8, v106, 0
	s_waitcnt lgkmcnt(0)
	v_add_f32_e32 v8, v6, v10
	v_add3_u32 v6, v2, v1, v5
	v_mov_b32_e32 v7, 0
	v_readlane_b32 s9, v106, 1
	s_nop 1
	v_lshl_add_u64 v[6:7], v[6:7], 2, s[8:9]
	global_store_dword v[6:7], v8, off
.LBB87_52:
	s_or_b64 exec, exec, s[0:1]
	v_add_u32_e32 v1, 5, v0
	v_cmp_gt_i32_e64 s[0:1], s33, v1
	v_cmp_gt_u32_e32 vcc, 9, v16
	s_and_b64 s[0:1], s[6:7], s[0:1]
	s_and_b64 s[8:9], vcc, s[0:1]
	s_and_saveexec_b64 s[0:1], s[8:9]
	s_cbranch_execz .LBB87_55
; %bb.53:
	s_ashr_i32 s3, s2, 31
	v_mov_b32_e32 v17, 0
	v_lshl_add_u64 v[6:7], v[16:17], 0, s[2:3]
	v_lshl_add_u64 v[6:7], v[6:7], 2, s[4:5]
	global_load_dword v5, v[6:7], off offset:20
	s_waitcnt vmcnt(0)
	v_mul_hi_u32 v1, v5, s19
	v_add_u32_e32 v1, v5, v1
	v_lshrrev_b32_e32 v1, s24, v1
	v_cmp_gt_i32_e32 vcc, s13, v1
	s_and_b64 exec, exec, vcc
	s_cbranch_execz .LBB87_55
; %bb.54:
	v_add_u32_e32 v10, v4, v3
	v_add_u32_e32 v8, 40, v10
	ds_read2st64_b32 v[6:7], v8 offset0:25 offset1:26
	ds_read2st64_b32 v[8:9], v8 offset0:27 offset1:28
	ds_read_b32 v10, v10 offset:7464
	v_mul_lo_u32 v11, v1, s25
	v_sub_u32_e32 v5, v5, v11
	v_mul_lo_u32 v5, v5, s10
	s_waitcnt lgkmcnt(2)
	v_add_f32_e32 v6, 0, v6
	v_add_f32_e32 v6, v6, v7
	s_waitcnt lgkmcnt(1)
	v_add_f32_e32 v6, v6, v8
	v_add_f32_e32 v6, v6, v9
	v_mul_lo_u32 v1, v1, s21
	v_readlane_b32 s8, v106, 0
	s_waitcnt lgkmcnt(0)
	v_add_f32_e32 v8, v6, v10
	v_add3_u32 v6, v2, v1, v5
	v_mov_b32_e32 v7, v17
	v_readlane_b32 s9, v106, 1
	s_nop 1
	v_lshl_add_u64 v[6:7], v[6:7], 2, s[8:9]
	global_store_dword v[6:7], v8, off
.LBB87_55:
	s_or_b64 exec, exec, s[0:1]
	v_cmp_gt_u32_e32 vcc, 4, v16
	s_and_saveexec_b64 s[0:1], vcc
	s_cbranch_execz .LBB87_59
; %bb.56:
	v_add_u32_e32 v0, 10, v0
	v_cmp_gt_i32_e32 vcc, s33, v0
	s_and_b64 s[0:1], s[6:7], vcc
	s_and_b64 exec, exec, s[0:1]
	s_cbranch_execz .LBB87_59
; %bb.57:
	s_ashr_i32 s3, s2, 31
	v_mov_b32_e32 v17, 0
	v_lshl_add_u64 v[0:1], v[16:17], 0, s[2:3]
	v_lshl_add_u64 v[0:1], v[0:1], 2, s[4:5]
	global_load_dword v1, v[0:1], off offset:40
	s_waitcnt vmcnt(0)
	v_mul_hi_u32 v0, v1, s19
	v_add_u32_e32 v0, v1, v0
	v_lshrrev_b32_e32 v0, s24, v0
	v_cmp_gt_i32_e32 vcc, s13, v0
	s_and_b64 exec, exec, vcc
	s_cbranch_execz .LBB87_59
; %bb.58:
	v_add_u32_e32 v3, v3, v4
	v_add_u32_e32 v6, 0x50, v3
	ds_read2st64_b32 v[4:5], v6 offset0:50 offset1:51
	ds_read2st64_b32 v[6:7], v6 offset0:52 offset1:53
	ds_read_b32 v3, v3 offset:13904
	v_mul_lo_u32 v8, v0, s25
	v_sub_u32_e32 v1, v1, v8
	v_mul_lo_u32 v1, v1, s10
	s_waitcnt lgkmcnt(2)
	v_add_f32_e32 v4, 0, v4
	v_add_f32_e32 v4, v4, v5
	s_waitcnt lgkmcnt(1)
	v_add_f32_e32 v4, v4, v6
	v_mul_lo_u32 v0, v0, s21
	v_readlane_b32 s0, v106, 0
	v_add_f32_e32 v4, v4, v7
	v_add3_u32 v16, v2, v0, v1
	v_readlane_b32 s1, v106, 1
	s_waitcnt lgkmcnt(0)
	v_add_f32_e32 v3, v4, v3
	v_lshl_add_u64 v[0:1], v[16:17], 2, s[0:1]
	global_store_dword v[0:1], v3, off
.LBB87_59:
	s_endpgm
	.section	.rodata,"a",@progbits
	.p2align	6, 0x0
	.amdhsa_kernel _ZL13mul_mat_f_idsIfLi64ELi14ELi5EEvPKT_PKfPKiS6_S6_Pfiiiiiiiiiiiiii15HIP_vector_typeIjLj3EES9_
		.amdhsa_group_segment_fixed_size 0
		.amdhsa_private_segment_fixed_size 0
		.amdhsa_kernarg_size 128
		.amdhsa_user_sgpr_count 2
		.amdhsa_user_sgpr_dispatch_ptr 0
		.amdhsa_user_sgpr_queue_ptr 0
		.amdhsa_user_sgpr_kernarg_segment_ptr 1
		.amdhsa_user_sgpr_dispatch_id 0
		.amdhsa_user_sgpr_kernarg_preload_length 0
		.amdhsa_user_sgpr_kernarg_preload_offset 0
		.amdhsa_user_sgpr_private_segment_size 0
		.amdhsa_uses_dynamic_stack 0
		.amdhsa_enable_private_segment 0
		.amdhsa_system_sgpr_workgroup_id_x 1
		.amdhsa_system_sgpr_workgroup_id_y 1
		.amdhsa_system_sgpr_workgroup_id_z 1
		.amdhsa_system_sgpr_workgroup_info 0
		.amdhsa_system_vgpr_workitem_id 1
		.amdhsa_next_free_vgpr 107
		.amdhsa_next_free_sgpr 100
		.amdhsa_accum_offset 108
		.amdhsa_reserve_vcc 1
		.amdhsa_float_round_mode_32 0
		.amdhsa_float_round_mode_16_64 0
		.amdhsa_float_denorm_mode_32 3
		.amdhsa_float_denorm_mode_16_64 3
		.amdhsa_dx10_clamp 1
		.amdhsa_ieee_mode 1
		.amdhsa_fp16_overflow 0
		.amdhsa_tg_split 0
		.amdhsa_exception_fp_ieee_invalid_op 0
		.amdhsa_exception_fp_denorm_src 0
		.amdhsa_exception_fp_ieee_div_zero 0
		.amdhsa_exception_fp_ieee_overflow 0
		.amdhsa_exception_fp_ieee_underflow 0
		.amdhsa_exception_fp_ieee_inexact 0
		.amdhsa_exception_int_div_zero 0
	.end_amdhsa_kernel
	.section	.text._ZL13mul_mat_f_idsIfLi64ELi14ELi5EEvPKT_PKfPKiS6_S6_Pfiiiiiiiiiiiiii15HIP_vector_typeIjLj3EES9_,"axG",@progbits,_ZL13mul_mat_f_idsIfLi64ELi14ELi5EEvPKT_PKfPKiS6_S6_Pfiiiiiiiiiiiiii15HIP_vector_typeIjLj3EES9_,comdat
.Lfunc_end87:
	.size	_ZL13mul_mat_f_idsIfLi64ELi14ELi5EEvPKT_PKfPKiS6_S6_Pfiiiiiiiiiiiiii15HIP_vector_typeIjLj3EES9_, .Lfunc_end87-_ZL13mul_mat_f_idsIfLi64ELi14ELi5EEvPKT_PKfPKiS6_S6_Pfiiiiiiiiiiiiii15HIP_vector_typeIjLj3EES9_
                                        ; -- End function
	.section	.AMDGPU.csdata,"",@progbits
; Kernel info:
; codeLenInByte = 6564
; NumSgprs: 106
; NumVgprs: 107
; NumAgprs: 0
; TotalNumVgprs: 107
; ScratchSize: 0
; MemoryBound: 0
; FloatMode: 240
; IeeeMode: 1
; LDSByteSize: 0 bytes/workgroup (compile time only)
; SGPRBlocks: 13
; VGPRBlocks: 13
; NumSGPRsForWavesPerEU: 106
; NumVGPRsForWavesPerEU: 107
; AccumOffset: 108
; Occupancy: 4
; WaveLimiterHint : 1
; COMPUTE_PGM_RSRC2:SCRATCH_EN: 0
; COMPUTE_PGM_RSRC2:USER_SGPR: 2
; COMPUTE_PGM_RSRC2:TRAP_HANDLER: 0
; COMPUTE_PGM_RSRC2:TGID_X_EN: 1
; COMPUTE_PGM_RSRC2:TGID_Y_EN: 1
; COMPUTE_PGM_RSRC2:TGID_Z_EN: 1
; COMPUTE_PGM_RSRC2:TIDIG_COMP_CNT: 1
; COMPUTE_PGM_RSRC3_GFX90A:ACCUM_OFFSET: 26
; COMPUTE_PGM_RSRC3_GFX90A:TG_SPLIT: 0
	.section	.text._ZL9mul_mat_fIfLi64ELi14ELi5ELb1EEvPKT_PKfPKiPfiiiiiiiiiiiiiiii,"axG",@progbits,_ZL9mul_mat_fIfLi64ELi14ELi5ELb1EEvPKT_PKfPKiPfiiiiiiiiiiiiiiii,comdat
	.globl	_ZL9mul_mat_fIfLi64ELi14ELi5ELb1EEvPKT_PKfPKiPfiiiiiiiiiiiiiiii ; -- Begin function _ZL9mul_mat_fIfLi64ELi14ELi5ELb1EEvPKT_PKfPKiPfiiiiiiiiiiiiiiii
	.p2align	8
	.type	_ZL9mul_mat_fIfLi64ELi14ELi5ELb1EEvPKT_PKfPKiPfiiiiiiiiiiiiiiii,@function
_ZL9mul_mat_fIfLi64ELi14ELi5ELb1EEvPKT_PKfPKiPfiiiiiiiiiiiiiiii: ; @_ZL9mul_mat_fIfLi64ELi14ELi5ELb1EEvPKT_PKfPKiPfiiiiiiiiiiiiiiii
; %bb.0:
	s_load_dwordx8 s[44:51], s[0:1], 0x20
	s_load_dword s7, s[0:1], 0x64
	s_load_dwordx4 s[52:55], s[0:1], 0x44
	s_load_dwordx2 s[8:9], s[0:1], 0x10
	v_and_b32_e32 v16, 0x3ff, v0
	v_bfe_u32 v17, v0, 10, 10
	s_waitcnt lgkmcnt(0)
	s_add_i32 s6, s45, 13
	s_mul_hi_i32 s5, s6, 0x92492493
	s_add_i32 s5, s5, s6
	s_lshr_b32 s6, s5, 31
	s_ashr_i32 s5, s5, 3
	s_add_i32 s5, s5, s6
	v_cvt_f32_u32_e32 v1, s5
	s_add_u32 s12, s0, 0x60
	s_addc_u32 s13, s1, 0
	s_sub_i32 s6, 0, s5
	v_rcp_iflag_f32_e32 v1, v1
	s_abs_i32 s22, s55
	v_mul_f32_e32 v1, 0x4f7ffffe, v1
	v_cvt_u32_f32_e32 v1, v1
	v_mul_lo_u32 v2, s6, v1
	v_mul_hi_u32 v2, v1, v2
	v_add_u32_e32 v1, v1, v2
	v_mul_hi_u32 v1, s7, v1
	v_mul_lo_u32 v2, v1, s5
	v_sub_u32_e32 v2, s7, v2
	v_add_u32_e32 v3, 1, v1
	v_subrev_u32_e32 v4, s5, v2
	v_cmp_le_u32_e32 vcc, s5, v2
	s_nop 1
	v_cndmask_b32_e32 v1, v1, v3, vcc
	v_cndmask_b32_e32 v2, v2, v4, vcc
	v_add_u32_e32 v3, 1, v1
	v_cmp_le_u32_e32 vcc, s5, v2
	s_nop 1
	v_cndmask_b32_e32 v1, v1, v3, vcc
	v_cvt_f32_u32_e32 v2, v1
	v_cvt_f32_u32_e32 v3, s22
	v_sub_u32_e32 v4, 0, v1
	v_cmp_eq_u32_e32 vcc, 0, v16
	v_rcp_iflag_f32_e32 v2, v2
	v_rcp_iflag_f32_e32 v3, v3
	v_mul_f32_e32 v2, 0x4f7ffffe, v2
	v_cvt_u32_f32_e32 v2, v2
	v_mul_lo_u32 v4, v4, v2
	v_mul_hi_u32 v4, v2, v4
	v_add_u32_e32 v2, v2, v4
	v_mul_hi_u32 v2, s3, v2
	s_and_saveexec_b64 s[6:7], vcc
	s_cbranch_execz .LBB88_2
; %bb.1:
	v_mov_b32_e32 v4, 0x100
	v_lshl_add_u32 v4, v17, 2, v4
	v_mov_b32_e32 v5, -1
	ds_write_b32 v4, v5
.LBB88_2:
	s_or_b64 exec, exec, s[6:7]
	v_mul_f32_e32 v8, 0x4f7ffffe, v3
	v_mul_lo_u32 v3, v2, v1
	v_sub_u32_e32 v3, s3, v3
	v_add_u32_e32 v4, 1, v2
	v_sub_u32_e32 v5, v3, v1
	v_cmp_ge_u32_e64 s[6:7], v3, v1
	s_nop 1
	v_cndmask_b32_e64 v2, v2, v4, s[6:7]
	v_cndmask_b32_e64 v3, v3, v5, s[6:7]
	v_add_u32_e32 v4, 1, v2
	v_cmp_ge_u32_e64 s[6:7], v3, v1
	s_nop 1
	v_cndmask_b32_e64 v2, v2, v4, s[6:7]
	v_mul_lo_u32 v90, v2, 14
	v_mul_lo_u32 v1, v2, v1
	v_mul_hi_i32 v3, v90, s51
	v_mul_lo_u32 v2, v90, s51
	v_sub_u32_e32 v18, s3, v1
	v_lshlrev_b64 v[2:3], 2, v[2:3]
	v_add_u32_e32 v1, v17, v90
	v_lshl_add_u64 v[2:3], s[8:9], 0, v[2:3]
	v_cmp_gt_i32_e64 s[6:7], s46, v16
	v_cmp_gt_i32_e64 s[24:25], s45, v1
	v_mov_b32_e32 v1, 0
	s_and_saveexec_b64 s[14:15], s[24:25]
	s_cbranch_execz .LBB88_10
; %bb.3:
	v_mov_b32_e32 v1, 0
	s_and_saveexec_b64 s[16:17], s[6:7]
	s_cbranch_execz .LBB88_9
; %bb.4:
	v_mul_lo_u32 v4, v17, s51
	v_ashrrev_i32_e32 v5, 31, v4
	v_mov_b32_e32 v1, 0x100
	v_lshl_add_u64 v[4:5], v[4:5], 2, v[2:3]
	v_lshl_add_u32 v9, v17, 2, v1
	v_mul_lo_u32 v6, v16, s50
	s_lshl_b32 s3, s50, 6
	s_mov_b64 s[18:19], 0
	v_mov_b32_e32 v1, 0
	v_mov_b32_e32 v10, v16
	s_branch .LBB88_6
.LBB88_5:                               ;   in Loop: Header=BB88_6 Depth=1
	s_or_b64 exec, exec, s[20:21]
	v_add_u32_e32 v10, 64, v10
	v_cmp_le_i32_e64 s[10:11], s46, v10
	s_xor_b64 s[8:9], s[8:9], -1
	s_or_b64 s[8:9], s[8:9], s[10:11]
	s_and_b64 s[8:9], exec, s[8:9]
	s_or_b64 s[18:19], s[8:9], s[18:19]
	v_add_u32_e32 v6, s3, v6
	s_andn2_b64 exec, exec, s[18:19]
	s_cbranch_execz .LBB88_8
.LBB88_6:                               ; =>This Inner Loop Header: Depth=1
	v_ashrrev_i32_e32 v7, 31, v6
	v_lshl_add_u64 v[12:13], v[6:7], 2, v[4:5]
	global_load_dword v7, v[12:13], off
	s_waitcnt vmcnt(0)
	v_cmp_ne_u32_e64 s[8:9], v7, v18
	v_cmp_eq_u32_e64 s[10:11], v7, v18
	s_and_saveexec_b64 s[20:21], s[10:11]
	s_cbranch_execz .LBB88_5
; %bb.7:                                ;   in Loop: Header=BB88_6 Depth=1
	v_mov_b32_e32 v1, 1
	ds_write_b32 v9, v10
	s_branch .LBB88_5
.LBB88_8:
	s_or_b64 exec, exec, s[18:19]
.LBB88_9:
	s_or_b64 exec, exec, s[16:17]
.LBB88_10:
	s_or_b64 exec, exec, s[14:15]
	v_cvt_u32_f32_e32 v8, v8
	s_sub_i32 s3, 0, s22
	s_and_saveexec_b64 s[8:9], vcc
	s_cbranch_execz .LBB88_12
; %bb.11:
	v_mov_b32_e32 v4, 0x100
	v_lshl_add_u32 v4, v17, 2, v4
	v_mov_b32_e32 v5, -1
	ds_write_b32 v4, v5 offset:20
.LBB88_12:
	s_or_b64 exec, exec, s[8:9]
	v_add_u32_e32 v91, 5, v17
	v_mul_lo_u32 v9, s3, v8
	v_add_u32_e32 v4, v91, v90
	v_cmp_gt_i32_e64 s[8:9], s45, v4
	s_mov_b64 s[14:15], exec
                                        ; implicit-def: $vgpr109 : SGPR spill to VGPR lane
	s_nop 0
	v_writelane_b32 v109, s8, 0
	s_nop 1
	v_writelane_b32 v109, s9, 1
	s_and_b64 s[8:9], s[14:15], s[8:9]
	s_mov_b64 exec, s[8:9]
	s_cbranch_execz .LBB88_20
; %bb.13:
	s_and_saveexec_b64 s[16:17], s[6:7]
	s_cbranch_execz .LBB88_19
; %bb.14:
	v_mul_lo_u32 v4, v91, s51
	v_ashrrev_i32_e32 v5, 31, v4
	v_mov_b32_e32 v6, 0x100
	v_lshl_add_u64 v[4:5], v[4:5], 2, v[2:3]
	v_lshl_add_u32 v10, v17, 2, v6
	v_mul_lo_u32 v6, v16, s50
	s_lshl_b32 s3, s50, 6
	s_mov_b64 s[18:19], 0
	v_mov_b32_e32 v11, v16
	s_branch .LBB88_16
.LBB88_15:                              ;   in Loop: Header=BB88_16 Depth=1
	s_or_b64 exec, exec, s[20:21]
	v_add_u32_e32 v11, 64, v11
	v_cmp_le_i32_e64 s[10:11], s46, v11
	s_xor_b64 s[8:9], s[8:9], -1
	s_or_b64 s[8:9], s[8:9], s[10:11]
	s_and_b64 s[8:9], exec, s[8:9]
	s_or_b64 s[18:19], s[8:9], s[18:19]
	v_add_u32_e32 v6, s3, v6
	s_andn2_b64 exec, exec, s[18:19]
	s_cbranch_execz .LBB88_18
.LBB88_16:                              ; =>This Inner Loop Header: Depth=1
	v_ashrrev_i32_e32 v7, 31, v6
	v_lshl_add_u64 v[12:13], v[6:7], 2, v[4:5]
	global_load_dword v7, v[12:13], off
	s_waitcnt vmcnt(0)
	v_cmp_ne_u32_e64 s[8:9], v7, v18
	v_cmp_eq_u32_e64 s[10:11], v7, v18
	s_and_saveexec_b64 s[20:21], s[10:11]
	s_cbranch_execz .LBB88_15
; %bb.17:                               ;   in Loop: Header=BB88_16 Depth=1
	v_mov_b32_e32 v1, 1
	ds_write_b32 v10, v11 offset:20
	s_branch .LBB88_15
.LBB88_18:
	s_or_b64 exec, exec, s[18:19]
.LBB88_19:
	s_or_b64 exec, exec, s[16:17]
.LBB88_20:
	s_or_b64 exec, exec, s[14:15]
	v_mul_hi_u32 v4, v8, v9
	s_and_saveexec_b64 s[8:9], vcc
	s_cbranch_execz .LBB88_22
; %bb.21:
	v_mov_b32_e32 v5, 0x100
	v_lshl_add_u32 v5, v17, 2, v5
	v_mov_b32_e32 v6, -1
	ds_write_b32 v5, v6 offset:40
.LBB88_22:
	s_or_b64 exec, exec, s[8:9]
	s_load_dwordx4 s[28:31], s[0:1], 0x54
	v_add_u32_e32 v92, 10, v17
	s_abs_i32 s3, s4
	v_add_u32_e32 v6, v8, v4
	v_add_u32_e32 v4, v92, v90
	v_cmp_gt_i32_e64 s[10:11], s45, v4
	s_mov_b64 s[8:9], exec
	s_nop 0
	v_writelane_b32 v109, s10, 2
	s_nop 1
	v_writelane_b32 v109, s11, 3
	s_and_b64 s[10:11], s[8:9], s[10:11]
	s_mov_b64 exec, s[10:11]
	s_cbranch_execz .LBB88_30
; %bb.23:
	s_and_saveexec_b64 s[10:11], s[6:7]
	s_cbranch_execz .LBB88_29
; %bb.24:
	v_mul_lo_u32 v4, v92, s51
	v_ashrrev_i32_e32 v5, 31, v4
	v_lshl_add_u64 v[2:3], v[4:5], 2, v[2:3]
	v_mov_b32_e32 v4, 0x100
	v_lshl_add_u32 v7, v17, 2, v4
	v_mul_lo_u32 v4, v16, s50
	s_lshl_b32 s5, s50, 6
	s_mov_b64 s[14:15], 0
	v_mov_b32_e32 v8, v16
	s_branch .LBB88_26
.LBB88_25:                              ;   in Loop: Header=BB88_26 Depth=1
	s_or_b64 exec, exec, s[16:17]
	v_add_u32_e32 v8, 64, v8
	v_cmp_le_i32_e64 s[6:7], s46, v8
	s_xor_b64 s[16:17], vcc, -1
	s_or_b64 s[6:7], s[16:17], s[6:7]
	s_and_b64 s[6:7], exec, s[6:7]
	s_or_b64 s[14:15], s[6:7], s[14:15]
	v_add_u32_e32 v4, s5, v4
	s_andn2_b64 exec, exec, s[14:15]
	s_cbranch_execz .LBB88_28
.LBB88_26:                              ; =>This Inner Loop Header: Depth=1
	v_ashrrev_i32_e32 v5, 31, v4
	v_lshl_add_u64 v[10:11], v[4:5], 2, v[2:3]
	global_load_dword v5, v[10:11], off
	s_waitcnt vmcnt(0)
	v_cmp_ne_u32_e32 vcc, v5, v18
	v_cmp_eq_u32_e64 s[6:7], v5, v18
	s_and_saveexec_b64 s[16:17], s[6:7]
	s_cbranch_execz .LBB88_25
; %bb.27:                               ;   in Loop: Header=BB88_26 Depth=1
	v_mov_b32_e32 v1, 1
	ds_write_b32 v7, v8 offset:40
	s_branch .LBB88_25
.LBB88_28:
	s_or_b64 exec, exec, s[14:15]
.LBB88_29:
	s_or_b64 exec, exec, s[10:11]
.LBB88_30:
	s_or_b64 exec, exec, s[8:9]
	s_load_dwordx2 s[6:7], s[12:13], 0xc
	s_load_dwordx2 s[8:9], s[0:1], 0x8
	s_load_dwordx2 s[10:11], s[0:1], 0x18
	v_cmp_ne_u32_e32 vcc, 0, v1
	v_mul_hi_u32 v19, s3, v6
	s_waitcnt lgkmcnt(0)
	s_and_b32 s5, s7, 0xffff
	v_cndmask_b32_e64 v1, 0, 1, vcc
	v_writelane_b32 v109, s10, 4
	s_lshr_b32 s7, s6, 16
	v_or_b32_dpp v1, v1, v1 row_shl:1 row_mask:0xf bank_mask:0xf bound_ctrl:1
	s_and_b32 s6, s6, 0xffff
	v_writelane_b32 v109, s11, 5
	v_or_b32_dpp v1, v1, v1 row_shl:2 row_mask:0xf bank_mask:0xf bound_ctrl:1
	s_mul_i32 s10, s7, s6
	s_bfe_i32 s10, s10, 0x180000
	v_or_b32_dpp v1, v1, v1 row_shl:4 row_mask:0xf bank_mask:0xf bound_ctrl:1
	s_mul_i32 s5, s10, s5
	s_add_i32 s10, s5, 63
	v_or_b32_dpp v1, v1, v1 row_shl:8 row_mask:0xf bank_mask:0xf bound_ctrl:1
	s_bitcmp1_b32 exec_hi, 0
                                        ; kill: killed $sgpr12 killed $sgpr13
	s_nop 0
	v_mov_b32_dpp v2, v1 wave_shl:1 row_mask:0xf bank_mask:0xf bound_ctrl:1
	s_nop 1
	v_or_b32_dpp v1, v2, v1 row_mirror row_mask:0xf bank_mask:0xf bound_ctrl:1
	s_nop 0
	v_readlane_b32 s5, v1, 32
	s_cselect_b32 s5, s5, 0
	v_readlane_b32 s11, v1, 0
	s_or_b32 s5, s5, s11
	s_andn2_b32 s10, s10, 63
	s_cmp_lg_u32 s10, 64
	v_mov_b32_e32 v1, s5
	s_cbranch_scc0 .LBB88_37
; %bb.31:
	v_bfe_u32 v0, v0, 20, 10
	v_mbcnt_lo_u32_b32 v1, -1, 0
	v_mad_u32_u24 v0, v0, s7, v17
	v_mbcnt_hi_u32_b32 v2, -1, v1
	v_mad_u64_u32 v[0:1], s[6:7], v0, s6, v[16:17]
	v_lshrrev_b32_e32 v1, 6, v0
	v_or_b32_e32 v1, v2, v1
	v_cmp_eq_u32_e32 vcc, 0, v1
	s_and_saveexec_b64 s[6:7], vcc
	s_cbranch_execz .LBB88_33
; %bb.32:
	v_mov_b32_e32 v1, 0
	v_mov_b32_e32 v3, s5
	ds_write_b32 v1, v3
.LBB88_33:
	s_or_b64 exec, exec, s[6:7]
	v_cmp_eq_u32_e32 vcc, 0, v2
	v_cmp_lt_u32_e64 s[6:7], 63, v0
	s_and_b64 s[10:11], s[6:7], vcc
	s_waitcnt lgkmcnt(0)
	s_barrier
	s_and_saveexec_b64 s[6:7], s[10:11]
	s_cbranch_execz .LBB88_36
; %bb.34:
	v_mbcnt_lo_u32_b32 v0, exec_lo, 0
	v_mbcnt_hi_u32_b32 v0, exec_hi, v0
	v_cmp_eq_u32_e32 vcc, 0, v0
	s_and_b64 exec, exec, vcc
	s_cbranch_execz .LBB88_36
; %bb.35:
	v_mov_b32_e32 v0, 0
	v_mov_b32_e32 v1, s5
	ds_or_b32 v0, v1
.LBB88_36:
	s_or_b64 exec, exec, s[6:7]
	v_mov_b32_e32 v0, 0
	s_waitcnt lgkmcnt(0)
	s_barrier
	ds_read_b32 v1, v0
	s_waitcnt lgkmcnt(0)
	s_barrier
.LBB88_37:
	s_load_dwordx2 s[6:7], s[0:1], 0x0
	v_cmp_ne_u32_e32 vcc, 0, v1
	s_ashr_i32 s5, s4, 31
	s_ashr_i32 s10, s55, 31
	s_cbranch_vccz .LBB88_111
; %bb.38:
	v_lshlrev_b32_e32 v93, 6, v17
	v_add_u32_e32 v95, v93, v16
	v_cmp_le_i32_e32 vcc, s44, v95
	v_and_b32_e32 v94, 15, v16
                                        ; implicit-def: $sgpr11
	s_and_saveexec_b64 s[0:1], vcc
	s_xor_b64 s[0:1], exec, s[0:1]
; %bb.39:
	v_and_b32_e32 v94, 15, v16
	s_mov_b32 s11, 0
                                        ; implicit-def: $vgpr95
                                        ; implicit-def: $vgpr19
                                        ; implicit-def: $vgpr18
; %bb.40:
	s_or_saveexec_b64 s[0:1], s[0:1]
	s_lshl_b32 s12, s2, 6
	v_mov_b32_e32 v11, s11
	v_mov_b32_e32 v10, s11
	;; [unrolled: 1-line block ×16, first 2 shown]
	v_writelane_b32 v109, s0, 6
	s_nop 1
	v_writelane_b32 v109, s1, 7
	s_xor_b64 exec, exec, s[0:1]
	s_cbranch_execz .LBB88_100
; %bb.41:
	v_mul_lo_u32 v0, v19, s22
	v_sub_u32_e32 v0, s3, v0
	v_add_u32_e32 v1, 1, v19
	v_subrev_u32_e32 v2, s22, v0
	v_cmp_le_u32_e32 vcc, s22, v0
	s_xor_b32 s0, s5, s10
	v_writelane_b32 v109, s24, 8
	v_cndmask_b32_e32 v1, v19, v1, vcc
	v_cndmask_b32_e32 v0, v0, v2, vcc
	v_add_u32_e32 v2, 1, v1
	v_cmp_le_u32_e32 vcc, s22, v0
	v_writelane_b32 v109, s25, 9
	v_writelane_b32 v109, s12, 10
	v_cndmask_b32_e32 v0, v1, v2, vcc
	v_xor_b32_e32 v0, s0, v0
	v_subrev_u32_e32 v0, s0, v0
	v_mul_hi_i32 v1, v0, s28
	v_mul_lo_u32 v0, v0, s28
	v_mul_lo_u32 v2, v18, s52
	v_ashrrev_i32_e32 v3, 31, v2
	s_mul_i32 s0, s12, s47
	v_lshlrev_b64 v[0:1], 2, v[0:1]
	s_movk_i32 s2, 0x1080
	v_mov_b32_e32 v96, 0x100
	v_writelane_b32 v109, s4, 11
	s_waitcnt lgkmcnt(0)
	v_lshl_add_u64 v[4:5], s[6:7], 0, v[0:1]
	v_lshlrev_b64 v[2:3], 2, v[2:3]
	s_ashr_i32 s1, s0, 31
	v_mad_u32_u24 v6, v17, s2, v96
	s_mul_hi_i32 s3, s29, s4
	v_writelane_b32 v109, s28, 12
	s_mul_i32 s2, s29, s4
	v_lshl_add_u64 v[4:5], v[4:5], 0, v[2:3]
	s_lshl_b64 s[0:1], s[0:1], 2
	s_lshl_b64 s[2:3], s[2:3], 2
	v_lshl_add_u64 v[18:19], v[4:5], 0, s[0:1]
	v_writelane_b32 v109, s29, 13
	v_mul_hi_i32 v5, v90, s48
	v_mul_lo_u32 v4, v90, s48
	s_add_u32 s2, s8, s2
	v_writelane_b32 v109, s30, 14
	s_addc_u32 s3, s9, s3
	v_lshlrev_b64 v[4:5], 2, v[4:5]
	v_writelane_b32 v109, s31, 15
	v_lshl_add_u64 v[20:21], s[2:3], 0, v[4:5]
	s_lshl_b32 s2, s48, 2
	v_writelane_b32 v109, s2, 16
	s_lshl_b32 s2, s48, 3
	v_writelane_b32 v109, s2, 17
	v_lshl_add_u64 v[0:1], v[0:1], 0, s[0:1]
	s_mul_i32 s0, s47, 3
	v_lshrrev_b32_e32 v5, 1, v16
	v_lshl_add_u64 v[0:1], v[0:1], 0, v[2:3]
	v_writelane_b32 v109, s0, 18
	s_mul_i32 s0, s47, 5
	v_mul_u32_u24_e32 v4, 0x108, v94
	v_and_b32_e32 v5, 0x1f8, v5
	v_or_b32_e32 v26, 1, v90
	v_add_u32_e32 v27, 2, v90
	s_lshl_b32 s46, s48, 1
	v_add_u32_e32 v28, 3, v90
	v_add_u32_e32 v29, 4, v90
	;; [unrolled: 1-line block ×11, first 2 shown]
	s_ashr_i32 s3, s47, 31
	s_mov_b32 s2, s47
	v_lshlrev_b32_e32 v22, 2, v95
	v_mov_b32_e32 v23, 0
	v_lshl_add_u64 v[0:1], s[6:7], 0, v[0:1]
	v_writelane_b32 v109, s0, 19
	s_mul_i32 s0, s47, 6
	v_lshl_add_u32 v97, v16, 2, v6
	v_add3_u32 v98, v6, v4, v5
	s_lshl_b64 s[2:3], s[2:3], 2
	v_lshl_add_u64 v[24:25], v[0:1], 0, v[22:23]
	s_lshl_b32 s66, s47, 1
	s_lshl_b32 s68, s47, 2
	v_writelane_b32 v109, s0, 20
	s_mul_i32 s71, s47, 7
	s_lshl_b32 s72, s47, 3
	s_mul_i32 s73, s47, 9
	s_mul_i32 s74, s47, 10
	;; [unrolled: 1-line block ×7, first 2 shown]
	s_lshl_b32 s80, s47, 4
	s_mul_i32 s81, s47, 17
	s_mul_i32 s82, s47, 18
	;; [unrolled: 1-line block ×15, first 2 shown]
	s_lshl_b32 s96, s47, 5
	s_mul_i32 s97, s47, 33
	s_mul_i32 s98, s47, 34
	;; [unrolled: 1-line block ×11, first 2 shown]
	v_cmp_gt_i32_e64 s[6:7], s45, v90
	s_mul_i32 s57, s47, 44
	s_mul_i32 s0, s47, 45
	v_mov_b32_e32 v12, 0
	v_mov_b32_e32 v13, v23
	;; [unrolled: 1-line block ×16, first 2 shown]
	s_mul_i32 s1, s47, 46
	s_mul_i32 s59, s47, 47
	;; [unrolled: 1-line block ×18, first 2 shown]
	v_cmp_gt_i32_e64 s[8:9], s45, v26
	v_cmp_gt_i32_e64 s[10:11], s45, v27
	;; [unrolled: 1-line block ×13, first 2 shown]
	s_mov_b32 s45, s46
	s_mov_b64 s[46:47], 0
	s_mov_b64 s[50:51], 0x500
	s_branch .LBB88_44
.LBB88_42:                              ;   in Loop: Header=BB88_44 Depth=1
	v_mul_lo_u32 v22, v22, s53
	s_mul_i32 vcc_lo, s48, 13
	v_add_u32_e32 v22, vcc_lo, v22
	v_add_u32_e32 v100, v22, v95
	v_ashrrev_i32_e32 v101, 31, v100
	v_lshl_add_u64 v[100:101], v[100:101], 2, v[20:21]
	global_load_dword v22, v[100:101], off
.LBB88_43:                              ;   in Loop: Header=BB88_44 Depth=1
	v_add_u32_e32 v99, 0xc00, v97
	s_waitcnt vmcnt(0)
	ds_write2_b32 v99, v22, v23 offset0:106 offset1:172
	ds_write_b32 v97, v23 offset:4024
	ds_read2_b64 v[100:103], v98 offset0:8 offset1:12
	v_add_u32_e32 v95, 0x140, v95
	v_cmp_le_i32_e32 vcc, s44, v95
	v_lshl_add_u64 v[24:25], v[24:25], 0, s[50:51]
	s_or_b64 s[46:47], vcc, s[46:47]
	s_waitcnt lgkmcnt(0)
	v_mfma_f32_16x16x8_xf32 v[0:3], v[74:75], v[100:101], v[0:3]
	v_mfma_f32_16x16x8_xf32 v[8:11], v[42:43], v[100:101], v[8:11]
	v_mfma_f32_16x16x8_xf32 v[4:7], v[58:59], v[100:101], v[4:7]
	v_mfma_f32_16x16x8_xf32 v[12:15], v[88:89], v[100:101], v[12:15]
	v_mfma_f32_16x16x8_xf32 v[0:3], v[72:73], v[102:103], v[0:3]
	ds_read2_b64 v[72:75], v98 offset0:16 offset1:20
	v_mfma_f32_16x16x8_xf32 v[8:11], v[38:39], v[102:103], v[8:11]
	v_mfma_f32_16x16x8_xf32 v[4:7], v[54:55], v[102:103], v[4:7]
	v_mfma_f32_16x16x8_xf32 v[12:15], v[86:87], v[102:103], v[12:15]
	s_waitcnt lgkmcnt(0)
	v_mfma_f32_16x16x8_xf32 v[8:11], v[36:37], v[72:73], v[8:11]
	v_mfma_f32_16x16x8_xf32 v[4:7], v[52:53], v[72:73], v[4:7]
	v_mfma_f32_16x16x8_xf32 v[0:3], v[70:71], v[72:73], v[0:3]
	v_mfma_f32_16x16x8_xf32 v[12:15], v[82:83], v[72:73], v[12:15]
	v_mfma_f32_16x16x8_xf32 v[8:11], v[34:35], v[74:75], v[8:11]
	ds_read2_b64 v[34:37], v98 offset0:24 offset1:28
	v_mfma_f32_16x16x8_xf32 v[4:7], v[50:51], v[74:75], v[4:7]
	v_mfma_f32_16x16x8_xf32 v[0:3], v[68:69], v[74:75], v[0:3]
	v_mfma_f32_16x16x8_xf32 v[12:15], v[78:79], v[74:75], v[12:15]
	;; [unrolled: 10-line block ×3, first 2 shown]
	s_waitcnt lgkmcnt(0)
	v_mfma_f32_16x16x8_xf32 v[8:11], v[28:29], v[30:31], v[8:11]
	v_mfma_f32_16x16x8_xf32 v[4:7], v[44:45], v[30:31], v[4:7]
	;; [unrolled: 1-line block ×8, first 2 shown]
	s_andn2_b64 exec, exec, s[46:47]
	s_cbranch_execz .LBB88_99
.LBB88_44:                              ; =>This Inner Loop Header: Depth=1
	v_readlane_b32 vcc_lo, v109, 18
	v_lshl_add_u64 v[26:27], v[24:25], 0, s[2:3]
	global_load_dword v22, v[24:25], off
	global_load_dword v52, v[26:27], off
	v_add_u32_e32 v28, vcc_lo, v95
	v_readlane_b32 vcc_lo, v109, 19
	v_add_u32_e32 v26, s66, v95
	v_ashrrev_i32_e32 v27, 31, v26
	v_add_u32_e32 v32, vcc_lo, v95
	v_readlane_b32 vcc_lo, v109, 20
	v_add_u32_e32 v30, s68, v95
	v_add_u32_e32 v36, s71, v95
	v_add_u32_e32 v34, vcc_lo, v95
	v_lshl_add_u64 v[26:27], v[26:27], 2, v[18:19]
	v_ashrrev_i32_e32 v29, 31, v28
	v_ashrrev_i32_e32 v31, 31, v30
	v_ashrrev_i32_e32 v33, 31, v32
	v_ashrrev_i32_e32 v35, 31, v34
	v_ashrrev_i32_e32 v37, 31, v36
	v_lshl_add_u64 v[28:29], v[28:29], 2, v[18:19]
	v_lshl_add_u64 v[30:31], v[30:31], 2, v[18:19]
	;; [unrolled: 1-line block ×5, first 2 shown]
	global_load_dword v53, v[26:27], off
	global_load_dword v54, v[28:29], off
	;; [unrolled: 1-line block ×6, first 2 shown]
	v_add_u32_e32 v26, s72, v95
	v_add_u32_e32 v44, s81, v95
	v_add_u32_e32 v28, s73, v95
	v_add_u32_e32 v30, s74, v95
	v_add_u32_e32 v32, s75, v95
	v_add_u32_e32 v34, s76, v95
	v_add_u32_e32 v36, s77, v95
	v_add_u32_e32 v38, s78, v95
	v_add_u32_e32 v40, s79, v95
	v_add_u32_e32 v42, s80, v95
	v_ashrrev_i32_e32 v27, 31, v26
	v_ashrrev_i32_e32 v45, 31, v44
	v_ashrrev_i32_e32 v29, 31, v28
	v_ashrrev_i32_e32 v31, 31, v30
	v_ashrrev_i32_e32 v33, 31, v32
	v_ashrrev_i32_e32 v35, 31, v34
	v_ashrrev_i32_e32 v37, 31, v36
	v_ashrrev_i32_e32 v39, 31, v38
	v_ashrrev_i32_e32 v41, 31, v40
	v_ashrrev_i32_e32 v43, 31, v42
	v_lshl_add_u64 v[26:27], v[26:27], 2, v[18:19]
	v_lshl_add_u64 v[44:45], v[44:45], 2, v[18:19]
	v_add_u32_e32 v46, s82, v95
	v_add_u32_e32 v48, s83, v95
	v_add_u32_e32 v50, s84, v95
	v_lshl_add_u64 v[28:29], v[28:29], 2, v[18:19]
	v_lshl_add_u64 v[30:31], v[30:31], 2, v[18:19]
	;; [unrolled: 1-line block ×8, first 2 shown]
	global_load_dword v59, v[26:27], off
	global_load_dword v60, v[28:29], off
	;; [unrolled: 1-line block ×9, first 2 shown]
	s_nop 0
	global_load_dword v44, v[44:45], off
	v_add_u32_e32 v26, s85, v95
	v_ashrrev_i32_e32 v47, 31, v46
	v_ashrrev_i32_e32 v49, 31, v48
	;; [unrolled: 1-line block ×4, first 2 shown]
	v_add_u32_e32 v28, s86, v95
	v_add_u32_e32 v30, s87, v95
	;; [unrolled: 1-line block ×4, first 2 shown]
	v_lshl_add_u64 v[46:47], v[46:47], 2, v[18:19]
	v_lshl_add_u64 v[48:49], v[48:49], 2, v[18:19]
	;; [unrolled: 1-line block ×4, first 2 shown]
	v_ashrrev_i32_e32 v29, 31, v28
	v_ashrrev_i32_e32 v31, 31, v30
	;; [unrolled: 1-line block ×4, first 2 shown]
	v_lshl_add_u64 v[28:29], v[28:29], 2, v[18:19]
	v_lshl_add_u64 v[30:31], v[30:31], 2, v[18:19]
	;; [unrolled: 1-line block ×4, first 2 shown]
	v_add_u32_e32 v36, s95, v95
	v_add_u32_e32 v38, s96, v95
	;; [unrolled: 1-line block ×3, first 2 shown]
	v_ashrrev_i32_e32 v37, 31, v36
	v_ashrrev_i32_e32 v39, 31, v38
	s_waitcnt vmcnt(17)
	ds_write_b32 v97, v22 offset:64
	s_waitcnt vmcnt(16)
	ds_write_b32 v97, v52 offset:328
	;; [unrolled: 2-line block ×8, first 2 shown]
	global_load_dword v22, v[46:47], off
	global_load_dword v45, v[48:49], off
	s_nop 0
	global_load_dword v46, v[50:51], off
	global_load_dword v47, v[26:27], off
	;; [unrolled: 1-line block ×4, first 2 shown]
	s_nop 0
	global_load_dword v50, v[32:33], off
	global_load_dword v51, v[34:35], off
	v_add_u32_e32 v26, s90, v95
	v_ashrrev_i32_e32 v27, 31, v26
	v_add_u32_e32 v28, s91, v95
	v_add_u32_e32 v30, s92, v95
	;; [unrolled: 1-line block ×4, first 2 shown]
	v_lshl_add_u64 v[26:27], v[26:27], 2, v[18:19]
	v_ashrrev_i32_e32 v29, 31, v28
	v_ashrrev_i32_e32 v31, 31, v30
	v_ashrrev_i32_e32 v33, 31, v32
	v_ashrrev_i32_e32 v35, 31, v34
	v_ashrrev_i32_e32 v41, 31, v40
	v_lshl_add_u64 v[28:29], v[28:29], 2, v[18:19]
	v_lshl_add_u64 v[30:31], v[30:31], 2, v[18:19]
	v_lshl_add_u64 v[32:33], v[32:33], 2, v[18:19]
	v_lshl_add_u64 v[34:35], v[34:35], 2, v[18:19]
	v_lshl_add_u64 v[36:37], v[36:37], 2, v[18:19]
	v_lshl_add_u64 v[38:39], v[38:39], 2, v[18:19]
	v_lshl_add_u64 v[40:41], v[40:41], 2, v[18:19]
	global_load_dword v52, v[26:27], off
	global_load_dword v53, v[28:29], off
	global_load_dword v54, v[30:31], off
	global_load_dword v55, v[32:33], off
	global_load_dword v56, v[34:35], off
	global_load_dword v57, v[36:37], off
	global_load_dword v68, v[38:39], off
	global_load_dword v69, v[40:41], off
	v_add_u32_e32 v26, s98, v95
	v_ashrrev_i32_e32 v27, 31, v26
	v_add_u32_e32 v28, s99, v95
	v_add_u32_e32 v30, s42, v95
	v_add_u32_e32 v32, s43, v95
	v_add_u32_e32 v34, s58, v95
	v_add_u32_e32 v36, s5, v95
	v_add_u32_e32 v38, s38, v95
	v_add_u32_e32 v40, s39, v95
	v_lshl_add_u64 v[26:27], v[26:27], 2, v[18:19]
	v_ashrrev_i32_e32 v29, 31, v28
	v_ashrrev_i32_e32 v31, 31, v30
	v_ashrrev_i32_e32 v33, 31, v32
	v_ashrrev_i32_e32 v35, 31, v34
	v_ashrrev_i32_e32 v37, 31, v36
	v_ashrrev_i32_e32 v39, 31, v38
	v_ashrrev_i32_e32 v41, 31, v40
	v_lshl_add_u64 v[28:29], v[28:29], 2, v[18:19]
	v_lshl_add_u64 v[30:31], v[30:31], 2, v[18:19]
	v_lshl_add_u64 v[32:33], v[32:33], 2, v[18:19]
	v_lshl_add_u64 v[34:35], v[34:35], 2, v[18:19]
	v_lshl_add_u64 v[36:37], v[36:37], 2, v[18:19]
	v_lshl_add_u64 v[38:39], v[38:39], 2, v[18:19]
	v_lshl_add_u64 v[40:41], v[40:41], 2, v[18:19]
	global_load_dword v70, v[26:27], off
	global_load_dword v71, v[28:29], off
	global_load_dword v72, v[30:31], off
	global_load_dword v73, v[32:33], off
	global_load_dword v74, v[34:35], off
	global_load_dword v75, v[36:37], off
	global_load_dword v76, v[38:39], off
	global_load_dword v77, v[40:41], off
	v_add_u32_e32 v26, s52, v95
	v_ashrrev_i32_e32 v27, 31, v26
	v_add_u32_e32 v28, s56, v95
	v_add_u32_e32 v30, s57, v95
	v_add_u32_e32 v32, s0, v95
	v_add_u32_e32 v34, s1, v95
	v_add_u32_e32 v36, s59, v95
	v_add_u32_e32 v38, s61, v95
	v_add_u32_e32 v40, s62, v95
	v_lshl_add_u64 v[26:27], v[26:27], 2, v[18:19]
	v_ashrrev_i32_e32 v29, 31, v28
	v_ashrrev_i32_e32 v31, 31, v30
	;; [unrolled: 32-line block ×3, first 2 shown]
	v_ashrrev_i32_e32 v33, 31, v32
	v_ashrrev_i32_e32 v35, 31, v34
	;; [unrolled: 1-line block ×5, first 2 shown]
	v_lshl_add_u64 v[28:29], v[28:29], 2, v[18:19]
	v_lshl_add_u64 v[30:31], v[30:31], 2, v[18:19]
	;; [unrolled: 1-line block ×7, first 2 shown]
	global_load_dword v86, v[26:27], off
	global_load_dword v87, v[28:29], off
	;; [unrolled: 1-line block ×8, first 2 shown]
	v_add_u32_e32 v26, s4, v95
	v_ashrrev_i32_e32 v27, 31, v26
	v_add_u32_e32 v28, s55, v95
	v_add_u32_e32 v30, s60, v95
	;; [unrolled: 1-line block ×5, first 2 shown]
	v_lshl_add_u64 v[26:27], v[26:27], 2, v[18:19]
	v_ashrrev_i32_e32 v29, 31, v28
	v_ashrrev_i32_e32 v31, 31, v30
	v_ashrrev_i32_e32 v33, 31, v32
	v_ashrrev_i32_e32 v35, 31, v34
	v_ashrrev_i32_e32 v37, 31, v36
	v_lshl_add_u64 v[28:29], v[28:29], 2, v[18:19]
	v_lshl_add_u64 v[30:31], v[30:31], 2, v[18:19]
	;; [unrolled: 1-line block ×5, first 2 shown]
	global_load_dword v103, v[26:27], off
	global_load_dword v104, v[28:29], off
	;; [unrolled: 1-line block ×6, first 2 shown]
	s_waitcnt vmcnt(55)
	ds_write_b32 v97, v59 offset:2176
	s_waitcnt vmcnt(54)
	ds_write_b32 v97, v60 offset:2440
	s_waitcnt vmcnt(53)
	ds_write_b32 v97, v61 offset:2704
	s_waitcnt vmcnt(52)
	ds_write_b32 v97, v62 offset:2968
	s_waitcnt vmcnt(51)
	ds_write_b32 v97, v63 offset:3232
	s_waitcnt vmcnt(50)
	ds_write_b32 v97, v64 offset:3496
	s_waitcnt vmcnt(49)
	ds_write_b32 v97, v65 offset:3760
	s_waitcnt vmcnt(48)
	ds_write_b32 v97, v66 offset:4024
	ds_read_b64 v[42:43], v98 offset:64
	ds_read_b64 v[38:39], v98 offset:96
	ds_read_b64 v[36:37], v98 offset:128
	ds_read_b64 v[34:35], v98 offset:160
	ds_read_b64 v[32:33], v98 offset:192
	ds_read_b64 v[30:31], v98 offset:224
	ds_read_b64 v[28:29], v98 offset:256
	ds_read_b64 v[26:27], v98 offset:288
	s_waitcnt vmcnt(47)
	ds_write_b32 v97, v67 offset:64
	s_waitcnt vmcnt(46)
	ds_write_b32 v97, v44 offset:328
	s_waitcnt vmcnt(45)
	ds_write_b32 v97, v22 offset:592
	s_waitcnt vmcnt(44)
	ds_write_b32 v97, v45 offset:856
	s_waitcnt vmcnt(43)
	ds_write_b32 v97, v46 offset:1120
	s_waitcnt vmcnt(42)
	ds_write_b32 v97, v47 offset:1384
	s_waitcnt vmcnt(41)
	ds_write_b32 v97, v48 offset:1648
	s_waitcnt vmcnt(40)
	ds_write_b32 v97, v49 offset:1912
	s_waitcnt vmcnt(39)
	ds_write_b32 v97, v50 offset:2176
	s_waitcnt vmcnt(38)
	ds_write_b32 v97, v51 offset:2440
	s_waitcnt vmcnt(37)
	ds_write_b32 v97, v52 offset:2704
	s_waitcnt vmcnt(36)
	ds_write_b32 v97, v53 offset:2968
	s_waitcnt vmcnt(35)
	ds_write_b32 v97, v54 offset:3232
	s_waitcnt vmcnt(34)
	ds_write_b32 v97, v55 offset:3496
	s_waitcnt vmcnt(33)
	ds_write_b32 v97, v56 offset:3760
	s_waitcnt vmcnt(32)
	ds_write_b32 v97, v57 offset:4024
	ds_read_b64 v[58:59], v98 offset:64
	ds_read_b64 v[54:55], v98 offset:96
	ds_read_b64 v[52:53], v98 offset:128
	ds_read_b64 v[50:51], v98 offset:160
	ds_read_b64 v[48:49], v98 offset:192
	ds_read_b64 v[46:47], v98 offset:224
	ds_read_b64 v[44:45], v98 offset:256
	ds_read_b64 v[40:41], v98 offset:288
	s_waitcnt vmcnt(31)
	ds_write_b32 v97, v68 offset:64
	s_waitcnt vmcnt(30)
	ds_write_b32 v97, v69 offset:328
	s_waitcnt vmcnt(29)
	ds_write_b32 v97, v70 offset:592
	s_waitcnt vmcnt(28)
	ds_write_b32 v97, v71 offset:856
	s_waitcnt vmcnt(27)
	ds_write_b32 v97, v72 offset:1120
	s_waitcnt vmcnt(26)
	ds_write_b32 v97, v73 offset:1384
	s_waitcnt vmcnt(25)
	ds_write_b32 v97, v74 offset:1648
	s_waitcnt vmcnt(24)
	ds_write_b32 v97, v75 offset:1912
	;; [unrolled: 40-line block ×3, first 2 shown]
	s_waitcnt vmcnt(7)
	ds_write_b32 v97, v101 offset:2176
	s_waitcnt vmcnt(6)
	ds_write_b32 v97, v102 offset:2440
	;; [unrolled: 2-line block ×8, first 2 shown]
	ds_read_b64 v[88:89], v98 offset:64
	ds_read_b64 v[86:87], v98 offset:96
	;; [unrolled: 1-line block ×8, first 2 shown]
	s_andn2_b64 vcc, exec, s[6:7]
	v_mov_b32_e32 v22, 0
	s_cbranch_vccnz .LBB88_48
; %bb.45:                               ;   in Loop: Header=BB88_44 Depth=1
	ds_read_b32 v22, v96
	s_waitcnt lgkmcnt(0)
	v_cmp_gt_i32_e32 vcc, 0, v22
	s_cbranch_vccnz .LBB88_47
; %bb.46:                               ;   in Loop: Header=BB88_44 Depth=1
	v_mul_lo_u32 v22, v22, s53
	v_add_u32_e32 v100, v95, v22
	v_ashrrev_i32_e32 v101, 31, v100
	v_lshl_add_u64 v[100:101], v[100:101], 2, v[20:21]
	global_load_dword v22, v[100:101], off
	s_branch .LBB88_48
.LBB88_47:                              ;   in Loop: Header=BB88_44 Depth=1
	v_mov_b32_e32 v22, 0
.LBB88_48:                              ;   in Loop: Header=BB88_44 Depth=1
	s_waitcnt vmcnt(0)
	ds_write_b32 v97, v22 offset:64
	s_andn2_b64 vcc, exec, s[8:9]
	v_mov_b32_e32 v22, 0
	v_mov_b32_e32 v99, 0
	s_cbranch_vccnz .LBB88_51
; %bb.49:                               ;   in Loop: Header=BB88_44 Depth=1
	ds_read_b32 v99, v96 offset:4
	s_waitcnt lgkmcnt(0)
	v_cmp_gt_i32_e32 vcc, 0, v99
	s_cbranch_vccnz .LBB88_54
; %bb.50:                               ;   in Loop: Header=BB88_44 Depth=1
	v_mul_lo_u32 v99, v99, s53
	v_add_u32_e32 v99, s48, v99
	v_add_u32_e32 v100, v99, v95
	v_ashrrev_i32_e32 v101, 31, v100
	v_lshl_add_u64 v[100:101], v[100:101], 2, v[20:21]
	global_load_dword v99, v[100:101], off
.LBB88_51:                              ;   in Loop: Header=BB88_44 Depth=1
	s_andn2_b64 vcc, exec, s[10:11]
	s_waitcnt vmcnt(0)
	ds_write_b32 v97, v99 offset:328
	s_cbranch_vccnz .LBB88_56
.LBB88_52:                              ;   in Loop: Header=BB88_44 Depth=1
	ds_read_b32 v22, v96 offset:8
	s_waitcnt lgkmcnt(0)
	v_cmp_gt_i32_e32 vcc, 0, v22
	s_cbranch_vccnz .LBB88_55
; %bb.53:                               ;   in Loop: Header=BB88_44 Depth=1
	v_mul_lo_u32 v22, v22, s53
	v_add_u32_e32 v22, s45, v22
	v_add_u32_e32 v100, v22, v95
	v_ashrrev_i32_e32 v101, 31, v100
	v_lshl_add_u64 v[100:101], v[100:101], 2, v[20:21]
	global_load_dword v22, v[100:101], off
	s_branch .LBB88_56
.LBB88_54:                              ;   in Loop: Header=BB88_44 Depth=1
	v_mov_b32_e32 v99, 0
	s_andn2_b64 vcc, exec, s[10:11]
	ds_write_b32 v97, v99 offset:328
	s_cbranch_vccz .LBB88_52
	s_branch .LBB88_56
.LBB88_55:                              ;   in Loop: Header=BB88_44 Depth=1
	v_mov_b32_e32 v22, 0
.LBB88_56:                              ;   in Loop: Header=BB88_44 Depth=1
	s_waitcnt vmcnt(0)
	ds_write_b32 v97, v22 offset:592
	s_andn2_b64 vcc, exec, s[12:13]
	v_mov_b32_e32 v22, 0
	v_mov_b32_e32 v99, 0
	s_cbranch_vccnz .LBB88_59
; %bb.57:                               ;   in Loop: Header=BB88_44 Depth=1
	ds_read_b32 v99, v96 offset:12
	s_waitcnt lgkmcnt(0)
	v_cmp_gt_i32_e32 vcc, 0, v99
	s_cbranch_vccnz .LBB88_62
; %bb.58:                               ;   in Loop: Header=BB88_44 Depth=1
	v_mul_lo_u32 v99, v99, s53
	s_mul_i32 vcc_lo, s48, 3
	v_add_u32_e32 v99, vcc_lo, v99
	v_add_u32_e32 v100, v99, v95
	v_ashrrev_i32_e32 v101, 31, v100
	v_lshl_add_u64 v[100:101], v[100:101], 2, v[20:21]
	global_load_dword v99, v[100:101], off
.LBB88_59:                              ;   in Loop: Header=BB88_44 Depth=1
	s_andn2_b64 vcc, exec, s[14:15]
	s_waitcnt vmcnt(0)
	ds_write_b32 v97, v99 offset:856
	s_cbranch_vccnz .LBB88_64
.LBB88_60:                              ;   in Loop: Header=BB88_44 Depth=1
	ds_read_b32 v22, v96 offset:16
	s_waitcnt lgkmcnt(0)
	v_cmp_gt_i32_e32 vcc, 0, v22
	s_cbranch_vccnz .LBB88_63
; %bb.61:                               ;   in Loop: Header=BB88_44 Depth=1
	v_mul_lo_u32 v22, v22, s53
	v_readlane_b32 vcc_lo, v109, 16
	s_nop 1
	v_add_u32_e32 v22, vcc_lo, v22
	v_add_u32_e32 v100, v22, v95
	v_ashrrev_i32_e32 v101, 31, v100
	v_lshl_add_u64 v[100:101], v[100:101], 2, v[20:21]
	global_load_dword v22, v[100:101], off
	s_branch .LBB88_64
.LBB88_62:                              ;   in Loop: Header=BB88_44 Depth=1
	v_mov_b32_e32 v99, 0
	s_andn2_b64 vcc, exec, s[14:15]
	ds_write_b32 v97, v99 offset:856
	s_cbranch_vccz .LBB88_60
	s_branch .LBB88_64
.LBB88_63:                              ;   in Loop: Header=BB88_44 Depth=1
	v_mov_b32_e32 v22, 0
.LBB88_64:                              ;   in Loop: Header=BB88_44 Depth=1
	s_waitcnt vmcnt(0)
	ds_write_b32 v97, v22 offset:1120
	s_andn2_b64 vcc, exec, s[16:17]
	v_mov_b32_e32 v22, 0
	v_mov_b32_e32 v99, 0
	s_cbranch_vccnz .LBB88_67
; %bb.65:                               ;   in Loop: Header=BB88_44 Depth=1
	ds_read_b32 v99, v96 offset:20
	s_waitcnt lgkmcnt(0)
	v_cmp_gt_i32_e32 vcc, 0, v99
	s_cbranch_vccnz .LBB88_70
; %bb.66:                               ;   in Loop: Header=BB88_44 Depth=1
	v_mul_lo_u32 v99, v99, s53
	s_mul_i32 vcc_lo, s48, 5
	v_add_u32_e32 v99, vcc_lo, v99
	v_add_u32_e32 v100, v99, v95
	v_ashrrev_i32_e32 v101, 31, v100
	v_lshl_add_u64 v[100:101], v[100:101], 2, v[20:21]
	global_load_dword v99, v[100:101], off
.LBB88_67:                              ;   in Loop: Header=BB88_44 Depth=1
	s_andn2_b64 vcc, exec, s[18:19]
	s_waitcnt vmcnt(0)
	ds_write_b32 v97, v99 offset:1384
	s_cbranch_vccnz .LBB88_72
.LBB88_68:                              ;   in Loop: Header=BB88_44 Depth=1
	ds_read_b32 v22, v96 offset:24
	s_waitcnt lgkmcnt(0)
	v_cmp_gt_i32_e32 vcc, 0, v22
	s_cbranch_vccnz .LBB88_71
; %bb.69:                               ;   in Loop: Header=BB88_44 Depth=1
	v_mul_lo_u32 v22, v22, s53
	s_mul_i32 vcc_lo, s48, 6
	v_add_u32_e32 v22, vcc_lo, v22
	v_add_u32_e32 v100, v22, v95
	v_ashrrev_i32_e32 v101, 31, v100
	v_lshl_add_u64 v[100:101], v[100:101], 2, v[20:21]
	global_load_dword v22, v[100:101], off
	s_branch .LBB88_72
.LBB88_70:                              ;   in Loop: Header=BB88_44 Depth=1
	v_mov_b32_e32 v99, 0
	s_andn2_b64 vcc, exec, s[18:19]
	ds_write_b32 v97, v99 offset:1384
	s_cbranch_vccz .LBB88_68
	s_branch .LBB88_72
.LBB88_71:                              ;   in Loop: Header=BB88_44 Depth=1
	v_mov_b32_e32 v22, 0
.LBB88_72:                              ;   in Loop: Header=BB88_44 Depth=1
	s_waitcnt vmcnt(0)
	ds_write_b32 v97, v22 offset:1648
	s_andn2_b64 vcc, exec, s[20:21]
	v_mov_b32_e32 v22, 0
	v_mov_b32_e32 v99, 0
	s_cbranch_vccnz .LBB88_75
; %bb.73:                               ;   in Loop: Header=BB88_44 Depth=1
	ds_read_b32 v99, v96 offset:28
	s_waitcnt lgkmcnt(0)
	v_cmp_gt_i32_e32 vcc, 0, v99
	s_cbranch_vccnz .LBB88_78
; %bb.74:                               ;   in Loop: Header=BB88_44 Depth=1
	v_mul_lo_u32 v99, v99, s53
	s_mul_i32 vcc_lo, s48, 7
	v_add_u32_e32 v99, vcc_lo, v99
	v_add_u32_e32 v100, v99, v95
	v_ashrrev_i32_e32 v101, 31, v100
	v_lshl_add_u64 v[100:101], v[100:101], 2, v[20:21]
	global_load_dword v99, v[100:101], off
.LBB88_75:                              ;   in Loop: Header=BB88_44 Depth=1
	s_andn2_b64 vcc, exec, s[22:23]
	s_waitcnt vmcnt(0)
	ds_write_b32 v97, v99 offset:1912
	s_cbranch_vccnz .LBB88_80
.LBB88_76:                              ;   in Loop: Header=BB88_44 Depth=1
	ds_read_b32 v22, v96 offset:32
	s_waitcnt lgkmcnt(0)
	v_cmp_gt_i32_e32 vcc, 0, v22
	s_cbranch_vccnz .LBB88_79
; %bb.77:                               ;   in Loop: Header=BB88_44 Depth=1
	v_mul_lo_u32 v22, v22, s53
	v_readlane_b32 vcc_lo, v109, 17
	s_nop 1
	v_add_u32_e32 v22, vcc_lo, v22
	v_add_u32_e32 v100, v22, v95
	v_ashrrev_i32_e32 v101, 31, v100
	v_lshl_add_u64 v[100:101], v[100:101], 2, v[20:21]
	global_load_dword v22, v[100:101], off
	s_branch .LBB88_80
.LBB88_78:                              ;   in Loop: Header=BB88_44 Depth=1
	v_mov_b32_e32 v99, 0
	s_andn2_b64 vcc, exec, s[22:23]
	ds_write_b32 v97, v99 offset:1912
	s_cbranch_vccz .LBB88_76
	s_branch .LBB88_80
.LBB88_79:                              ;   in Loop: Header=BB88_44 Depth=1
	v_mov_b32_e32 v22, 0
.LBB88_80:                              ;   in Loop: Header=BB88_44 Depth=1
	s_waitcnt vmcnt(0)
	ds_write_b32 v97, v22 offset:2176
	s_andn2_b64 vcc, exec, s[24:25]
	v_mov_b32_e32 v22, 0
	v_mov_b32_e32 v99, 0
	s_cbranch_vccnz .LBB88_83
; %bb.81:                               ;   in Loop: Header=BB88_44 Depth=1
	ds_read_b32 v99, v96 offset:36
	s_waitcnt lgkmcnt(0)
	v_cmp_gt_i32_e32 vcc, 0, v99
	s_cbranch_vccnz .LBB88_86
; %bb.82:                               ;   in Loop: Header=BB88_44 Depth=1
	v_mul_lo_u32 v99, v99, s53
	s_mul_i32 vcc_lo, s48, 9
	v_add_u32_e32 v99, vcc_lo, v99
	v_add_u32_e32 v100, v99, v95
	v_ashrrev_i32_e32 v101, 31, v100
	v_lshl_add_u64 v[100:101], v[100:101], 2, v[20:21]
	global_load_dword v99, v[100:101], off
.LBB88_83:                              ;   in Loop: Header=BB88_44 Depth=1
	s_andn2_b64 vcc, exec, s[26:27]
	s_waitcnt vmcnt(0)
	ds_write_b32 v97, v99 offset:2440
	s_cbranch_vccnz .LBB88_88
.LBB88_84:                              ;   in Loop: Header=BB88_44 Depth=1
	ds_read_b32 v22, v96 offset:40
	s_waitcnt lgkmcnt(0)
	v_cmp_gt_i32_e32 vcc, 0, v22
	s_cbranch_vccnz .LBB88_87
; %bb.85:                               ;   in Loop: Header=BB88_44 Depth=1
	v_mul_lo_u32 v22, v22, s53
	s_mul_i32 vcc_lo, s48, 10
	v_add_u32_e32 v22, vcc_lo, v22
	v_add_u32_e32 v100, v22, v95
	v_ashrrev_i32_e32 v101, 31, v100
	v_lshl_add_u64 v[100:101], v[100:101], 2, v[20:21]
	global_load_dword v22, v[100:101], off
	s_branch .LBB88_88
.LBB88_86:                              ;   in Loop: Header=BB88_44 Depth=1
	v_mov_b32_e32 v99, 0
	s_andn2_b64 vcc, exec, s[26:27]
	ds_write_b32 v97, v99 offset:2440
	s_cbranch_vccz .LBB88_84
	s_branch .LBB88_88
.LBB88_87:                              ;   in Loop: Header=BB88_44 Depth=1
	v_mov_b32_e32 v22, 0
.LBB88_88:                              ;   in Loop: Header=BB88_44 Depth=1
	s_waitcnt vmcnt(0)
	ds_write_b32 v97, v22 offset:2704
	s_andn2_b64 vcc, exec, s[28:29]
	v_mov_b32_e32 v22, 0
	v_mov_b32_e32 v99, 0
	s_cbranch_vccz .LBB88_91
; %bb.89:                               ;   in Loop: Header=BB88_44 Depth=1
	s_andn2_b64 vcc, exec, s[30:31]
	ds_write_b32 v97, v99 offset:2968
	s_cbranch_vccz .LBB88_94
.LBB88_90:                              ;   in Loop: Header=BB88_44 Depth=1
	ds_write_b32 v97, v22 offset:3232
	s_andn2_b64 vcc, exec, s[34:35]
	v_mov_b32_e32 v22, 0
	s_cbranch_vccnz .LBB88_43
	s_branch .LBB88_97
.LBB88_91:                              ;   in Loop: Header=BB88_44 Depth=1
	ds_read_b32 v99, v96 offset:44
	s_waitcnt lgkmcnt(0)
	v_cmp_gt_i32_e32 vcc, 0, v99
	s_cbranch_vccnz .LBB88_93
; %bb.92:                               ;   in Loop: Header=BB88_44 Depth=1
	v_mul_lo_u32 v99, v99, s53
	s_mul_i32 vcc_lo, s48, 11
	v_add_u32_e32 v99, vcc_lo, v99
	v_add_u32_e32 v100, v99, v95
	v_ashrrev_i32_e32 v101, 31, v100
	v_lshl_add_u64 v[100:101], v[100:101], 2, v[20:21]
	global_load_dword v99, v[100:101], off
	s_andn2_b64 vcc, exec, s[30:31]
	s_waitcnt vmcnt(0)
	ds_write_b32 v97, v99 offset:2968
	s_cbranch_vccnz .LBB88_90
	s_branch .LBB88_94
.LBB88_93:                              ;   in Loop: Header=BB88_44 Depth=1
	v_mov_b32_e32 v99, 0
	s_andn2_b64 vcc, exec, s[30:31]
	ds_write_b32 v97, v99 offset:2968
	s_cbranch_vccnz .LBB88_90
.LBB88_94:                              ;   in Loop: Header=BB88_44 Depth=1
	ds_read_b32 v22, v96 offset:48
	s_waitcnt lgkmcnt(0)
	v_cmp_gt_i32_e32 vcc, 0, v22
	s_cbranch_vccnz .LBB88_96
; %bb.95:                               ;   in Loop: Header=BB88_44 Depth=1
	v_mul_lo_u32 v22, v22, s53
	s_mul_i32 vcc_lo, s48, 12
	v_add_u32_e32 v22, vcc_lo, v22
	v_add_u32_e32 v100, v22, v95
	v_ashrrev_i32_e32 v101, 31, v100
	v_lshl_add_u64 v[100:101], v[100:101], 2, v[20:21]
	global_load_dword v22, v[100:101], off
	s_waitcnt vmcnt(0)
	ds_write_b32 v97, v22 offset:3232
	s_andn2_b64 vcc, exec, s[34:35]
	v_mov_b32_e32 v22, 0
	s_cbranch_vccnz .LBB88_43
	s_branch .LBB88_97
.LBB88_96:                              ;   in Loop: Header=BB88_44 Depth=1
	v_mov_b32_e32 v22, 0
	ds_write_b32 v97, v22 offset:3232
	s_andn2_b64 vcc, exec, s[34:35]
	v_mov_b32_e32 v22, 0
	s_cbranch_vccnz .LBB88_43
.LBB88_97:                              ;   in Loop: Header=BB88_44 Depth=1
	ds_read_b32 v22, v96 offset:52
	s_waitcnt lgkmcnt(0)
	v_cmp_gt_i32_e32 vcc, 0, v22
	s_cbranch_vccz .LBB88_42
; %bb.98:                               ;   in Loop: Header=BB88_44 Depth=1
	v_mov_b32_e32 v22, 0
	s_branch .LBB88_43
.LBB88_99:
	s_or_b64 exec, exec, s[46:47]
	v_readlane_b32 s24, v109, 8
	v_readlane_b32 s28, v109, 12
	;; [unrolled: 1-line block ×8, first 2 shown]
.LBB88_100:
	v_readlane_b32 s0, v109, 6
	v_readlane_b32 s1, v109, 7
	s_or_b64 exec, exec, s[0:1]
	v_mul_u32_u24_e32 v18, 0x508, v94
	s_movk_i32 s1, 0x100
	v_lshlrev_b32_e32 v19, 2, v93
	v_add3_u32 v18, s1, v18, v19
	v_and_b32_e32 v20, 0x3f0, v16
	v_add_u32_e32 v21, v18, v20
	s_waitcnt lgkmcnt(0)
	s_barrier
	v_add_u32_e32 v19, 64, v18
	ds_write2_b32 v21, v8, v9 offset0:16 offset1:17
	v_or_b32_e32 v9, 12, v16
	v_add_u32_e32 v8, v19, v20
	v_and_b32_e32 v9, 0x3fc, v9
	ds_write_b32 v8, v10 offset:8
	v_add_u32_e32 v10, v18, v9
	ds_write_b32 v10, v11 offset:64
	ds_write2_b32 v8, v4, v5 offset0:16 offset1:17
	ds_write_b32 v8, v6 offset:72
	v_add_u32_e32 v4, v19, v9
	ds_write_b32 v4, v7 offset:64
	ds_write2_b32 v8, v0, v1 offset0:32 offset1:33
	ds_write_b32 v8, v2 offset:136
	ds_write_b32 v4, v3 offset:128
	ds_write2_b32 v8, v12, v13 offset0:48 offset1:49
	ds_write_b32 v8, v14 offset:200
	ds_write_b32 v4, v15 offset:192
	v_mov_b32_e32 v0, 0x100
	s_movk_i32 s0, 0x508
	v_lshl_add_u32 v7, v16, 2, v0
	v_mad_u32_u24 v1, v17, s0, v7
	s_waitcnt lgkmcnt(0)
	s_barrier
	ds_read2_b32 v[4:5], v1 offset0:16 offset1:80
	ds_read2_b32 v[2:3], v1 offset0:144 offset1:208
	ds_read_b32 v8, v1 offset:1088
	v_cmp_gt_u32_e32 vcc, 14, v17
	v_mov_b32_e32 v9, -1
	s_and_saveexec_b64 s[0:1], vcc
	s_cbranch_execz .LBB88_102
; %bb.101:
	v_lshl_add_u32 v0, v17, 2, v0
	ds_read_b32 v9, v0
.LBB88_102:
	s_or_b64 exec, exec, s[0:1]
	s_mul_hi_i32 s1, s30, s4
	s_mul_i32 s0, s30, s4
	s_lshl_b64 s[0:1], s[0:1], 2
	v_readlane_b32 s2, v109, 4
	v_mul_hi_i32 v1, v90, s49
	v_mul_lo_u32 v0, v90, s49
	v_readlane_b32 s3, v109, 5
	s_add_u32 s0, s2, s0
	s_addc_u32 s1, s3, s1
	v_lshlrev_b64 v[0:1], 2, v[0:1]
	s_waitcnt lgkmcnt(0)
	v_cmp_lt_i32_e32 vcc, -1, v9
	v_mul_u32_u24_e32 v10, 0x508, v17
	v_add_u32_e32 v6, s12, v16
	v_lshl_add_u64 v[0:1], s[0:1], 0, v[0:1]
	s_and_b64 s[2:3], vcc, s[24:25]
	s_and_saveexec_b64 s[0:1], s[2:3]
	s_cbranch_execz .LBB88_104
; %bb.103:
	v_add_f32_e32 v4, 0, v4
	v_add_f32_e32 v4, v4, v5
	;; [unrolled: 1-line block ×5, first 2 shown]
	v_mul_lo_u32 v2, v9, s54
	v_mul_lo_u32 v3, v17, s49
	v_add3_u32 v2, v6, v3, v2
	v_mov_b32_e32 v3, 0
	v_lshl_add_u64 v[2:3], v[2:3], 2, v[0:1]
	global_store_dword v[2:3], v4, off
.LBB88_104:
	s_or_b64 exec, exec, s[0:1]
	v_add_u32_e32 v7, v10, v7
	v_add_u32_e32 v2, 0x68, v7
	ds_read2st64_b32 v[4:5], v2 offset0:25 offset1:26
	ds_read2st64_b32 v[2:3], v2 offset0:27 offset1:28
	ds_read_b32 v8, v7 offset:7528
	v_cmp_gt_u32_e32 vcc, 9, v17
	v_mov_b32_e32 v9, -1
	s_and_saveexec_b64 s[0:1], vcc
	s_cbranch_execz .LBB88_106
; %bb.105:
	v_mov_b32_e32 v9, 0x100
	v_lshl_add_u32 v9, v17, 2, v9
	ds_read_b32 v9, v9 offset:20
.LBB88_106:
	s_or_b64 exec, exec, s[0:1]
	v_readlane_b32 s0, v109, 0
	s_waitcnt lgkmcnt(0)
	v_cmp_lt_i32_e32 vcc, -1, v9
	v_readlane_b32 s1, v109, 1
	s_and_b64 s[2:3], vcc, s[0:1]
	s_and_saveexec_b64 s[0:1], s[2:3]
	s_cbranch_execz .LBB88_108
; %bb.107:
	v_add_f32_e32 v4, 0, v4
	v_add_f32_e32 v4, v4, v5
	;; [unrolled: 1-line block ×5, first 2 shown]
	v_mul_lo_u32 v2, v9, s54
	v_mul_lo_u32 v3, v91, s49
	v_add3_u32 v2, v6, v3, v2
	v_mov_b32_e32 v3, 0
	v_lshl_add_u64 v[2:3], v[2:3], 2, v[0:1]
	global_store_dword v[2:3], v4, off
.LBB88_108:
	s_or_b64 exec, exec, s[0:1]
	v_cmp_gt_u32_e32 vcc, 4, v17
	s_and_saveexec_b64 s[0:1], vcc
	s_cbranch_execz .LBB88_111
; %bb.109:
	v_mov_b32_e32 v2, 0x100
	v_lshl_add_u32 v2, v17, 2, v2
	ds_read_b32 v2, v2 offset:40
	v_readlane_b32 s0, v109, 2
	v_readlane_b32 s1, v109, 3
	s_waitcnt lgkmcnt(0)
	v_cmp_lt_i32_e32 vcc, -1, v2
	s_and_b64 s[0:1], vcc, s[0:1]
	s_and_b64 exec, exec, s[0:1]
	s_cbranch_execz .LBB88_111
; %bb.110:
	v_add_u32_e32 v3, 0x90, v7
	ds_read2st64_b32 v[4:5], v3 offset0:50 offset1:51
	ds_read_b32 v7, v7 offset:13968
	ds_read2st64_b32 v[8:9], v3 offset0:52 offset1:53
	v_mul_lo_u32 v2, v2, s54
	v_mul_lo_u32 v3, v92, s49
	s_waitcnt lgkmcnt(2)
	v_add_f32_e32 v4, 0, v4
	v_add_f32_e32 v4, v4, v5
	s_waitcnt lgkmcnt(0)
	v_add_f32_e32 v4, v4, v8
	v_add_f32_e32 v4, v4, v9
	v_add3_u32 v2, v6, v3, v2
	v_mov_b32_e32 v3, 0
	v_add_f32_e32 v4, v4, v7
	v_lshl_add_u64 v[0:1], v[2:3], 2, v[0:1]
	global_store_dword v[0:1], v4, off
.LBB88_111:
	s_endpgm
	.section	.rodata,"a",@progbits
	.p2align	6, 0x0
	.amdhsa_kernel _ZL9mul_mat_fIfLi64ELi14ELi5ELb1EEvPKT_PKfPKiPfiiiiiiiiiiiiiiii
		.amdhsa_group_segment_fixed_size 256
		.amdhsa_private_segment_fixed_size 0
		.amdhsa_kernarg_size 352
		.amdhsa_user_sgpr_count 2
		.amdhsa_user_sgpr_dispatch_ptr 0
		.amdhsa_user_sgpr_queue_ptr 0
		.amdhsa_user_sgpr_kernarg_segment_ptr 1
		.amdhsa_user_sgpr_dispatch_id 0
		.amdhsa_user_sgpr_kernarg_preload_length 0
		.amdhsa_user_sgpr_kernarg_preload_offset 0
		.amdhsa_user_sgpr_private_segment_size 0
		.amdhsa_uses_dynamic_stack 0
		.amdhsa_enable_private_segment 0
		.amdhsa_system_sgpr_workgroup_id_x 1
		.amdhsa_system_sgpr_workgroup_id_y 1
		.amdhsa_system_sgpr_workgroup_id_z 1
		.amdhsa_system_sgpr_workgroup_info 0
		.amdhsa_system_vgpr_workitem_id 2
		.amdhsa_next_free_vgpr 110
		.amdhsa_next_free_sgpr 100
		.amdhsa_accum_offset 112
		.amdhsa_reserve_vcc 1
		.amdhsa_float_round_mode_32 0
		.amdhsa_float_round_mode_16_64 0
		.amdhsa_float_denorm_mode_32 3
		.amdhsa_float_denorm_mode_16_64 3
		.amdhsa_dx10_clamp 1
		.amdhsa_ieee_mode 1
		.amdhsa_fp16_overflow 0
		.amdhsa_tg_split 0
		.amdhsa_exception_fp_ieee_invalid_op 0
		.amdhsa_exception_fp_denorm_src 0
		.amdhsa_exception_fp_ieee_div_zero 0
		.amdhsa_exception_fp_ieee_overflow 0
		.amdhsa_exception_fp_ieee_underflow 0
		.amdhsa_exception_fp_ieee_inexact 0
		.amdhsa_exception_int_div_zero 0
	.end_amdhsa_kernel
	.section	.text._ZL9mul_mat_fIfLi64ELi14ELi5ELb1EEvPKT_PKfPKiPfiiiiiiiiiiiiiiii,"axG",@progbits,_ZL9mul_mat_fIfLi64ELi14ELi5ELb1EEvPKT_PKfPKiPfiiiiiiiiiiiiiiii,comdat
.Lfunc_end88:
	.size	_ZL9mul_mat_fIfLi64ELi14ELi5ELb1EEvPKT_PKfPKiPfiiiiiiiiiiiiiiii, .Lfunc_end88-_ZL9mul_mat_fIfLi64ELi14ELi5ELb1EEvPKT_PKfPKiPfiiiiiiiiiiiiiiii
                                        ; -- End function
	.section	.AMDGPU.csdata,"",@progbits
; Kernel info:
; codeLenInByte = 7984
; NumSgprs: 106
; NumVgprs: 110
; NumAgprs: 0
; TotalNumVgprs: 110
; ScratchSize: 0
; MemoryBound: 0
; FloatMode: 240
; IeeeMode: 1
; LDSByteSize: 256 bytes/workgroup (compile time only)
; SGPRBlocks: 13
; VGPRBlocks: 13
; NumSGPRsForWavesPerEU: 106
; NumVGPRsForWavesPerEU: 110
; AccumOffset: 112
; Occupancy: 4
; WaveLimiterHint : 0
; COMPUTE_PGM_RSRC2:SCRATCH_EN: 0
; COMPUTE_PGM_RSRC2:USER_SGPR: 2
; COMPUTE_PGM_RSRC2:TRAP_HANDLER: 0
; COMPUTE_PGM_RSRC2:TGID_X_EN: 1
; COMPUTE_PGM_RSRC2:TGID_Y_EN: 1
; COMPUTE_PGM_RSRC2:TGID_Z_EN: 1
; COMPUTE_PGM_RSRC2:TIDIG_COMP_CNT: 2
; COMPUTE_PGM_RSRC3_GFX90A:ACCUM_OFFSET: 27
; COMPUTE_PGM_RSRC3_GFX90A:TG_SPLIT: 0
	.section	.text._ZL9mul_mat_fIfLi64ELi14ELi5ELb0EEvPKT_PKfPKiPfiiiiiiiiiiiiiiii,"axG",@progbits,_ZL9mul_mat_fIfLi64ELi14ELi5ELb0EEvPKT_PKfPKiPfiiiiiiiiiiiiiiii,comdat
	.globl	_ZL9mul_mat_fIfLi64ELi14ELi5ELb0EEvPKT_PKfPKiPfiiiiiiiiiiiiiiii ; -- Begin function _ZL9mul_mat_fIfLi64ELi14ELi5ELb0EEvPKT_PKfPKiPfiiiiiiiiiiiiiiii
	.p2align	8
	.type	_ZL9mul_mat_fIfLi64ELi14ELi5ELb0EEvPKT_PKfPKiPfiiiiiiiiiiiiiiii,@function
_ZL9mul_mat_fIfLi64ELi14ELi5ELb0EEvPKT_PKfPKiPfiiiiiiiiiiiiiiii: ; @_ZL9mul_mat_fIfLi64ELi14ELi5ELb0EEvPKT_PKfPKiPfiiiiiiiiiiiiiiii
; %bb.0:
	s_load_dword s5, s[0:1], 0x20
	s_load_dwordx4 s[16:19], s[0:1], 0x2c
	v_bfe_u32 v62, v0, 10, 10
	v_lshlrev_b32_e32 v64, 6, v62
	v_and_b32_e32 v63, 0x3ff, v0
	v_add_u32_e32 v66, v64, v63
	s_mov_b32 s20, 0
	s_waitcnt lgkmcnt(0)
	s_ashr_i32 s19, s4, 31
	v_cmp_le_i32_e32 vcc, s5, v66
	v_and_b32_e32 v65, 15, v63
	s_and_saveexec_b64 s[6:7], vcc
	s_xor_b64 s[6:7], exec, s[6:7]
; %bb.1:
	v_and_b32_e32 v65, 15, v63
                                        ; implicit-def: $vgpr66
; %bb.2:
	s_or_saveexec_b64 s[24:25], s[6:7]
	s_load_dwordx8 s[8:15], s[0:1], 0x40
	s_load_dwordx2 s[6:7], s[0:1], 0x18
	s_lshl_b32 s2, s2, 6
	v_mov_b32_e32 v11, s20
	v_mov_b32_e32 v10, s20
	;; [unrolled: 1-line block ×16, first 2 shown]
	s_xor_b64 exec, exec, s[24:25]
	s_cbranch_execz .LBB89_6
; %bb.3:
	s_waitcnt lgkmcnt(0)
	s_abs_i32 s26, s8
	v_cvt_f32_u32_e32 v0, s26
	s_abs_i32 s27, s12
	v_cvt_f32_u32_e32 v1, s27
	s_sub_i32 s20, 0, s26
	v_rcp_iflag_f32_e32 v0, v0
	s_abs_i32 s28, s3
	v_rcp_iflag_f32_e32 v1, v1
	s_sub_i32 s21, 0, s27
	v_mul_f32_e32 v0, 0x4f7ffffe, v0
	v_cvt_u32_f32_e32 v0, v0
	v_mul_f32_e32 v1, 0x4f7ffffe, v1
	v_cvt_u32_f32_e32 v1, v1
	s_abs_i32 s29, s4
	v_mul_lo_u32 v2, s20, v0
	v_mul_hi_u32 v2, v0, v2
	v_add_u32_e32 v0, v0, v2
	v_mul_hi_u32 v0, s28, v0
	v_mul_lo_u32 v3, s21, v1
	v_mul_lo_u32 v2, v0, s26
	v_mul_hi_u32 v3, v1, v3
	v_sub_u32_e32 v2, s28, v2
	v_add_u32_e32 v1, v1, v3
	v_add_u32_e32 v3, 1, v0
	v_subrev_u32_e32 v4, s26, v2
	v_cmp_le_u32_e32 vcc, s26, v2
	s_load_dwordx4 s[20:23], s[0:1], 0x0
	s_ashr_i32 s0, s3, 31
	v_cndmask_b32_e32 v0, v0, v3, vcc
	v_cndmask_b32_e32 v2, v2, v4, vcc
	s_ashr_i32 s1, s8, 31
	v_add_u32_e32 v3, 1, v0
	v_cmp_le_u32_e32 vcc, s26, v2
	s_xor_b32 s0, s0, s1
	v_mul_hi_u32 v1, s29, v1
	v_cndmask_b32_e32 v0, v0, v3, vcc
	v_xor_b32_e32 v0, s0, v0
	v_subrev_u32_e32 v2, s0, v0
	v_mul_lo_u32 v0, v1, s27
	v_sub_u32_e32 v0, s29, v0
	v_add_u32_e32 v3, 1, v1
	v_subrev_u32_e32 v4, s27, v0
	v_cmp_le_u32_e32 vcc, s27, v0
	s_ashr_i32 s8, s12, 31
	s_xor_b32 s0, s19, s8
	v_cndmask_b32_e32 v1, v1, v3, vcc
	v_cndmask_b32_e32 v0, v0, v4, vcc
	v_add_u32_e32 v3, 1, v1
	v_cmp_le_u32_e32 vcc, s27, v0
	v_mul_lo_u32 v2, v2, s9
	s_mul_i32 s12, s3, s10
	v_cndmask_b32_e32 v0, v1, v3, vcc
	v_xor_b32_e32 v0, s0, v0
	v_subrev_u32_e32 v0, s0, v0
	v_ashrrev_i32_e32 v3, 31, v2
	s_mul_i32 s0, s2, s16
	s_ashr_i32 s1, s0, 31
	v_lshlrev_b64 v[2:3], 2, v[2:3]
	v_mul_hi_i32 v1, v0, s13
	v_mul_lo_u32 v0, v0, s13
	s_mul_hi_i32 s9, s14, s4
	s_mul_i32 s8, s14, s4
	s_lshl_b64 s[0:1], s[0:1], 2
	s_waitcnt lgkmcnt(0)
	v_lshl_add_u64 v[2:3], s[20:21], 0, v[2:3]
	s_ashr_i32 s13, s12, 31
	v_lshl_add_u64 v[2:3], v[2:3], 0, s[0:1]
	s_lshl_b64 s[8:9], s[8:9], 2
	s_lshl_b64 s[0:1], s[12:13], 2
	s_add_u32 s12, s22, s0
	s_addc_u32 s13, s23, s1
	s_add_u32 s0, s12, s8
	s_movk_i32 s10, 0x1080
	v_lshrrev_b32_e32 v6, 1, v63
	s_addc_u32 s1, s13, s9
	v_mad_u32_u24 v4, v62, s10, 0
	v_lshlrev_b32_e32 v18, 2, v63
	v_mul_u32_u24_e32 v5, 0x108, v65
	v_and_b32_e32 v6, 0x1f8, v6
	s_ashr_i32 s21, s16, 31
	s_mov_b32 s20, s16
	v_mov_b32_e32 v19, 0
	v_lshlrev_b64 v[0:1], 2, v[0:1]
	v_add_u32_e32 v67, v4, v18
	v_add3_u32 v68, v4, v5, v6
	v_lshlrev_b32_e32 v4, 8, v62
	v_mov_b32_e32 v5, v19
	s_lshl_b64 s[20:21], s[20:21], 2
	v_lshl_add_u64 v[16:17], v[2:3], 0, v[0:1]
	s_ashr_i32 s23, s17, 31
	s_mov_b32 s22, s17
	v_lshl_add_u64 v[0:1], v[0:1], 0, v[4:5]
	v_lshl_add_u64 v[6:7], v[2:3], 0, s[20:21]
	;; [unrolled: 1-line block ×5, first 2 shown]
	s_lshl_b64 s[8:9], s[22:23], 2
	s_add_u32 s8, s12, s8
	s_addc_u32 s9, s13, s9
	v_lshl_add_u64 v[24:25], s[8:9], 0, v[0:1]
	v_lshl_add_u64 v[26:27], s[12:13], 0, v[0:1]
	s_lshl_b32 s10, s17, 1
	s_mul_i32 s14, s17, 3
	s_lshl_b32 s19, s17, 2
	s_mul_i32 s20, s17, 5
	s_mul_i32 s21, s17, 6
	;; [unrolled: 1-line block ×3, first 2 shown]
	s_lshl_b32 s23, s17, 3
	s_mul_i32 s26, s17, 9
	s_mul_i32 s27, s17, 10
	s_mul_i32 s28, s17, 11
	s_mul_i32 s29, s17, 12
	s_mul_i32 s17, s17, 13
	s_lshl_b32 s30, s16, 1
	s_mul_i32 s31, s16, 3
	s_lshl_b32 s33, s16, 2
	s_mul_i32 s34, s16, 5
	s_mul_i32 s35, s16, 6
	;; [unrolled: 1-line block ×3, first 2 shown]
	s_lshl_b32 s37, s16, 3
	s_mul_i32 s38, s16, 9
	s_mul_i32 s39, s16, 10
	;; [unrolled: 1-line block ×7, first 2 shown]
	s_lshl_b32 s45, s16, 4
	s_mul_i32 s46, s16, 17
	s_mul_i32 s47, s16, 18
	;; [unrolled: 1-line block ×15, first 2 shown]
	s_lshl_b32 s61, s16, 5
	s_mul_i32 s62, s16, 33
	s_mul_i32 s63, s16, 34
	;; [unrolled: 1-line block ×16, first 2 shown]
	v_mov_b32_e32 v12, v19
	v_mov_b32_e32 v13, v19
	v_mov_b32_e32 v14, v19
	v_mov_b32_e32 v15, v19
	v_mov_b32_e32 v0, v19
	v_mov_b32_e32 v1, v19
	v_mov_b32_e32 v2, v19
	v_mov_b32_e32 v3, v19
	v_mov_b32_e32 v4, v19
	v_mov_b32_e32 v6, v19
	v_mov_b32_e32 v7, v19
	v_mov_b32_e32 v8, v19
	v_mov_b32_e32 v9, v19
	v_mov_b32_e32 v10, v19
	v_mov_b32_e32 v11, v19
	s_mul_i32 s78, s16, 49
	s_mul_i32 s79, s16, 50
	;; [unrolled: 1-line block ×15, first 2 shown]
	s_mov_b64 s[8:9], 0
	s_mov_b64 s[12:13], 0x500
.LBB89_4:                               ; =>This Inner Loop Header: Depth=1
	v_add_u32_e32 v52, s30, v66
	v_add_u32_e32 v48, s33, v66
	;; [unrolled: 1-line block ×16, first 2 shown]
	v_ashrrev_i32_e32 v53, 31, v52
	v_ashrrev_i32_e32 v49, 31, v48
	;; [unrolled: 1-line block ×8, first 2 shown]
	v_lshl_add_u64 v[58:59], v[22:23], 0, v[18:19]
	v_lshl_add_u64 v[60:61], v[20:21], 0, v[18:19]
	;; [unrolled: 1-line block ×3, first 2 shown]
	v_add_u32_e32 v76, s47, v66
	v_add_u32_e32 v78, s48, v66
	v_ashrrev_i32_e32 v57, 31, v56
	v_lshl_add_u64 v[52:53], v[52:53], 2, v[16:17]
	v_ashrrev_i32_e32 v55, 31, v54
	v_lshl_add_u64 v[48:49], v[48:49], 2, v[16:17]
	;; [unrolled: 2-line block ×6, first 2 shown]
	v_lshl_add_u64 v[28:29], v[28:29], 2, v[16:17]
	v_lshl_add_u64 v[32:33], v[32:33], 2, v[16:17]
	v_ashrrev_i32_e32 v35, 31, v34
	v_ashrrev_i32_e32 v75, 31, v74
	v_lshl_add_u64 v[72:73], v[24:25], 0, v[18:19]
	v_add_u32_e32 v80, s49, v66
	v_add_u32_e32 v82, s50, v66
	global_load_dword v69, v[58:59], off
	s_nop 0
	global_load_dword v60, v[60:61], off
	s_nop 0
	global_load_dword v58, v[70:71], off
	global_load_dword v59, v[72:73], off
	v_lshl_add_u64 v[56:57], v[56:57], 2, v[16:17]
	global_load_dword v52, v[52:53], off
	s_nop 0
	global_load_dword v53, v[56:57], off
	v_lshl_add_u64 v[54:55], v[54:55], 2, v[16:17]
	global_load_dword v48, v[48:49], off
	s_nop 0
	;; [unrolled: 4-line block ×6, first 2 shown]
	global_load_dword v31, v[38:39], off
	s_nop 0
	global_load_dword v28, v[28:29], off
	s_nop 0
	global_load_dword v29, v[32:33], off
	v_lshl_add_u64 v[32:33], v[34:35], 2, v[16:17]
	v_lshl_add_u64 v[34:35], v[74:75], 2, v[16:17]
	v_ashrrev_i32_e32 v77, 31, v76
	v_ashrrev_i32_e32 v79, 31, v78
	v_add_u32_e32 v84, s51, v66
	v_add_u32_e32 v86, s52, v66
	global_load_dword v32, v[32:33], off
	s_nop 0
	global_load_dword v33, v[34:35], off
	v_lshl_add_u64 v[34:35], v[76:77], 2, v[16:17]
	v_lshl_add_u64 v[38:39], v[78:79], 2, v[16:17]
	v_ashrrev_i32_e32 v81, 31, v80
	v_ashrrev_i32_e32 v83, 31, v82
	v_add_u32_e32 v88, s53, v66
	v_add_u32_e32 v90, s54, v66
	;; [unrolled: 9-line block ×11, first 2 shown]
	global_load_dword v73, v[74:75], off
	s_nop 0
	global_load_dword v74, v[76:77], off
	v_lshl_add_u64 v[76:77], v[82:83], 2, v[16:17]
	v_lshl_add_u64 v[78:79], v[84:85], 2, v[16:17]
	v_ashrrev_i32_e32 v87, 31, v86
	v_ashrrev_i32_e32 v89, 31, v88
	global_load_dword v75, v[76:77], off
	s_nop 0
	global_load_dword v76, v[78:79], off
	v_lshl_add_u64 v[78:79], v[86:87], 2, v[16:17]
	v_lshl_add_u64 v[80:81], v[88:89], 2, v[16:17]
	v_ashrrev_i32_e32 v91, 31, v90
	v_ashrrev_i32_e32 v93, 31, v92
	v_add_u32_e32 v94, s73, v66
	v_add_u32_e32 v82, s74, v66
	global_load_dword v77, v[78:79], off
	s_nop 0
	global_load_dword v78, v[80:81], off
	v_add_u32_e32 v84, s75, v66
	v_lshl_add_u64 v[80:81], v[90:91], 2, v[16:17]
	v_lshl_add_u64 v[86:87], v[92:93], 2, v[16:17]
	global_load_dword v79, v[80:81], off
	s_nop 0
	global_load_dword v80, v[86:87], off
	v_add_u32_e32 v86, s76, v66
	v_ashrrev_i32_e32 v95, 31, v94
	v_ashrrev_i32_e32 v83, 31, v82
	;; [unrolled: 1-line block ×3, first 2 shown]
	v_lshl_add_u64 v[88:89], v[94:95], 2, v[16:17]
	v_lshl_add_u64 v[82:83], v[82:83], 2, v[16:17]
	v_ashrrev_i32_e32 v87, 31, v86
	v_lshl_add_u64 v[84:85], v[84:85], 2, v[16:17]
	global_load_dword v81, v[88:89], off
	s_nop 0
	global_load_dword v82, v[82:83], off
	v_add_u32_e32 v88, s77, v66
	v_lshl_add_u64 v[86:87], v[86:87], 2, v[16:17]
	global_load_dword v83, v[84:85], off
	global_load_dword v90, v[86:87], off
	v_add_u32_e32 v84, s78, v66
	v_ashrrev_i32_e32 v89, 31, v88
	v_ashrrev_i32_e32 v85, 31, v84
	v_lshl_add_u64 v[86:87], v[88:89], 2, v[16:17]
	v_lshl_add_u64 v[84:85], v[84:85], 2, v[16:17]
	global_load_dword v86, v[86:87], off
	s_nop 0
	global_load_dword v87, v[84:85], off
	v_add_u32_e32 v84, s79, v66
	v_ashrrev_i32_e32 v85, 31, v84
	v_lshl_add_u64 v[84:85], v[84:85], 2, v[16:17]
	global_load_dword v88, v[84:85], off
	v_add_u32_e32 v84, s80, v66
	v_ashrrev_i32_e32 v85, 31, v84
	v_lshl_add_u64 v[84:85], v[84:85], 2, v[16:17]
	;; [unrolled: 4-line block ×26, first 2 shown]
	global_load_dword v114, v[84:85], off
	s_waitcnt vmcnt(62)
	ds_write_b32 v67, v69
	ds_write_b32 v67, v60 offset:264
	ds_write_b32 v67, v52 offset:528
	;; [unrolled: 1-line block ×13, first 2 shown]
	s_waitcnt vmcnt(61)
	ds_write_b32 v67, v28 offset:3696
	s_waitcnt vmcnt(60)
	ds_write_b32 v67, v29 offset:3960
	ds_read_b64 v[28:29], v68
	ds_read_b64 v[30:31], v68 offset:32
	ds_read_b64 v[36:37], v68 offset:64
	ds_read_b64 v[40:41], v68 offset:96
	ds_read_b64 v[44:45], v68 offset:128
	ds_read_b64 v[48:49], v68 offset:160
	ds_read_b64 v[52:53], v68 offset:192
	ds_read_b64 v[84:85], v68 offset:224
	s_waitcnt vmcnt(59)
	ds_write_b32 v67, v32
	s_waitcnt vmcnt(58)
	ds_write_b32 v67, v33 offset:264
	s_waitcnt vmcnt(57)
	ds_write_b32 v67, v34 offset:528
	s_waitcnt vmcnt(56)
	ds_write_b32 v67, v35 offset:792
	s_waitcnt vmcnt(55)
	ds_write_b32 v67, v38 offset:1056
	s_waitcnt vmcnt(54)
	ds_write_b32 v67, v39 offset:1320
	s_waitcnt vmcnt(53)
	ds_write_b32 v67, v42 offset:1584
	s_waitcnt vmcnt(52)
	ds_write_b32 v67, v43 offset:1848
	s_waitcnt vmcnt(51)
	ds_write_b32 v67, v46 offset:2112
	s_waitcnt vmcnt(50)
	ds_write_b32 v67, v47 offset:2376
	s_waitcnt vmcnt(49)
	ds_write_b32 v67, v50 offset:2640
	s_waitcnt vmcnt(48)
	ds_write_b32 v67, v51 offset:2904
	s_waitcnt vmcnt(47)
	ds_write_b32 v67, v54 offset:3168
	s_waitcnt vmcnt(46)
	ds_write_b32 v67, v55 offset:3432
	s_waitcnt vmcnt(45)
	ds_write_b32 v67, v56 offset:3696
	s_waitcnt vmcnt(44)
	ds_write_b32 v67, v57 offset:3960
	ds_read_b64 v[32:33], v68
	ds_read_b64 v[34:35], v68 offset:32
	ds_read_b64 v[38:39], v68 offset:64
	ds_read_b64 v[42:43], v68 offset:96
	ds_read_b64 v[46:47], v68 offset:128
	ds_read_b64 v[50:51], v68 offset:160
	ds_read_b64 v[54:55], v68 offset:192
	ds_read_b64 v[56:57], v68 offset:224
	s_waitcnt vmcnt(43)
	ds_write_b32 v67, v61
	s_waitcnt vmcnt(42)
	ds_write_b32 v67, v70 offset:264
	s_waitcnt vmcnt(41)
	ds_write_b32 v67, v71 offset:528
	s_waitcnt vmcnt(40)
	ds_write_b32 v67, v72 offset:792
	s_waitcnt vmcnt(39)
	ds_write_b32 v67, v73 offset:1056
	s_waitcnt vmcnt(38)
	ds_write_b32 v67, v74 offset:1320
	s_waitcnt vmcnt(37)
	ds_write_b32 v67, v75 offset:1584
	s_waitcnt vmcnt(36)
	ds_write_b32 v67, v76 offset:1848
	s_waitcnt vmcnt(35)
	ds_write_b32 v67, v77 offset:2112
	s_waitcnt vmcnt(34)
	ds_write_b32 v67, v78 offset:2376
	s_waitcnt vmcnt(33)
	ds_write_b32 v67, v79 offset:2640
	s_waitcnt vmcnt(32)
	ds_write_b32 v67, v80 offset:2904
	s_waitcnt vmcnt(31)
	ds_write_b32 v67, v81 offset:3168
	s_waitcnt vmcnt(30)
	ds_write_b32 v67, v82 offset:3432
	;; [unrolled: 40-line block ×3, first 2 shown]
	s_waitcnt vmcnt(13)
	ds_write_b32 v67, v101 offset:3696
	s_waitcnt vmcnt(12)
	ds_write_b32 v67, v102 offset:3960
	ds_read_b64 v[86:87], v68
	ds_read_b64 v[88:89], v68 offset:32
	ds_read_b64 v[90:91], v68 offset:64
	;; [unrolled: 1-line block ×7, first 2 shown]
	ds_write_b32 v67, v58
	ds_write_b32 v67, v59 offset:264
	s_waitcnt vmcnt(11)
	ds_write_b32 v67, v103 offset:528
	s_waitcnt vmcnt(10)
	ds_write_b32 v67, v104 offset:792
	s_waitcnt vmcnt(9)
	ds_write_b32 v67, v105 offset:1056
	s_waitcnt vmcnt(8)
	ds_write_b32 v67, v106 offset:1320
	s_waitcnt vmcnt(7)
	ds_write_b32 v67, v107 offset:1584
	s_waitcnt vmcnt(6)
	ds_write_b32 v67, v108 offset:1848
	s_waitcnt vmcnt(5)
	ds_write_b32 v67, v109 offset:2112
	s_waitcnt vmcnt(4)
	ds_write_b32 v67, v110 offset:2376
	s_waitcnt vmcnt(3)
	ds_write_b32 v67, v111 offset:2640
	s_waitcnt vmcnt(2)
	ds_write_b32 v67, v112 offset:2904
	s_waitcnt vmcnt(1)
	ds_write_b32 v67, v113 offset:3168
	s_waitcnt vmcnt(0)
	ds_write_b32 v67, v114 offset:3432
	ds_write_b32 v67, v19 offset:3696
	ds_write_b32 v67, v19 offset:3960
	ds_read_b64 v[58:59], v68
	s_waitcnt lgkmcnt(0)
	v_mfma_f32_16x16x8_xf32 v[8:11], v[28:29], v[58:59], v[8:11]
	ds_read_b64 v[28:29], v68 offset:32
	v_add_u32_e32 v66, 0x140, v66
	v_cmp_le_i32_e32 vcc, s5, v66
	v_mfma_f32_16x16x8_xf32 v[4:7], v[32:33], v[58:59], v[4:7]
	v_lshl_add_u64 v[20:21], v[20:21], 0, s[12:13]
	v_lshl_add_u64 v[22:23], v[22:23], 0, s[12:13]
	;; [unrolled: 1-line block ×3, first 2 shown]
	v_mfma_f32_16x16x8_xf32 v[0:3], v[60:61], v[58:59], v[0:3]
	s_or_b64 s[8:9], vcc, s[8:9]
	v_lshl_add_u64 v[26:27], v[26:27], 0, s[12:13]
	v_mfma_f32_16x16x8_xf32 v[12:15], v[86:87], v[58:59], v[12:15]
	s_waitcnt lgkmcnt(0)
	v_mfma_f32_16x16x8_xf32 v[8:11], v[30:31], v[28:29], v[8:11]
	v_mfma_f32_16x16x8_xf32 v[4:7], v[34:35], v[28:29], v[4:7]
	v_mfma_f32_16x16x8_xf32 v[0:3], v[70:71], v[28:29], v[0:3]
	v_mfma_f32_16x16x8_xf32 v[12:15], v[88:89], v[28:29], v[12:15]
	ds_read_b64 v[28:29], v68 offset:64
	s_waitcnt lgkmcnt(0)
	v_mfma_f32_16x16x8_xf32 v[8:11], v[36:37], v[28:29], v[8:11]
	v_mfma_f32_16x16x8_xf32 v[4:7], v[38:39], v[28:29], v[4:7]
	v_mfma_f32_16x16x8_xf32 v[0:3], v[72:73], v[28:29], v[0:3]
	v_mfma_f32_16x16x8_xf32 v[12:15], v[90:91], v[28:29], v[12:15]
	ds_read_b64 v[28:29], v68 offset:96
	;; [unrolled: 6-line block ×6, first 2 shown]
	s_waitcnt lgkmcnt(0)
	v_mfma_f32_16x16x8_xf32 v[8:11], v[84:85], v[28:29], v[8:11]
	v_mfma_f32_16x16x8_xf32 v[4:7], v[56:57], v[28:29], v[4:7]
	v_mfma_f32_16x16x8_xf32 v[0:3], v[82:83], v[28:29], v[0:3]
	v_mfma_f32_16x16x8_xf32 v[12:15], v[100:101], v[28:29], v[12:15]
	s_andn2_b64 exec, exec, s[8:9]
	s_cbranch_execnz .LBB89_4
; %bb.5:
	s_or_b64 exec, exec, s[8:9]
.LBB89_6:
	s_or_b64 exec, exec, s[24:25]
	v_mul_u32_u24_e32 v16, 0x508, v65
	v_lshlrev_b32_e32 v17, 2, v64
	s_waitcnt lgkmcnt(0)
	s_mul_hi_i32 s1, s15, s4
	s_mul_i32 s0, s15, s4
	v_add3_u32 v16, 0, v16, v17
	v_and_b32_e32 v17, 0x3f0, v63
	s_lshl_b64 s[0:1], s[0:1], 2
	v_add_u32_e32 v17, v16, v17
	s_mul_i32 s4, s3, s11
	s_add_u32 s3, s6, s0
	s_barrier
	ds_write2_b32 v17, v8, v9 offset1:1
	ds_write_b32 v17, v10 offset:8
	v_or_b32_e32 v8, 12, v63
	s_addc_u32 s6, s7, s1
	s_ashr_i32 s5, s4, 31
	v_and_b32_e32 v8, 0x3fc, v8
	s_lshl_b64 s[0:1], s[4:5], 2
	v_add_u32_e32 v8, v16, v8
	s_add_u32 s0, s3, s0
	s_movk_i32 s3, 0x508
	ds_write_b32 v8, v11
	ds_write2_b32 v17, v4, v5 offset0:16 offset1:17
	ds_write_b32 v17, v6 offset:72
	ds_write_b32 v8, v7 offset:64
	ds_write2_b32 v17, v0, v1 offset0:32 offset1:33
	ds_write_b32 v17, v2 offset:136
	ds_write_b32 v8, v3 offset:128
	;; [unrolled: 3-line block ×3, first 2 shown]
	v_lshl_add_u32 v2, v63, 2, 0
	v_mad_u32_u24 v3, v62, s3, v2
	s_waitcnt lgkmcnt(0)
	s_barrier
	ds_read2st64_b32 v[0:1], v3 offset1:1
	ds_read2st64_b32 v[4:5], v3 offset0:2 offset1:3
	ds_read_b32 v6, v3 offset:1024
	ds_read_b32 v10, v3 offset:7464
	v_add_u32_e32 v3, 40, v3
	s_addc_u32 s1, s6, s1
	v_cmp_gt_u32_e32 vcc, 4, v62
	s_waitcnt lgkmcnt(3)
	v_add_f32_e32 v0, 0, v0
	v_add_f32_e32 v0, v0, v1
	s_waitcnt lgkmcnt(2)
	v_add_f32_e32 v0, v0, v4
	v_add_f32_e32 v0, v0, v5
	ds_read2st64_b32 v[4:5], v3 offset0:25 offset1:26
	s_waitcnt lgkmcnt(2)
	v_add_f32_e32 v11, v0, v6
	ds_read2st64_b32 v[6:7], v3 offset0:27 offset1:28
	v_mul_lo_u32 v0, v62, s18
	v_add3_u32 v0, s2, v63, v0
	s_waitcnt lgkmcnt(1)
	v_add_f32_e32 v3, 0, v4
	v_add_f32_e32 v3, v3, v5
	v_mov_b32_e32 v1, 0
	s_waitcnt lgkmcnt(0)
	v_add_f32_e32 v3, v3, v6
	s_mul_i32 s2, s18, 5
	v_lshl_add_u64 v[8:9], v[0:1], 2, s[0:1]
	v_add_f32_e32 v3, v3, v7
	v_add_u32_e32 v0, s2, v0
	v_add_f32_e32 v3, v3, v10
	v_lshl_add_u64 v[4:5], v[0:1], 2, s[0:1]
	global_store_dword v[8:9], v11, off
	global_store_dword v[4:5], v3, off
	s_and_saveexec_b64 s[4:5], vcc
	s_cbranch_execz .LBB89_8
; %bb.7:
	v_mul_u32_u24_e32 v3, 0x508, v62
	v_add_u32_e32 v6, v2, v3
	v_add_u32_e32 v4, 0x50, v6
	ds_read2st64_b32 v[2:3], v4 offset0:50 offset1:51
	ds_read2st64_b32 v[4:5], v4 offset0:52 offset1:53
	ds_read_b32 v6, v6 offset:13904
	v_add_u32_e32 v0, s2, v0
	v_lshl_add_u64 v[0:1], v[0:1], 2, s[0:1]
	s_waitcnt lgkmcnt(2)
	v_add_f32_e32 v2, 0, v2
	v_add_f32_e32 v2, v2, v3
	s_waitcnt lgkmcnt(1)
	v_add_f32_e32 v2, v2, v4
	v_add_f32_e32 v2, v2, v5
	s_waitcnt lgkmcnt(0)
	v_add_f32_e32 v2, v2, v6
	global_store_dword v[0:1], v2, off
.LBB89_8:
	s_endpgm
	.section	.rodata,"a",@progbits
	.p2align	6, 0x0
	.amdhsa_kernel _ZL9mul_mat_fIfLi64ELi14ELi5ELb0EEvPKT_PKfPKiPfiiiiiiiiiiiiiiii
		.amdhsa_group_segment_fixed_size 0
		.amdhsa_private_segment_fixed_size 0
		.amdhsa_kernarg_size 96
		.amdhsa_user_sgpr_count 2
		.amdhsa_user_sgpr_dispatch_ptr 0
		.amdhsa_user_sgpr_queue_ptr 0
		.amdhsa_user_sgpr_kernarg_segment_ptr 1
		.amdhsa_user_sgpr_dispatch_id 0
		.amdhsa_user_sgpr_kernarg_preload_length 0
		.amdhsa_user_sgpr_kernarg_preload_offset 0
		.amdhsa_user_sgpr_private_segment_size 0
		.amdhsa_uses_dynamic_stack 0
		.amdhsa_enable_private_segment 0
		.amdhsa_system_sgpr_workgroup_id_x 1
		.amdhsa_system_sgpr_workgroup_id_y 1
		.amdhsa_system_sgpr_workgroup_id_z 1
		.amdhsa_system_sgpr_workgroup_info 0
		.amdhsa_system_vgpr_workitem_id 1
		.amdhsa_next_free_vgpr 115
		.amdhsa_next_free_sgpr 92
		.amdhsa_accum_offset 116
		.amdhsa_reserve_vcc 1
		.amdhsa_float_round_mode_32 0
		.amdhsa_float_round_mode_16_64 0
		.amdhsa_float_denorm_mode_32 3
		.amdhsa_float_denorm_mode_16_64 3
		.amdhsa_dx10_clamp 1
		.amdhsa_ieee_mode 1
		.amdhsa_fp16_overflow 0
		.amdhsa_tg_split 0
		.amdhsa_exception_fp_ieee_invalid_op 0
		.amdhsa_exception_fp_denorm_src 0
		.amdhsa_exception_fp_ieee_div_zero 0
		.amdhsa_exception_fp_ieee_overflow 0
		.amdhsa_exception_fp_ieee_underflow 0
		.amdhsa_exception_fp_ieee_inexact 0
		.amdhsa_exception_int_div_zero 0
	.end_amdhsa_kernel
	.section	.text._ZL9mul_mat_fIfLi64ELi14ELi5ELb0EEvPKT_PKfPKiPfiiiiiiiiiiiiiiii,"axG",@progbits,_ZL9mul_mat_fIfLi64ELi14ELi5ELb0EEvPKT_PKfPKiPfiiiiiiiiiiiiiiii,comdat
.Lfunc_end89:
	.size	_ZL9mul_mat_fIfLi64ELi14ELi5ELb0EEvPKT_PKfPKiPfiiiiiiiiiiiiiiii, .Lfunc_end89-_ZL9mul_mat_fIfLi64ELi14ELi5ELb0EEvPKT_PKfPKiPfiiiiiiiiiiiiiiii
                                        ; -- End function
	.section	.AMDGPU.csdata,"",@progbits
; Kernel info:
; codeLenInByte = 5076
; NumSgprs: 98
; NumVgprs: 115
; NumAgprs: 0
; TotalNumVgprs: 115
; ScratchSize: 0
; MemoryBound: 0
; FloatMode: 240
; IeeeMode: 1
; LDSByteSize: 0 bytes/workgroup (compile time only)
; SGPRBlocks: 12
; VGPRBlocks: 14
; NumSGPRsForWavesPerEU: 98
; NumVGPRsForWavesPerEU: 115
; AccumOffset: 116
; Occupancy: 4
; WaveLimiterHint : 0
; COMPUTE_PGM_RSRC2:SCRATCH_EN: 0
; COMPUTE_PGM_RSRC2:USER_SGPR: 2
; COMPUTE_PGM_RSRC2:TRAP_HANDLER: 0
; COMPUTE_PGM_RSRC2:TGID_X_EN: 1
; COMPUTE_PGM_RSRC2:TGID_Y_EN: 1
; COMPUTE_PGM_RSRC2:TGID_Z_EN: 1
; COMPUTE_PGM_RSRC2:TIDIG_COMP_CNT: 1
; COMPUTE_PGM_RSRC3_GFX90A:ACCUM_OFFSET: 28
; COMPUTE_PGM_RSRC3_GFX90A:TG_SPLIT: 0
	.section	.text._ZL13mul_mat_f_idsIfLi64ELi14ELi6EEvPKT_PKfPKiS6_S6_Pfiiiiiiiiiiiiii15HIP_vector_typeIjLj3EES9_,"axG",@progbits,_ZL13mul_mat_f_idsIfLi64ELi14ELi6EEvPKT_PKfPKiS6_S6_Pfiiiiiiiiiiiiii15HIP_vector_typeIjLj3EES9_,comdat
	.globl	_ZL13mul_mat_f_idsIfLi64ELi14ELi6EEvPKT_PKfPKiS6_S6_Pfiiiiiiiiiiiiii15HIP_vector_typeIjLj3EES9_ ; -- Begin function _ZL13mul_mat_f_idsIfLi64ELi14ELi6EEvPKT_PKfPKiS6_S6_Pfiiiiiiiiiiiiii15HIP_vector_typeIjLj3EES9_
	.p2align	8
	.type	_ZL13mul_mat_f_idsIfLi64ELi14ELi6EEvPKT_PKfPKiS6_S6_Pfiiiiiiiiiiiiii15HIP_vector_typeIjLj3EES9_,@function
_ZL13mul_mat_f_idsIfLi64ELi14ELi6EEvPKT_PKfPKiS6_S6_Pfiiiiiiiiiiiiii15HIP_vector_typeIjLj3EES9_: ; @_ZL13mul_mat_f_idsIfLi64ELi14ELi6EEvPKT_PKfPKiS6_S6_Pfiiiiiiiiiiiiii15HIP_vector_typeIjLj3EES9_
; %bb.0:
	s_load_dwordx2 s[6:7], s[0:1], 0x20
	s_mov_b32 s34, s3
	s_ashr_i32 s35, s3, 31
	s_lshl_b64 s[8:9], s[34:35], 2
	s_waitcnt lgkmcnt(0)
	s_add_u32 s6, s6, s8
	s_addc_u32 s7, s7, s9
	s_load_dwordx2 s[26:27], s[6:7], 0x0
	s_waitcnt lgkmcnt(0)
	s_sub_i32 s33, s27, s26
	s_add_i32 s3, s33, 13
	s_mul_hi_i32 s5, s3, 0x92492493
	s_add_i32 s5, s5, s3
	s_lshr_b32 s3, s5, 31
	s_ashr_i32 s5, s5, 3
	s_add_i32 s5, s5, s3
	s_cmp_ge_i32 s4, s5
	s_cbranch_scc1 .LBB90_59
; %bb.1:
	v_bfe_u32 v16, v0, 10, 10
	v_lshlrev_b32_e32 v86, 6, v16
	v_and_b32_e32 v17, 0x3ff, v0
	s_load_dwordx4 s[12:15], s[0:1], 0x30
	s_load_dwordx2 s[20:21], s[0:1], 0x40
	s_load_dwordx4 s[8:11], s[0:1], 0x4c
	s_load_dwordx4 s[16:19], s[0:1], 0x68
	s_load_dwordx2 s[24:25], s[0:1], 0x78
	v_add_u32_e32 v88, v86, v17
	s_ashr_i32 s27, s26, 31
	s_waitcnt lgkmcnt(0)
	v_cmp_le_i32_e32 vcc, s12, v88
	v_and_b32_e32 v87, 15, v17
                                        ; implicit-def: $sgpr3
	s_and_saveexec_b64 s[6:7], vcc
	s_xor_b64 s[6:7], exec, s[6:7]
; %bb.2:
	v_and_b32_e32 v87, 15, v17
	s_mov_b32 s3, 0
                                        ; implicit-def: $vgpr88
; %bb.3:
	s_or_saveexec_b64 s[28:29], s[6:7]
	s_load_dwordx2 s[22:23], s[0:1], 0x18
	s_load_dwordx2 s[6:7], s[0:1], 0x28
                                        ; implicit-def: $vgpr106 : SGPR spill to VGPR lane
	s_lshl_b32 s11, s2, 6
	s_mul_i32 s2, s4, 14
	v_mov_b32_e32 v15, s3
	v_mov_b32_e32 v14, s3
	s_waitcnt lgkmcnt(0)
	v_writelane_b32 v106, s6, 0
	v_mov_b32_e32 v13, s3
	v_mov_b32_e32 v12, s3
	;; [unrolled: 1-line block ×14, first 2 shown]
	v_writelane_b32 v106, s7, 1
	s_xor_b64 exec, exec, s[28:29]
	s_cbranch_execz .LBB90_49
; %bb.4:
	v_writelane_b32 v106, s28, 2
	s_movk_i32 s3, 0x1080
	v_mad_u32_u24 v1, v16, s3, 0
	v_writelane_b32 v106, s29, 3
	v_writelane_b32 v106, s22, 4
	v_lshrrev_b32_e32 v3, 1, v17
	v_mov_b32_e32 v19, 0
	v_writelane_b32 v106, s23, 5
	v_writelane_b32 v106, s24, 6
	s_load_dwordx4 s[4:7], s[0:1], 0x0
	s_load_dwordx2 s[22:23], s[0:1], 0x10
	v_writelane_b32 v106, s25, 7
	s_mul_i32 s0, s34, s8
	s_mul_i32 s24, s11, s15
	s_ashr_i32 s1, s0, 31
	s_ashr_i32 s25, s24, 31
	s_lshl_b64 s[24:25], s[24:25], 2
	s_lshl_b64 s[0:1], s[0:1], 2
	s_add_u32 s24, s0, s24
	v_writelane_b32 v106, s11, 8
	s_addc_u32 s25, s1, s25
	s_waitcnt lgkmcnt(0)
	s_add_u32 s0, s24, s4
	v_writelane_b32 v106, s26, 9
	s_addc_u32 s1, s25, s5
	v_lshlrev_b32_e32 v0, 2, v17
	v_writelane_b32 v106, s27, 10
	s_lshl_b64 s[26:27], s[26:27], 2
	s_add_u32 s8, s22, s26
	s_addc_u32 s11, s23, s27
	s_cmp_lt_i32 s2, s33
	s_cselect_b64 s[34:35], -1, 0
	s_ashr_i32 s3, s2, 31
	s_lshl_b64 s[22:23], s[2:3], 2
	s_add_u32 s36, s8, s22
	s_addc_u32 s37, s11, s23
	s_or_b32 s3, s2, 1
	s_cmp_lt_i32 s3, s33
	s_cselect_b64 s[38:39], -1, 0
	s_add_i32 s3, s2, 2
	s_cmp_lt_i32 s3, s33
	s_cselect_b64 s[40:41], -1, 0
	s_add_i32 s3, s2, 3
	s_cmp_lt_i32 s3, s33
	s_cselect_b64 s[42:43], -1, 0
	s_add_i32 s3, s2, 4
	v_mul_u32_u24_e32 v2, 0x108, v87
	v_and_b32_e32 v3, 0x1f8, v3
	s_cmp_lt_i32 s3, s33
	v_lshlrev_b32_e32 v18, 8, v16
	v_add_u32_e32 v89, v1, v0
	v_add3_u32 v90, v1, v2, v3
	s_cselect_b64 s[44:45], -1, 0
	s_add_i32 s3, s2, 5
	v_lshl_add_u64 v[2:3], s[24:25], 0, v[18:19]
	v_mov_b32_e32 v1, v19
	s_cmp_lt_i32 s3, s33
	v_lshl_add_u64 v[0:1], v[2:3], 0, v[0:1]
	s_cselect_b64 s[46:47], -1, 0
	s_add_i32 s3, s2, 6
	v_lshl_add_u64 v[20:21], s[4:5], 0, v[0:1]
	s_mul_i32 s4, s15, 3
	s_cmp_lt_i32 s3, s33
	v_writelane_b32 v106, s4, 11
	s_mul_i32 s4, s15, 5
	s_cselect_b64 s[48:49], -1, 0
	s_add_i32 s3, s2, 7
	v_writelane_b32 v106, s4, 12
	s_mul_i32 s4, s15, 6
	s_cmp_lt_i32 s3, s33
	v_writelane_b32 v106, s4, 13
	s_mul_i32 s4, s15, 7
	s_cselect_b64 s[50:51], -1, 0
	s_add_i32 s3, s2, 8
	v_writelane_b32 v106, s4, 14
	;; [unrolled: 7-line block ×7, first 2 shown]
	s_mul_i32 s4, s15, 20
	s_cmp_lt_i32 s3, s33
	v_writelane_b32 v106, s4, 25
	s_mul_i32 s4, s15, 21
	s_cselect_b64 s[62:63], -1, 0
	s_ashr_i32 s23, s15, 31
	s_mov_b32 s22, s15
	v_writelane_b32 v106, s4, 26
	s_mul_i32 s4, s15, 22
	s_lshl_b64 s[64:65], s[22:23], 2
	s_lshl_b32 s3, s15, 1
	s_lshl_b32 s68, s15, 2
	;; [unrolled: 1-line block ×4, first 2 shown]
	v_writelane_b32 v106, s4, 27
	s_mul_i32 s87, s15, 23
	s_mul_i32 s88, s15, 24
	;; [unrolled: 1-line block ×5, first 2 shown]
	v_mov_b32_e32 v8, 0
	v_mov_b32_e32 v9, v19
	;; [unrolled: 1-line block ×16, first 2 shown]
	s_mul_i32 s92, s15, 28
	s_mul_i32 s93, s15, 29
	s_mul_i32 s94, s15, 30
	s_mul_i32 s95, s15, 31
	s_lshl_b32 s96, s15, 5
	s_mul_i32 s97, s15, 33
	s_mul_i32 s98, s15, 34
	;; [unrolled: 1-line block ×31, first 2 shown]
	s_mov_b64 s[4:5], 0
	s_mov_b64 s[66:67], 0x600
	s_branch .LBB90_6
.LBB90_5:                               ;   in Loop: Header=BB90_6 Depth=1
	s_waitcnt vmcnt(0)
	ds_write2_b32 v89, v18, v92 offset1:66
	ds_write2_b32 v89, v91, v94 offset0:132 offset1:198
	v_add_u32_e32 v18, 0x400, v89
	ds_write2_b32 v18, v93, v96 offset0:8 offset1:74
	ds_write2_b32 v18, v95, v98 offset0:140 offset1:206
	v_add_u32_e32 v18, 0x800, v89
	ds_write2_b32 v18, v97, v100 offset0:16 offset1:82
	;; [unrolled: 3-line block ×3, first 2 shown]
	ds_write2_b32 v18, v19, v19 offset0:156 offset1:222
	ds_read2_b64 v[92:95], v90 offset1:4
	v_add_u32_e32 v88, 0x180, v88
	s_waitcnt lgkmcnt(0)
	v_mfma_f32_16x16x8_xf32 v[0:3], v[70:71], v[92:93], v[0:3]
	v_cmp_le_i32_e32 vcc, s12, v88
	v_lshl_add_u64 v[20:21], v[20:21], 0, s[66:67]
	s_or_b64 s[4:5], vcc, s[4:5]
	v_mfma_f32_16x16x8_xf32 v[8:11], v[38:39], v[92:93], v[8:11]
	v_mfma_f32_16x16x8_xf32 v[4:7], v[54:55], v[92:93], v[4:7]
	v_mfma_f32_16x16x8_xf32 v[12:15], v[84:85], v[92:93], v[12:15]
	v_mfma_f32_16x16x8_xf32 v[0:3], v[68:69], v[94:95], v[0:3]
	ds_read2_b64 v[68:71], v90 offset0:8 offset1:12
	v_mfma_f32_16x16x8_xf32 v[8:11], v[34:35], v[94:95], v[8:11]
	v_mfma_f32_16x16x8_xf32 v[4:7], v[50:51], v[94:95], v[4:7]
	v_mfma_f32_16x16x8_xf32 v[12:15], v[82:83], v[94:95], v[12:15]
	s_waitcnt lgkmcnt(0)
	v_mfma_f32_16x16x8_xf32 v[8:11], v[32:33], v[68:69], v[8:11]
	v_mfma_f32_16x16x8_xf32 v[4:7], v[48:49], v[68:69], v[4:7]
	v_mfma_f32_16x16x8_xf32 v[0:3], v[66:67], v[68:69], v[0:3]
	v_mfma_f32_16x16x8_xf32 v[12:15], v[78:79], v[68:69], v[12:15]
	v_mfma_f32_16x16x8_xf32 v[8:11], v[30:31], v[70:71], v[8:11]
	ds_read2_b64 v[30:33], v90 offset0:16 offset1:20
	v_mfma_f32_16x16x8_xf32 v[4:7], v[46:47], v[70:71], v[4:7]
	v_mfma_f32_16x16x8_xf32 v[0:3], v[64:65], v[70:71], v[0:3]
	v_mfma_f32_16x16x8_xf32 v[12:15], v[74:75], v[70:71], v[12:15]
	s_waitcnt lgkmcnt(0)
	v_mfma_f32_16x16x8_xf32 v[8:11], v[28:29], v[30:31], v[8:11]
	;; [unrolled: 10-line block ×3, first 2 shown]
	v_mfma_f32_16x16x8_xf32 v[4:7], v[40:41], v[26:27], v[4:7]
	v_mfma_f32_16x16x8_xf32 v[0:3], v[56:57], v[26:27], v[0:3]
	;; [unrolled: 1-line block ×7, first 2 shown]
	s_andn2_b64 exec, exec, s[4:5]
	s_cbranch_execz .LBB90_48
.LBB90_6:                               ; =>This Inner Loop Header: Depth=1
	v_readlane_b32 s86, v106, 11
	v_lshl_add_u64 v[22:23], v[20:21], 0, s[64:65]
	global_load_dword v18, v[20:21], off
	global_load_dword v48, v[22:23], off
	v_add_u32_e32 v24, s86, v88
	v_readlane_b32 s86, v106, 12
	v_add_u32_e32 v22, s3, v88
	v_ashrrev_i32_e32 v23, 31, v22
	v_add_u32_e32 v28, s86, v88
	v_readlane_b32 s86, v106, 13
	v_add_u32_e32 v26, s68, v88
	v_lshl_add_u64 v[22:23], v[22:23], 2, s[0:1]
	v_add_u32_e32 v30, s86, v88
	v_readlane_b32 s86, v106, 14
	v_ashrrev_i32_e32 v25, 31, v24
	v_ashrrev_i32_e32 v27, 31, v26
	v_add_u32_e32 v32, s86, v88
	v_ashrrev_i32_e32 v29, 31, v28
	v_ashrrev_i32_e32 v31, 31, v30
	;; [unrolled: 1-line block ×3, first 2 shown]
	v_lshl_add_u64 v[24:25], v[24:25], 2, s[0:1]
	v_lshl_add_u64 v[26:27], v[26:27], 2, s[0:1]
	;; [unrolled: 1-line block ×5, first 2 shown]
	global_load_dword v49, v[22:23], off
	global_load_dword v50, v[24:25], off
	;; [unrolled: 1-line block ×6, first 2 shown]
	v_readlane_b32 s86, v106, 15
	v_add_u32_e32 v22, s72, v88
	v_add_u32_e32 v38, s80, v88
	;; [unrolled: 1-line block ×3, first 2 shown]
	v_readlane_b32 s86, v106, 16
	v_ashrrev_i32_e32 v23, 31, v22
	v_ashrrev_i32_e32 v25, 31, v24
	v_add_u32_e32 v26, s86, v88
	v_readlane_b32 s86, v106, 17
	v_ashrrev_i32_e32 v27, 31, v26
	v_ashrrev_i32_e32 v39, 31, v38
	v_add_u32_e32 v28, s86, v88
	v_readlane_b32 s86, v106, 18
	v_ashrrev_i32_e32 v29, 31, v28
	v_lshl_add_u64 v[22:23], v[22:23], 2, s[0:1]
	v_add_u32_e32 v30, s86, v88
	v_readlane_b32 s86, v106, 19
	v_ashrrev_i32_e32 v31, 31, v30
	v_lshl_add_u64 v[24:25], v[24:25], 2, s[0:1]
	v_add_u32_e32 v32, s86, v88
	v_readlane_b32 s86, v106, 20
	v_ashrrev_i32_e32 v33, 31, v32
	v_lshl_add_u64 v[26:27], v[26:27], 2, s[0:1]
	v_add_u32_e32 v34, s86, v88
	v_readlane_b32 s86, v106, 21
	v_ashrrev_i32_e32 v35, 31, v34
	v_lshl_add_u64 v[28:29], v[28:29], 2, s[0:1]
	v_add_u32_e32 v36, s86, v88
	v_readlane_b32 s86, v106, 22
	v_ashrrev_i32_e32 v37, 31, v36
	v_lshl_add_u64 v[30:31], v[30:31], 2, s[0:1]
	v_add_u32_e32 v40, s86, v88
	v_readlane_b32 s86, v106, 23
	v_ashrrev_i32_e32 v41, 31, v40
	v_lshl_add_u64 v[40:41], v[40:41], 2, s[0:1]
	v_add_u32_e32 v42, s86, v88
	v_readlane_b32 s86, v106, 24
	v_lshl_add_u64 v[32:33], v[32:33], 2, s[0:1]
	v_lshl_add_u64 v[34:35], v[34:35], 2, s[0:1]
	v_add_u32_e32 v44, s86, v88
	v_readlane_b32 s86, v106, 25
	v_lshl_add_u64 v[36:37], v[36:37], 2, s[0:1]
	v_lshl_add_u64 v[38:39], v[38:39], 2, s[0:1]
	v_add_u32_e32 v46, s86, v88
	v_readlane_b32 s86, v106, 26
	global_load_dword v55, v[22:23], off
	global_load_dword v56, v[24:25], off
	;; [unrolled: 1-line block ×9, first 2 shown]
	s_nop 0
	global_load_dword v40, v[40:41], off
	v_add_u32_e32 v22, s86, v88
	v_readlane_b32 s86, v106, 27
	v_ashrrev_i32_e32 v43, 31, v42
	v_ashrrev_i32_e32 v45, 31, v44
	;; [unrolled: 1-line block ×4, first 2 shown]
	v_add_u32_e32 v24, s86, v88
	v_add_u32_e32 v26, s87, v88
	;; [unrolled: 1-line block ×4, first 2 shown]
	v_lshl_add_u64 v[42:43], v[42:43], 2, s[0:1]
	v_lshl_add_u64 v[44:45], v[44:45], 2, s[0:1]
	;; [unrolled: 1-line block ×4, first 2 shown]
	s_waitcnt vmcnt(17)
	ds_write_b32 v89, v18
	s_waitcnt vmcnt(16)
	ds_write_b32 v89, v48 offset:264
	s_waitcnt vmcnt(15)
	ds_write_b32 v89, v49 offset:528
	;; [unrolled: 2-line block ×7, first 2 shown]
	v_ashrrev_i32_e32 v25, 31, v24
	v_ashrrev_i32_e32 v27, 31, v26
	;; [unrolled: 1-line block ×4, first 2 shown]
	v_lshl_add_u64 v[24:25], v[24:25], 2, s[0:1]
	v_lshl_add_u64 v[26:27], v[26:27], 2, s[0:1]
	;; [unrolled: 1-line block ×4, first 2 shown]
	global_load_dword v18, v[42:43], off
	global_load_dword v41, v[44:45], off
	s_nop 0
	global_load_dword v42, v[46:47], off
	global_load_dword v43, v[22:23], off
	global_load_dword v44, v[24:25], off
	global_load_dword v45, v[26:27], off
	s_nop 0
	global_load_dword v46, v[28:29], off
	global_load_dword v47, v[30:31], off
	v_add_u32_e32 v22, s90, v88
	v_ashrrev_i32_e32 v23, 31, v22
	v_add_u32_e32 v24, s91, v88
	v_add_u32_e32 v26, s92, v88
	v_add_u32_e32 v28, s93, v88
	v_add_u32_e32 v30, s94, v88
	v_add_u32_e32 v32, s95, v88
	v_add_u32_e32 v34, s96, v88
	v_add_u32_e32 v36, s97, v88
	v_lshl_add_u64 v[22:23], v[22:23], 2, s[0:1]
	v_ashrrev_i32_e32 v25, 31, v24
	v_ashrrev_i32_e32 v27, 31, v26
	v_ashrrev_i32_e32 v29, 31, v28
	v_ashrrev_i32_e32 v31, 31, v30
	v_ashrrev_i32_e32 v33, 31, v32
	v_ashrrev_i32_e32 v35, 31, v34
	v_ashrrev_i32_e32 v37, 31, v36
	v_lshl_add_u64 v[24:25], v[24:25], 2, s[0:1]
	v_lshl_add_u64 v[26:27], v[26:27], 2, s[0:1]
	v_lshl_add_u64 v[28:29], v[28:29], 2, s[0:1]
	v_lshl_add_u64 v[30:31], v[30:31], 2, s[0:1]
	v_lshl_add_u64 v[32:33], v[32:33], 2, s[0:1]
	v_lshl_add_u64 v[34:35], v[34:35], 2, s[0:1]
	v_lshl_add_u64 v[36:37], v[36:37], 2, s[0:1]
	global_load_dword v48, v[22:23], off
	global_load_dword v49, v[24:25], off
	global_load_dword v50, v[26:27], off
	global_load_dword v51, v[28:29], off
	global_load_dword v52, v[30:31], off
	global_load_dword v53, v[32:33], off
	global_load_dword v64, v[34:35], off
	global_load_dword v65, v[36:37], off
	v_add_u32_e32 v22, s98, v88
	v_ashrrev_i32_e32 v23, 31, v22
	v_add_u32_e32 v24, s99, v88
	v_add_u32_e32 v26, s24, v88
	v_add_u32_e32 v28, s25, v88
	v_add_u32_e32 v30, s22, v88
	v_add_u32_e32 v32, s23, v88
	v_add_u32_e32 v34, s28, v88
	v_add_u32_e32 v36, s29, v88
	v_lshl_add_u64 v[22:23], v[22:23], 2, s[0:1]
	v_ashrrev_i32_e32 v25, 31, v24
	v_ashrrev_i32_e32 v27, 31, v26
	v_ashrrev_i32_e32 v29, 31, v28
	v_ashrrev_i32_e32 v31, 31, v30
	v_ashrrev_i32_e32 v33, 31, v32
	v_ashrrev_i32_e32 v35, 31, v34
	v_ashrrev_i32_e32 v37, 31, v36
	v_lshl_add_u64 v[24:25], v[24:25], 2, s[0:1]
	v_lshl_add_u64 v[26:27], v[26:27], 2, s[0:1]
	v_lshl_add_u64 v[28:29], v[28:29], 2, s[0:1]
	v_lshl_add_u64 v[30:31], v[30:31], 2, s[0:1]
	v_lshl_add_u64 v[32:33], v[32:33], 2, s[0:1]
	v_lshl_add_u64 v[34:35], v[34:35], 2, s[0:1]
	v_lshl_add_u64 v[36:37], v[36:37], 2, s[0:1]
	global_load_dword v66, v[22:23], off
	global_load_dword v67, v[24:25], off
	global_load_dword v68, v[26:27], off
	global_load_dword v69, v[28:29], off
	global_load_dword v70, v[30:31], off
	global_load_dword v71, v[32:33], off
	;; [unrolled: 32-line block ×4, first 2 shown]
	global_load_dword v93, v[34:35], off
	global_load_dword v94, v[36:37], off
	v_add_u32_e32 v22, s81, v88
	v_ashrrev_i32_e32 v23, 31, v22
	v_add_u32_e32 v24, s82, v88
	v_add_u32_e32 v26, s83, v88
	;; [unrolled: 1-line block ×5, first 2 shown]
	v_lshl_add_u64 v[22:23], v[22:23], 2, s[0:1]
	v_ashrrev_i32_e32 v25, 31, v24
	v_ashrrev_i32_e32 v27, 31, v26
	;; [unrolled: 1-line block ×5, first 2 shown]
	v_lshl_add_u64 v[24:25], v[24:25], 2, s[0:1]
	v_lshl_add_u64 v[26:27], v[26:27], 2, s[0:1]
	v_lshl_add_u64 v[28:29], v[28:29], 2, s[0:1]
	v_lshl_add_u64 v[30:31], v[30:31], 2, s[0:1]
	v_lshl_add_u64 v[32:33], v[32:33], 2, s[0:1]
	global_load_dword v95, v[22:23], off
	global_load_dword v96, v[24:25], off
	;; [unrolled: 1-line block ×6, first 2 shown]
	s_waitcnt vmcnt(55)
	ds_write_b32 v89, v55 offset:2112
	s_waitcnt vmcnt(54)
	ds_write_b32 v89, v56 offset:2376
	s_waitcnt vmcnt(53)
	ds_write_b32 v89, v57 offset:2640
	s_waitcnt vmcnt(52)
	ds_write_b32 v89, v58 offset:2904
	s_waitcnt vmcnt(51)
	ds_write_b32 v89, v59 offset:3168
	s_waitcnt vmcnt(50)
	ds_write_b32 v89, v60 offset:3432
	s_waitcnt vmcnt(49)
	ds_write_b32 v89, v61 offset:3696
	s_waitcnt vmcnt(48)
	ds_write_b32 v89, v62 offset:3960
	ds_read_b64 v[38:39], v90
	ds_read_b64 v[34:35], v90 offset:32
	ds_read_b64 v[32:33], v90 offset:64
	ds_read_b64 v[30:31], v90 offset:96
	ds_read_b64 v[28:29], v90 offset:128
	ds_read_b64 v[26:27], v90 offset:160
	ds_read_b64 v[24:25], v90 offset:192
	ds_read_b64 v[22:23], v90 offset:224
	s_waitcnt vmcnt(47)
	ds_write_b32 v89, v63
	s_waitcnt vmcnt(46)
	ds_write_b32 v89, v40 offset:264
	s_waitcnt vmcnt(45)
	ds_write_b32 v89, v18 offset:528
	s_waitcnt vmcnt(44)
	ds_write_b32 v89, v41 offset:792
	s_waitcnt vmcnt(43)
	ds_write_b32 v89, v42 offset:1056
	s_waitcnt vmcnt(42)
	ds_write_b32 v89, v43 offset:1320
	s_waitcnt vmcnt(41)
	ds_write_b32 v89, v44 offset:1584
	s_waitcnt vmcnt(40)
	ds_write_b32 v89, v45 offset:1848
	s_waitcnt vmcnt(39)
	ds_write_b32 v89, v46 offset:2112
	s_waitcnt vmcnt(38)
	ds_write_b32 v89, v47 offset:2376
	s_waitcnt vmcnt(37)
	ds_write_b32 v89, v48 offset:2640
	s_waitcnt vmcnt(36)
	ds_write_b32 v89, v49 offset:2904
	s_waitcnt vmcnt(35)
	ds_write_b32 v89, v50 offset:3168
	s_waitcnt vmcnt(34)
	ds_write_b32 v89, v51 offset:3432
	s_waitcnt vmcnt(33)
	ds_write_b32 v89, v52 offset:3696
	s_waitcnt vmcnt(32)
	ds_write_b32 v89, v53 offset:3960
	ds_read_b64 v[54:55], v90
	ds_read_b64 v[50:51], v90 offset:32
	ds_read_b64 v[48:49], v90 offset:64
	ds_read_b64 v[46:47], v90 offset:96
	ds_read_b64 v[44:45], v90 offset:128
	ds_read_b64 v[42:43], v90 offset:160
	ds_read_b64 v[40:41], v90 offset:192
	ds_read_b64 v[36:37], v90 offset:224
	s_waitcnt vmcnt(31)
	ds_write_b32 v89, v64
	s_waitcnt vmcnt(30)
	ds_write_b32 v89, v65 offset:264
	s_waitcnt vmcnt(29)
	ds_write_b32 v89, v66 offset:528
	s_waitcnt vmcnt(28)
	ds_write_b32 v89, v67 offset:792
	s_waitcnt vmcnt(27)
	ds_write_b32 v89, v68 offset:1056
	s_waitcnt vmcnt(26)
	ds_write_b32 v89, v69 offset:1320
	s_waitcnt vmcnt(25)
	ds_write_b32 v89, v70 offset:1584
	s_waitcnt vmcnt(24)
	ds_write_b32 v89, v71 offset:1848
	;; [unrolled: 40-line block ×3, first 2 shown]
	s_waitcnt vmcnt(7)
	ds_write_b32 v89, v93 offset:2112
	s_waitcnt vmcnt(6)
	ds_write_b32 v89, v94 offset:2376
	;; [unrolled: 2-line block ×8, first 2 shown]
	ds_read_b64 v[84:85], v90
	ds_read_b64 v[82:83], v90 offset:32
	ds_read_b64 v[78:79], v90 offset:64
	ds_read_b64 v[74:75], v90 offset:96
	ds_read_b64 v[80:81], v90 offset:128
	ds_read_b64 v[76:77], v90 offset:160
	ds_read_b64 v[72:73], v90 offset:192
	ds_read_b64 v[60:61], v90 offset:224
	s_andn2_b64 vcc, exec, s[34:35]
	v_mov_b32_e32 v18, 0
	s_cbranch_vccnz .LBB90_9
; %bb.7:                                ;   in Loop: Header=BB90_6 Depth=1
	s_load_dword vcc_lo, s[36:37], 0x0
	v_mov_b32_e32 v18, 0
	s_waitcnt lgkmcnt(0)
	s_mul_hi_u32 vcc_hi, vcc_lo, s16
	s_add_i32 vcc_hi, vcc_lo, vcc_hi
	s_lshr_b32 s86, vcc_hi, s17
	s_cmp_ge_i32 s86, s13
	s_cbranch_scc1 .LBB90_9
; %bb.8:                                ;   in Loop: Header=BB90_6 Depth=1
	s_mul_i32 vcc_hi, s86, s18
	s_sub_i32 vcc_lo, vcc_lo, vcc_hi
	s_mul_i32 vcc_lo, vcc_lo, s9
	s_mul_i32 s86, s86, s20
	s_add_i32 s86, s86, vcc_lo
	v_add_u32_e32 v92, s86, v88
	v_ashrrev_i32_e32 v93, 31, v92
	v_lshl_add_u64 v[92:93], v[92:93], 2, s[6:7]
	global_load_dword v18, v[92:93], off
.LBB90_9:                               ;   in Loop: Header=BB90_6 Depth=1
	s_andn2_b64 vcc, exec, s[38:39]
	v_mov_b32_e32 v91, 0
	v_mov_b32_e32 v92, 0
	s_cbranch_vccnz .LBB90_12
; %bb.10:                               ;   in Loop: Header=BB90_6 Depth=1
	s_load_dword vcc_lo, s[36:37], 0x4
	v_mov_b32_e32 v92, 0
	s_waitcnt lgkmcnt(0)
	s_mul_hi_u32 s86, vcc_lo, s16
	s_add_i32 s86, vcc_lo, s86
	s_lshr_b32 vcc_hi, s86, s17
	s_cmp_ge_i32 vcc_hi, s13
	s_cbranch_scc1 .LBB90_12
; %bb.11:                               ;   in Loop: Header=BB90_6 Depth=1
	s_mul_i32 s86, vcc_hi, s18
	s_sub_i32 s86, vcc_lo, s86
	s_mul_i32 s86, s86, s9
	s_mul_i32 vcc_lo, vcc_hi, s20
	s_add_i32 vcc_lo, vcc_lo, s86
	v_add_u32_e32 v92, vcc_lo, v88
	v_ashrrev_i32_e32 v93, 31, v92
	v_lshl_add_u64 v[92:93], v[92:93], 2, s[6:7]
	global_load_dword v92, v[92:93], off
.LBB90_12:                              ;   in Loop: Header=BB90_6 Depth=1
	s_andn2_b64 vcc, exec, s[40:41]
	s_cbranch_vccnz .LBB90_15
; %bb.13:                               ;   in Loop: Header=BB90_6 Depth=1
	s_load_dword vcc_lo, s[36:37], 0x8
	v_mov_b32_e32 v91, 0
	s_waitcnt lgkmcnt(0)
	s_mul_hi_u32 s86, vcc_lo, s16
	s_add_i32 s86, vcc_lo, s86
	s_lshr_b32 vcc_hi, s86, s17
	s_cmp_ge_i32 vcc_hi, s13
	s_cbranch_scc1 .LBB90_15
; %bb.14:                               ;   in Loop: Header=BB90_6 Depth=1
	s_mul_i32 s86, vcc_hi, s18
	s_sub_i32 s86, vcc_lo, s86
	s_mul_i32 s86, s86, s9
	s_mul_i32 vcc_lo, vcc_hi, s20
	s_add_i32 vcc_lo, vcc_lo, s86
	v_add_u32_e32 v94, vcc_lo, v88
	v_ashrrev_i32_e32 v95, 31, v94
	v_lshl_add_u64 v[94:95], v[94:95], 2, s[6:7]
	global_load_dword v91, v[94:95], off
.LBB90_15:                              ;   in Loop: Header=BB90_6 Depth=1
	s_andn2_b64 vcc, exec, s[42:43]
	v_mov_b32_e32 v93, 0
	v_mov_b32_e32 v94, 0
	s_cbranch_vccnz .LBB90_18
; %bb.16:                               ;   in Loop: Header=BB90_6 Depth=1
	s_load_dword vcc_lo, s[36:37], 0xc
	v_mov_b32_e32 v94, 0
	s_waitcnt lgkmcnt(0)
	s_mul_hi_u32 s86, vcc_lo, s16
	s_add_i32 s86, vcc_lo, s86
	s_lshr_b32 vcc_hi, s86, s17
	s_cmp_ge_i32 vcc_hi, s13
	s_cbranch_scc1 .LBB90_18
; %bb.17:                               ;   in Loop: Header=BB90_6 Depth=1
	s_mul_i32 s86, vcc_hi, s18
	s_sub_i32 s86, vcc_lo, s86
	s_mul_i32 s86, s86, s9
	s_mul_i32 vcc_lo, vcc_hi, s20
	s_add_i32 vcc_lo, vcc_lo, s86
	v_add_u32_e32 v94, vcc_lo, v88
	v_ashrrev_i32_e32 v95, 31, v94
	v_lshl_add_u64 v[94:95], v[94:95], 2, s[6:7]
	global_load_dword v94, v[94:95], off
.LBB90_18:                              ;   in Loop: Header=BB90_6 Depth=1
	s_andn2_b64 vcc, exec, s[44:45]
	s_cbranch_vccnz .LBB90_21
; %bb.19:                               ;   in Loop: Header=BB90_6 Depth=1
	s_load_dword vcc_lo, s[36:37], 0x10
	v_mov_b32_e32 v93, 0
	s_waitcnt lgkmcnt(0)
	s_mul_hi_u32 s86, vcc_lo, s16
	s_add_i32 s86, vcc_lo, s86
	s_lshr_b32 vcc_hi, s86, s17
	s_cmp_ge_i32 vcc_hi, s13
	s_cbranch_scc1 .LBB90_21
; %bb.20:                               ;   in Loop: Header=BB90_6 Depth=1
	s_mul_i32 s86, vcc_hi, s18
	s_sub_i32 s86, vcc_lo, s86
	s_mul_i32 s86, s86, s9
	s_mul_i32 vcc_lo, vcc_hi, s20
	s_add_i32 vcc_lo, vcc_lo, s86
	v_add_u32_e32 v96, vcc_lo, v88
	v_ashrrev_i32_e32 v97, 31, v96
	v_lshl_add_u64 v[96:97], v[96:97], 2, s[6:7]
	global_load_dword v93, v[96:97], off
.LBB90_21:                              ;   in Loop: Header=BB90_6 Depth=1
	s_andn2_b64 vcc, exec, s[46:47]
	v_mov_b32_e32 v95, 0
	v_mov_b32_e32 v96, 0
	s_cbranch_vccnz .LBB90_24
; %bb.22:                               ;   in Loop: Header=BB90_6 Depth=1
	s_load_dword vcc_lo, s[36:37], 0x14
	v_mov_b32_e32 v96, 0
	s_waitcnt lgkmcnt(0)
	s_mul_hi_u32 s86, vcc_lo, s16
	s_add_i32 s86, vcc_lo, s86
	s_lshr_b32 vcc_hi, s86, s17
	s_cmp_ge_i32 vcc_hi, s13
	s_cbranch_scc1 .LBB90_24
; %bb.23:                               ;   in Loop: Header=BB90_6 Depth=1
	s_mul_i32 s86, vcc_hi, s18
	s_sub_i32 s86, vcc_lo, s86
	s_mul_i32 s86, s86, s9
	s_mul_i32 vcc_lo, vcc_hi, s20
	s_add_i32 vcc_lo, vcc_lo, s86
	v_add_u32_e32 v96, vcc_lo, v88
	v_ashrrev_i32_e32 v97, 31, v96
	v_lshl_add_u64 v[96:97], v[96:97], 2, s[6:7]
	global_load_dword v96, v[96:97], off
.LBB90_24:                              ;   in Loop: Header=BB90_6 Depth=1
	s_andn2_b64 vcc, exec, s[48:49]
	s_cbranch_vccnz .LBB90_27
; %bb.25:                               ;   in Loop: Header=BB90_6 Depth=1
	s_load_dword vcc_lo, s[36:37], 0x18
	v_mov_b32_e32 v95, 0
	s_waitcnt lgkmcnt(0)
	s_mul_hi_u32 s86, vcc_lo, s16
	s_add_i32 s86, vcc_lo, s86
	s_lshr_b32 vcc_hi, s86, s17
	s_cmp_ge_i32 vcc_hi, s13
	s_cbranch_scc1 .LBB90_27
; %bb.26:                               ;   in Loop: Header=BB90_6 Depth=1
	s_mul_i32 s86, vcc_hi, s18
	s_sub_i32 s86, vcc_lo, s86
	s_mul_i32 s86, s86, s9
	s_mul_i32 vcc_lo, vcc_hi, s20
	s_add_i32 vcc_lo, vcc_lo, s86
	v_add_u32_e32 v98, vcc_lo, v88
	v_ashrrev_i32_e32 v99, 31, v98
	v_lshl_add_u64 v[98:99], v[98:99], 2, s[6:7]
	global_load_dword v95, v[98:99], off
.LBB90_27:                              ;   in Loop: Header=BB90_6 Depth=1
	s_andn2_b64 vcc, exec, s[50:51]
	v_mov_b32_e32 v97, 0
	v_mov_b32_e32 v98, 0
	s_cbranch_vccnz .LBB90_30
; %bb.28:                               ;   in Loop: Header=BB90_6 Depth=1
	s_load_dword vcc_lo, s[36:37], 0x1c
	v_mov_b32_e32 v98, 0
	s_waitcnt lgkmcnt(0)
	s_mul_hi_u32 s86, vcc_lo, s16
	s_add_i32 s86, vcc_lo, s86
	s_lshr_b32 vcc_hi, s86, s17
	s_cmp_ge_i32 vcc_hi, s13
	s_cbranch_scc1 .LBB90_30
; %bb.29:                               ;   in Loop: Header=BB90_6 Depth=1
	s_mul_i32 s86, vcc_hi, s18
	s_sub_i32 s86, vcc_lo, s86
	s_mul_i32 s86, s86, s9
	s_mul_i32 vcc_lo, vcc_hi, s20
	s_add_i32 vcc_lo, vcc_lo, s86
	v_add_u32_e32 v98, vcc_lo, v88
	v_ashrrev_i32_e32 v99, 31, v98
	v_lshl_add_u64 v[98:99], v[98:99], 2, s[6:7]
	global_load_dword v98, v[98:99], off
.LBB90_30:                              ;   in Loop: Header=BB90_6 Depth=1
	s_andn2_b64 vcc, exec, s[52:53]
	s_cbranch_vccnz .LBB90_33
; %bb.31:                               ;   in Loop: Header=BB90_6 Depth=1
	s_load_dword vcc_lo, s[36:37], 0x20
	v_mov_b32_e32 v97, 0
	s_waitcnt lgkmcnt(0)
	s_mul_hi_u32 s86, vcc_lo, s16
	s_add_i32 s86, vcc_lo, s86
	s_lshr_b32 vcc_hi, s86, s17
	s_cmp_ge_i32 vcc_hi, s13
	s_cbranch_scc1 .LBB90_33
; %bb.32:                               ;   in Loop: Header=BB90_6 Depth=1
	s_mul_i32 s86, vcc_hi, s18
	s_sub_i32 s86, vcc_lo, s86
	s_mul_i32 s86, s86, s9
	s_mul_i32 vcc_lo, vcc_hi, s20
	s_add_i32 vcc_lo, vcc_lo, s86
	v_add_u32_e32 v100, vcc_lo, v88
	v_ashrrev_i32_e32 v101, 31, v100
	v_lshl_add_u64 v[100:101], v[100:101], 2, s[6:7]
	global_load_dword v97, v[100:101], off
.LBB90_33:                              ;   in Loop: Header=BB90_6 Depth=1
	s_andn2_b64 vcc, exec, s[54:55]
	v_mov_b32_e32 v99, 0
	v_mov_b32_e32 v100, 0
	s_cbranch_vccnz .LBB90_36
; %bb.34:                               ;   in Loop: Header=BB90_6 Depth=1
	s_load_dword vcc_lo, s[36:37], 0x24
	v_mov_b32_e32 v100, 0
	s_waitcnt lgkmcnt(0)
	s_mul_hi_u32 s86, vcc_lo, s16
	s_add_i32 s86, vcc_lo, s86
	s_lshr_b32 vcc_hi, s86, s17
	s_cmp_ge_i32 vcc_hi, s13
	s_cbranch_scc1 .LBB90_36
; %bb.35:                               ;   in Loop: Header=BB90_6 Depth=1
	s_mul_i32 s86, vcc_hi, s18
	s_sub_i32 s86, vcc_lo, s86
	s_mul_i32 s86, s86, s9
	s_mul_i32 vcc_lo, vcc_hi, s20
	s_add_i32 vcc_lo, vcc_lo, s86
	v_add_u32_e32 v100, vcc_lo, v88
	v_ashrrev_i32_e32 v101, 31, v100
	v_lshl_add_u64 v[100:101], v[100:101], 2, s[6:7]
	global_load_dword v100, v[100:101], off
.LBB90_36:                              ;   in Loop: Header=BB90_6 Depth=1
	s_andn2_b64 vcc, exec, s[56:57]
	s_cbranch_vccnz .LBB90_39
; %bb.37:                               ;   in Loop: Header=BB90_6 Depth=1
	s_load_dword vcc_lo, s[36:37], 0x28
	v_mov_b32_e32 v99, 0
	s_waitcnt lgkmcnt(0)
	s_mul_hi_u32 s86, vcc_lo, s16
	s_add_i32 s86, vcc_lo, s86
	s_lshr_b32 vcc_hi, s86, s17
	s_cmp_ge_i32 vcc_hi, s13
	s_cbranch_scc1 .LBB90_39
; %bb.38:                               ;   in Loop: Header=BB90_6 Depth=1
	s_mul_i32 s86, vcc_hi, s18
	s_sub_i32 s86, vcc_lo, s86
	s_mul_i32 s86, s86, s9
	s_mul_i32 vcc_lo, vcc_hi, s20
	s_add_i32 vcc_lo, vcc_lo, s86
	v_add_u32_e32 v102, vcc_lo, v88
	v_ashrrev_i32_e32 v103, 31, v102
	v_lshl_add_u64 v[102:103], v[102:103], 2, s[6:7]
	global_load_dword v99, v[102:103], off
.LBB90_39:                              ;   in Loop: Header=BB90_6 Depth=1
	s_andn2_b64 vcc, exec, s[58:59]
	v_mov_b32_e32 v101, 0
	v_mov_b32_e32 v102, 0
	s_cbranch_vccnz .LBB90_42
; %bb.40:                               ;   in Loop: Header=BB90_6 Depth=1
	s_load_dword vcc_lo, s[36:37], 0x2c
	v_mov_b32_e32 v102, 0
	s_waitcnt lgkmcnt(0)
	s_mul_hi_u32 s86, vcc_lo, s16
	s_add_i32 s86, vcc_lo, s86
	s_lshr_b32 vcc_hi, s86, s17
	s_cmp_ge_i32 vcc_hi, s13
	s_cbranch_scc1 .LBB90_42
; %bb.41:                               ;   in Loop: Header=BB90_6 Depth=1
	s_mul_i32 s86, vcc_hi, s18
	s_sub_i32 s86, vcc_lo, s86
	s_mul_i32 s86, s86, s9
	s_mul_i32 vcc_lo, vcc_hi, s20
	s_add_i32 vcc_lo, vcc_lo, s86
	v_add_u32_e32 v102, vcc_lo, v88
	v_ashrrev_i32_e32 v103, 31, v102
	v_lshl_add_u64 v[102:103], v[102:103], 2, s[6:7]
	global_load_dword v102, v[102:103], off
.LBB90_42:                              ;   in Loop: Header=BB90_6 Depth=1
	s_andn2_b64 vcc, exec, s[60:61]
	s_cbranch_vccnz .LBB90_45
; %bb.43:                               ;   in Loop: Header=BB90_6 Depth=1
	s_load_dword vcc_lo, s[36:37], 0x30
	v_mov_b32_e32 v101, 0
	s_waitcnt lgkmcnt(0)
	s_mul_hi_u32 s86, vcc_lo, s16
	s_add_i32 s86, vcc_lo, s86
	s_lshr_b32 vcc_hi, s86, s17
	s_cmp_ge_i32 vcc_hi, s13
	s_cbranch_scc1 .LBB90_45
; %bb.44:                               ;   in Loop: Header=BB90_6 Depth=1
	s_mul_i32 s86, vcc_hi, s18
	s_sub_i32 s86, vcc_lo, s86
	s_mul_i32 s86, s86, s9
	s_mul_i32 vcc_lo, vcc_hi, s20
	s_add_i32 vcc_lo, vcc_lo, s86
	v_add_u32_e32 v104, vcc_lo, v88
	v_ashrrev_i32_e32 v105, 31, v104
	v_lshl_add_u64 v[104:105], v[104:105], 2, s[6:7]
	global_load_dword v101, v[104:105], off
.LBB90_45:                              ;   in Loop: Header=BB90_6 Depth=1
	s_andn2_b64 vcc, exec, s[62:63]
	v_mov_b32_e32 v103, 0
	s_cbranch_vccnz .LBB90_5
; %bb.46:                               ;   in Loop: Header=BB90_6 Depth=1
	s_load_dword vcc_lo, s[36:37], 0x34
	v_mov_b32_e32 v103, 0
	s_waitcnt lgkmcnt(0)
	s_mul_hi_u32 s86, vcc_lo, s16
	s_add_i32 s86, vcc_lo, s86
	s_lshr_b32 vcc_hi, s86, s17
	s_cmp_ge_i32 vcc_hi, s13
	s_cbranch_scc1 .LBB90_5
; %bb.47:                               ;   in Loop: Header=BB90_6 Depth=1
	s_mul_i32 s86, vcc_hi, s18
	s_sub_i32 s86, vcc_lo, s86
	s_mul_i32 s86, s86, s9
	s_mul_i32 vcc_lo, vcc_hi, s20
	s_add_i32 vcc_lo, vcc_lo, s86
	v_add_u32_e32 v104, vcc_lo, v88
	v_ashrrev_i32_e32 v105, 31, v104
	v_lshl_add_u64 v[104:105], v[104:105], 2, s[6:7]
	global_load_dword v103, v[104:105], off
	s_branch .LBB90_5
.LBB90_48:
	s_or_b64 exec, exec, s[4:5]
	v_readlane_b32 s24, v106, 6
	v_readlane_b32 s26, v106, 9
	v_readlane_b32 s22, v106, 4
	v_readlane_b32 s28, v106, 2
	v_readlane_b32 s25, v106, 7
	v_readlane_b32 s27, v106, 10
	v_readlane_b32 s11, v106, 8
	v_readlane_b32 s23, v106, 5
	v_readlane_b32 s29, v106, 3
.LBB90_49:
	s_or_b64 exec, exec, s[28:29]
	v_mul_u32_u24_e32 v18, 0x608, v87
	v_lshlrev_b32_e32 v19, 2, v86
	v_add3_u32 v18, 0, v18, v19
	v_and_b32_e32 v19, 0x3f0, v17
	v_add_u32_e32 v19, v18, v19
	s_lshl_b64 s[0:1], s[26:27], 2
	s_barrier
	ds_write2_b32 v19, v8, v9 offset1:1
	ds_write_b32 v19, v10 offset:8
	v_or_b32_e32 v8, 12, v17
	s_add_u32 s4, s22, s0
	v_and_b32_e32 v8, 0x3fc, v8
	s_addc_u32 s5, s23, s1
	v_add_u32_e32 v8, v18, v8
	ds_write_b32 v8, v11
	ds_write2_b32 v19, v4, v5 offset0:16 offset1:17
	ds_write_b32 v19, v6 offset:72
	ds_write_b32 v8, v7 offset:64
	ds_write2_b32 v19, v0, v1 offset0:32 offset1:33
	ds_write_b32 v19, v2 offset:136
	ds_write_b32 v8, v3 offset:128
	ds_write2_b32 v19, v12, v13 offset0:48 offset1:49
	ds_write_b32 v19, v14 offset:200
	ds_write_b32 v8, v15 offset:192
	s_cmp_gt_i32 s14, 0
	v_add_u32_e32 v0, s2, v16
	s_cselect_b64 s[6:7], -1, 0
	v_cmp_gt_i32_e64 s[0:1], s33, v0
	v_cmp_gt_u32_e32 vcc, 14, v16
	s_and_b64 s[0:1], s[6:7], s[0:1]
	v_lshl_add_u32 v3, v17, 2, 0
	v_add_u32_e32 v2, s11, v17
	v_mul_u32_u24_e32 v4, 0x608, v16
	s_and_b64 s[8:9], vcc, s[0:1]
	s_waitcnt lgkmcnt(0)
	s_barrier
	s_and_saveexec_b64 s[0:1], s[8:9]
	s_cbranch_execz .LBB90_52
; %bb.50:
	v_ashrrev_i32_e32 v1, 31, v0
	v_lshl_add_u64 v[6:7], v[0:1], 2, s[4:5]
	global_load_dword v5, v[6:7], off
	s_waitcnt vmcnt(0)
	v_mul_hi_u32 v1, v5, s19
	v_add_u32_e32 v1, v5, v1
	v_lshrrev_b32_e32 v1, s24, v1
	v_cmp_gt_i32_e32 vcc, s13, v1
	s_and_b64 exec, exec, vcc
	s_cbranch_execz .LBB90_52
; %bb.51:
	v_add_u32_e32 v10, v3, v4
	ds_read2st64_b32 v[6:7], v10 offset1:1
	ds_read2st64_b32 v[8:9], v10 offset0:2 offset1:3
	ds_read2st64_b32 v[10:11], v10 offset0:4 offset1:5
	v_mul_lo_u32 v12, v1, s25
	v_sub_u32_e32 v5, v5, v12
	v_mul_lo_u32 v5, v5, s10
	s_waitcnt lgkmcnt(2)
	v_add_f32_e32 v6, 0, v6
	v_add_f32_e32 v6, v6, v7
	s_waitcnt lgkmcnt(1)
	v_add_f32_e32 v6, v6, v8
	v_add_f32_e32 v6, v6, v9
	s_waitcnt lgkmcnt(0)
	v_add_f32_e32 v6, v6, v10
	v_mul_lo_u32 v1, v1, s21
	v_readlane_b32 s8, v106, 0
	v_add_f32_e32 v8, v6, v11
	v_add3_u32 v6, v2, v1, v5
	v_mov_b32_e32 v7, 0
	v_readlane_b32 s9, v106, 1
	s_nop 1
	v_lshl_add_u64 v[6:7], v[6:7], 2, s[8:9]
	global_store_dword v[6:7], v8, off
.LBB90_52:
	s_or_b64 exec, exec, s[0:1]
	v_add_u32_e32 v0, 6, v0
	v_cmp_gt_i32_e64 s[0:1], s33, v0
	v_cmp_gt_u32_e32 vcc, 8, v16
	s_and_b64 s[0:1], s[6:7], s[0:1]
	s_and_b64 s[8:9], vcc, s[0:1]
	s_and_saveexec_b64 s[0:1], s[8:9]
	s_cbranch_execz .LBB90_55
; %bb.53:
	s_ashr_i32 s3, s2, 31
	v_mov_b32_e32 v17, 0
	v_lshl_add_u64 v[0:1], v[16:17], 0, s[2:3]
	v_lshl_add_u64 v[0:1], v[0:1], 2, s[4:5]
	global_load_dword v1, v[0:1], off offset:24
	s_waitcnt vmcnt(0)
	v_mul_hi_u32 v0, v1, s19
	v_add_u32_e32 v0, v1, v0
	v_lshrrev_b32_e32 v0, s24, v0
	v_cmp_gt_i32_e32 vcc, s13, v0
	s_and_b64 exec, exec, vcc
	s_cbranch_execz .LBB90_55
; %bb.54:
	v_add_u32_e32 v4, v4, v3
	v_add_u32_e32 v8, 48, v4
	ds_read2st64_b32 v[4:5], v8 offset0:36 offset1:37
	ds_read2st64_b32 v[6:7], v8 offset0:38 offset1:39
	v_mul_lo_u32 v9, v0, s25
	v_sub_u32_e32 v1, v1, v9
	ds_read2st64_b32 v[8:9], v8 offset0:40 offset1:41
	s_waitcnt lgkmcnt(2)
	v_add_f32_e32 v4, 0, v4
	v_add_f32_e32 v4, v4, v5
	s_waitcnt lgkmcnt(1)
	v_add_f32_e32 v4, v4, v6
	v_add_f32_e32 v4, v4, v7
	v_mul_lo_u32 v1, v1, s10
	v_mul_lo_u32 v0, v0, s21
	v_readlane_b32 s8, v106, 0
	s_waitcnt lgkmcnt(0)
	v_add_f32_e32 v4, v4, v8
	v_add3_u32 v0, v2, v0, v1
	v_mov_b32_e32 v1, v17
	v_readlane_b32 s9, v106, 1
	v_add_f32_e32 v4, v4, v9
	s_nop 0
	v_lshl_add_u64 v[0:1], v[0:1], 2, s[8:9]
	global_store_dword v[0:1], v4, off
.LBB90_55:
	s_or_b64 exec, exec, s[0:1]
	v_cmp_gt_u32_e32 vcc, 2, v16
	s_and_saveexec_b64 s[0:1], vcc
	s_cbranch_execz .LBB90_59
; %bb.56:
	v_or_b32_e32 v0, 12, v16
	v_add_u32_e32 v1, s2, v0
	v_cmp_gt_i32_e32 vcc, s33, v1
	s_and_b64 s[0:1], s[6:7], vcc
	s_and_b64 exec, exec, s[0:1]
	s_cbranch_execz .LBB90_59
; %bb.57:
	s_ashr_i32 s3, s2, 31
	v_mov_b32_e32 v17, 0
	v_lshl_add_u64 v[4:5], v[16:17], 0, s[2:3]
	v_lshl_add_u64 v[4:5], v[4:5], 2, s[4:5]
	global_load_dword v4, v[4:5], off offset:48
	s_waitcnt vmcnt(0)
	v_mul_hi_u32 v1, v4, s19
	v_add_u32_e32 v1, v4, v1
	v_lshrrev_b32_e32 v1, s24, v1
	v_cmp_gt_i32_e32 vcc, s13, v1
	s_and_b64 exec, exec, vcc
	s_cbranch_execz .LBB90_59
; %bb.58:
	s_movk_i32 s0, 0x608
	v_mad_u32_u24 v0, v0, s0, v3
	ds_read2st64_b32 v[6:7], v0 offset1:1
	ds_read2st64_b32 v[8:9], v0 offset0:2 offset1:3
	v_mul_lo_u32 v3, v1, s25
	v_sub_u32_e32 v3, v4, v3
	ds_read2st64_b32 v[4:5], v0 offset0:4 offset1:5
	s_waitcnt lgkmcnt(2)
	v_add_f32_e32 v0, 0, v6
	v_add_f32_e32 v0, v0, v7
	s_waitcnt lgkmcnt(1)
	v_add_f32_e32 v0, v0, v8
	v_add_f32_e32 v0, v0, v9
	;; [unrolled: 3-line block ×3, first 2 shown]
	v_mul_lo_u32 v0, v3, s10
	v_mul_lo_u32 v1, v1, s21
	v_readlane_b32 s0, v106, 0
	v_add3_u32 v16, v2, v1, v0
	v_readlane_b32 s1, v106, 1
	s_nop 1
	v_lshl_add_u64 v[0:1], v[16:17], 2, s[0:1]
	global_store_dword v[0:1], v4, off
.LBB90_59:
	s_endpgm
	.section	.rodata,"a",@progbits
	.p2align	6, 0x0
	.amdhsa_kernel _ZL13mul_mat_f_idsIfLi64ELi14ELi6EEvPKT_PKfPKiS6_S6_Pfiiiiiiiiiiiiii15HIP_vector_typeIjLj3EES9_
		.amdhsa_group_segment_fixed_size 0
		.amdhsa_private_segment_fixed_size 0
		.amdhsa_kernarg_size 128
		.amdhsa_user_sgpr_count 2
		.amdhsa_user_sgpr_dispatch_ptr 0
		.amdhsa_user_sgpr_queue_ptr 0
		.amdhsa_user_sgpr_kernarg_segment_ptr 1
		.amdhsa_user_sgpr_dispatch_id 0
		.amdhsa_user_sgpr_kernarg_preload_length 0
		.amdhsa_user_sgpr_kernarg_preload_offset 0
		.amdhsa_user_sgpr_private_segment_size 0
		.amdhsa_uses_dynamic_stack 0
		.amdhsa_enable_private_segment 0
		.amdhsa_system_sgpr_workgroup_id_x 1
		.amdhsa_system_sgpr_workgroup_id_y 1
		.amdhsa_system_sgpr_workgroup_id_z 1
		.amdhsa_system_sgpr_workgroup_info 0
		.amdhsa_system_vgpr_workitem_id 1
		.amdhsa_next_free_vgpr 107
		.amdhsa_next_free_sgpr 100
		.amdhsa_accum_offset 108
		.amdhsa_reserve_vcc 1
		.amdhsa_float_round_mode_32 0
		.amdhsa_float_round_mode_16_64 0
		.amdhsa_float_denorm_mode_32 3
		.amdhsa_float_denorm_mode_16_64 3
		.amdhsa_dx10_clamp 1
		.amdhsa_ieee_mode 1
		.amdhsa_fp16_overflow 0
		.amdhsa_tg_split 0
		.amdhsa_exception_fp_ieee_invalid_op 0
		.amdhsa_exception_fp_denorm_src 0
		.amdhsa_exception_fp_ieee_div_zero 0
		.amdhsa_exception_fp_ieee_overflow 0
		.amdhsa_exception_fp_ieee_underflow 0
		.amdhsa_exception_fp_ieee_inexact 0
		.amdhsa_exception_int_div_zero 0
	.end_amdhsa_kernel
	.section	.text._ZL13mul_mat_f_idsIfLi64ELi14ELi6EEvPKT_PKfPKiS6_S6_Pfiiiiiiiiiiiiii15HIP_vector_typeIjLj3EES9_,"axG",@progbits,_ZL13mul_mat_f_idsIfLi64ELi14ELi6EEvPKT_PKfPKiS6_S6_Pfiiiiiiiiiiiiii15HIP_vector_typeIjLj3EES9_,comdat
.Lfunc_end90:
	.size	_ZL13mul_mat_f_idsIfLi64ELi14ELi6EEvPKT_PKfPKiS6_S6_Pfiiiiiiiiiiiiii15HIP_vector_typeIjLj3EES9_, .Lfunc_end90-_ZL13mul_mat_f_idsIfLi64ELi14ELi6EEvPKT_PKfPKiS6_S6_Pfiiiiiiiiiiiiii15HIP_vector_typeIjLj3EES9_
                                        ; -- End function
	.section	.AMDGPU.csdata,"",@progbits
; Kernel info:
; codeLenInByte = 6584
; NumSgprs: 106
; NumVgprs: 107
; NumAgprs: 0
; TotalNumVgprs: 107
; ScratchSize: 0
; MemoryBound: 0
; FloatMode: 240
; IeeeMode: 1
; LDSByteSize: 0 bytes/workgroup (compile time only)
; SGPRBlocks: 13
; VGPRBlocks: 13
; NumSGPRsForWavesPerEU: 106
; NumVGPRsForWavesPerEU: 107
; AccumOffset: 108
; Occupancy: 4
; WaveLimiterHint : 1
; COMPUTE_PGM_RSRC2:SCRATCH_EN: 0
; COMPUTE_PGM_RSRC2:USER_SGPR: 2
; COMPUTE_PGM_RSRC2:TRAP_HANDLER: 0
; COMPUTE_PGM_RSRC2:TGID_X_EN: 1
; COMPUTE_PGM_RSRC2:TGID_Y_EN: 1
; COMPUTE_PGM_RSRC2:TGID_Z_EN: 1
; COMPUTE_PGM_RSRC2:TIDIG_COMP_CNT: 1
; COMPUTE_PGM_RSRC3_GFX90A:ACCUM_OFFSET: 26
; COMPUTE_PGM_RSRC3_GFX90A:TG_SPLIT: 0
	.section	.text._ZL9mul_mat_fIfLi64ELi14ELi6ELb1EEvPKT_PKfPKiPfiiiiiiiiiiiiiiii,"axG",@progbits,_ZL9mul_mat_fIfLi64ELi14ELi6ELb1EEvPKT_PKfPKiPfiiiiiiiiiiiiiiii,comdat
	.globl	_ZL9mul_mat_fIfLi64ELi14ELi6ELb1EEvPKT_PKfPKiPfiiiiiiiiiiiiiiii ; -- Begin function _ZL9mul_mat_fIfLi64ELi14ELi6ELb1EEvPKT_PKfPKiPfiiiiiiiiiiiiiiii
	.p2align	8
	.type	_ZL9mul_mat_fIfLi64ELi14ELi6ELb1EEvPKT_PKfPKiPfiiiiiiiiiiiiiiii,@function
_ZL9mul_mat_fIfLi64ELi14ELi6ELb1EEvPKT_PKfPKiPfiiiiiiiiiiiiiiii: ; @_ZL9mul_mat_fIfLi64ELi14ELi6ELb1EEvPKT_PKfPKiPfiiiiiiiiiiiiiiii
; %bb.0:
	s_load_dwordx8 s[44:51], s[0:1], 0x20
	s_load_dword s7, s[0:1], 0x64
	s_load_dwordx4 s[52:55], s[0:1], 0x44
	s_load_dwordx2 s[8:9], s[0:1], 0x10
	v_and_b32_e32 v16, 0x3ff, v0
	v_bfe_u32 v17, v0, 10, 10
	s_waitcnt lgkmcnt(0)
	s_add_i32 s6, s45, 13
	s_mul_hi_i32 s5, s6, 0x92492493
	s_add_i32 s5, s5, s6
	s_lshr_b32 s6, s5, 31
	s_ashr_i32 s5, s5, 3
	s_add_i32 s5, s5, s6
	v_cvt_f32_u32_e32 v1, s5
	s_add_u32 s12, s0, 0x60
	s_addc_u32 s13, s1, 0
	s_sub_i32 s6, 0, s5
	v_rcp_iflag_f32_e32 v1, v1
	s_abs_i32 s22, s55
	v_mul_f32_e32 v1, 0x4f7ffffe, v1
	v_cvt_u32_f32_e32 v1, v1
	v_mul_lo_u32 v2, s6, v1
	v_mul_hi_u32 v2, v1, v2
	v_add_u32_e32 v1, v1, v2
	v_mul_hi_u32 v1, s7, v1
	v_mul_lo_u32 v2, v1, s5
	v_sub_u32_e32 v2, s7, v2
	v_add_u32_e32 v3, 1, v1
	v_subrev_u32_e32 v4, s5, v2
	v_cmp_le_u32_e32 vcc, s5, v2
	s_nop 1
	v_cndmask_b32_e32 v1, v1, v3, vcc
	v_cndmask_b32_e32 v2, v2, v4, vcc
	v_add_u32_e32 v3, 1, v1
	v_cmp_le_u32_e32 vcc, s5, v2
	s_nop 1
	v_cndmask_b32_e32 v1, v1, v3, vcc
	v_cvt_f32_u32_e32 v2, v1
	v_cvt_f32_u32_e32 v3, s22
	v_sub_u32_e32 v4, 0, v1
	v_cmp_eq_u32_e32 vcc, 0, v16
	v_rcp_iflag_f32_e32 v2, v2
	v_rcp_iflag_f32_e32 v3, v3
	v_mul_f32_e32 v2, 0x4f7ffffe, v2
	v_cvt_u32_f32_e32 v2, v2
	v_mul_lo_u32 v4, v4, v2
	v_mul_hi_u32 v4, v2, v4
	v_add_u32_e32 v2, v2, v4
	v_mul_hi_u32 v2, s3, v2
	s_and_saveexec_b64 s[6:7], vcc
	s_cbranch_execz .LBB91_2
; %bb.1:
	v_mov_b32_e32 v4, 0x100
	v_lshl_add_u32 v4, v17, 2, v4
	v_mov_b32_e32 v5, -1
	ds_write_b32 v4, v5
.LBB91_2:
	s_or_b64 exec, exec, s[6:7]
	v_mul_f32_e32 v8, 0x4f7ffffe, v3
	v_mul_lo_u32 v3, v2, v1
	v_sub_u32_e32 v3, s3, v3
	v_add_u32_e32 v4, 1, v2
	v_sub_u32_e32 v5, v3, v1
	v_cmp_ge_u32_e64 s[6:7], v3, v1
	s_nop 1
	v_cndmask_b32_e64 v2, v2, v4, s[6:7]
	v_cndmask_b32_e64 v3, v3, v5, s[6:7]
	v_add_u32_e32 v4, 1, v2
	v_cmp_ge_u32_e64 s[6:7], v3, v1
	s_nop 1
	v_cndmask_b32_e64 v2, v2, v4, s[6:7]
	v_mul_lo_u32 v90, v2, 14
	v_mul_lo_u32 v1, v2, v1
	v_mul_hi_i32 v3, v90, s51
	v_mul_lo_u32 v2, v90, s51
	v_sub_u32_e32 v18, s3, v1
	v_lshlrev_b64 v[2:3], 2, v[2:3]
	v_add_u32_e32 v1, v17, v90
	v_lshl_add_u64 v[2:3], s[8:9], 0, v[2:3]
	v_cmp_gt_i32_e64 s[6:7], s46, v16
	v_cmp_gt_i32_e64 s[24:25], s45, v1
	v_mov_b32_e32 v1, 0
	s_and_saveexec_b64 s[14:15], s[24:25]
	s_cbranch_execz .LBB91_10
; %bb.3:
	v_mov_b32_e32 v1, 0
	s_and_saveexec_b64 s[16:17], s[6:7]
	s_cbranch_execz .LBB91_9
; %bb.4:
	v_mul_lo_u32 v4, v17, s51
	v_ashrrev_i32_e32 v5, 31, v4
	v_mov_b32_e32 v1, 0x100
	v_lshl_add_u64 v[4:5], v[4:5], 2, v[2:3]
	v_lshl_add_u32 v9, v17, 2, v1
	v_mul_lo_u32 v6, v16, s50
	s_lshl_b32 s3, s50, 6
	s_mov_b64 s[18:19], 0
	v_mov_b32_e32 v1, 0
	v_mov_b32_e32 v10, v16
	s_branch .LBB91_6
.LBB91_5:                               ;   in Loop: Header=BB91_6 Depth=1
	s_or_b64 exec, exec, s[20:21]
	v_add_u32_e32 v10, 64, v10
	v_cmp_le_i32_e64 s[10:11], s46, v10
	s_xor_b64 s[8:9], s[8:9], -1
	s_or_b64 s[8:9], s[8:9], s[10:11]
	s_and_b64 s[8:9], exec, s[8:9]
	s_or_b64 s[18:19], s[8:9], s[18:19]
	v_add_u32_e32 v6, s3, v6
	s_andn2_b64 exec, exec, s[18:19]
	s_cbranch_execz .LBB91_8
.LBB91_6:                               ; =>This Inner Loop Header: Depth=1
	v_ashrrev_i32_e32 v7, 31, v6
	v_lshl_add_u64 v[12:13], v[6:7], 2, v[4:5]
	global_load_dword v7, v[12:13], off
	s_waitcnt vmcnt(0)
	v_cmp_ne_u32_e64 s[8:9], v7, v18
	v_cmp_eq_u32_e64 s[10:11], v7, v18
	s_and_saveexec_b64 s[20:21], s[10:11]
	s_cbranch_execz .LBB91_5
; %bb.7:                                ;   in Loop: Header=BB91_6 Depth=1
	v_mov_b32_e32 v1, 1
	ds_write_b32 v9, v10
	s_branch .LBB91_5
.LBB91_8:
	s_or_b64 exec, exec, s[18:19]
.LBB91_9:
	s_or_b64 exec, exec, s[16:17]
.LBB91_10:
	s_or_b64 exec, exec, s[14:15]
	v_cvt_u32_f32_e32 v8, v8
	s_sub_i32 s3, 0, s22
	s_and_saveexec_b64 s[8:9], vcc
	s_cbranch_execz .LBB91_12
; %bb.11:
	v_mov_b32_e32 v4, 0x100
	v_lshl_add_u32 v4, v17, 2, v4
	v_mov_b32_e32 v5, -1
	ds_write_b32 v4, v5 offset:24
.LBB91_12:
	s_or_b64 exec, exec, s[8:9]
	v_add_u32_e32 v91, 6, v17
	v_mul_lo_u32 v9, s3, v8
	v_add_u32_e32 v4, v91, v90
	v_cmp_gt_i32_e64 s[8:9], s45, v4
	s_mov_b64 s[14:15], exec
                                        ; implicit-def: $vgpr109 : SGPR spill to VGPR lane
	s_nop 0
	v_writelane_b32 v109, s8, 0
	s_nop 1
	v_writelane_b32 v109, s9, 1
	s_and_b64 s[8:9], s[14:15], s[8:9]
	s_mov_b64 exec, s[8:9]
	s_cbranch_execz .LBB91_20
; %bb.13:
	s_and_saveexec_b64 s[16:17], s[6:7]
	s_cbranch_execz .LBB91_19
; %bb.14:
	v_mul_lo_u32 v4, v91, s51
	v_ashrrev_i32_e32 v5, 31, v4
	v_mov_b32_e32 v6, 0x100
	v_lshl_add_u64 v[4:5], v[4:5], 2, v[2:3]
	v_lshl_add_u32 v10, v17, 2, v6
	v_mul_lo_u32 v6, v16, s50
	s_lshl_b32 s3, s50, 6
	s_mov_b64 s[18:19], 0
	v_mov_b32_e32 v11, v16
	s_branch .LBB91_16
.LBB91_15:                              ;   in Loop: Header=BB91_16 Depth=1
	s_or_b64 exec, exec, s[20:21]
	v_add_u32_e32 v11, 64, v11
	v_cmp_le_i32_e64 s[10:11], s46, v11
	s_xor_b64 s[8:9], s[8:9], -1
	s_or_b64 s[8:9], s[8:9], s[10:11]
	s_and_b64 s[8:9], exec, s[8:9]
	s_or_b64 s[18:19], s[8:9], s[18:19]
	v_add_u32_e32 v6, s3, v6
	s_andn2_b64 exec, exec, s[18:19]
	s_cbranch_execz .LBB91_18
.LBB91_16:                              ; =>This Inner Loop Header: Depth=1
	v_ashrrev_i32_e32 v7, 31, v6
	v_lshl_add_u64 v[12:13], v[6:7], 2, v[4:5]
	global_load_dword v7, v[12:13], off
	s_waitcnt vmcnt(0)
	v_cmp_ne_u32_e64 s[8:9], v7, v18
	v_cmp_eq_u32_e64 s[10:11], v7, v18
	s_and_saveexec_b64 s[20:21], s[10:11]
	s_cbranch_execz .LBB91_15
; %bb.17:                               ;   in Loop: Header=BB91_16 Depth=1
	v_mov_b32_e32 v1, 1
	ds_write_b32 v10, v11 offset:24
	s_branch .LBB91_15
.LBB91_18:
	s_or_b64 exec, exec, s[18:19]
.LBB91_19:
	s_or_b64 exec, exec, s[16:17]
.LBB91_20:
	s_or_b64 exec, exec, s[14:15]
	v_mul_hi_u32 v4, v8, v9
	s_and_saveexec_b64 s[8:9], vcc
	s_cbranch_execz .LBB91_22
; %bb.21:
	v_mov_b32_e32 v5, 0x100
	v_lshl_add_u32 v5, v17, 2, v5
	v_mov_b32_e32 v6, -1
	ds_write_b32 v5, v6 offset:48
.LBB91_22:
	s_or_b64 exec, exec, s[8:9]
	s_load_dwordx4 s[28:31], s[0:1], 0x54
	v_add_u32_e32 v92, 12, v17
	s_abs_i32 s3, s4
	v_add_u32_e32 v6, v8, v4
	v_add_u32_e32 v4, v92, v90
	v_cmp_gt_i32_e64 s[10:11], s45, v4
	s_mov_b64 s[8:9], exec
	s_nop 0
	v_writelane_b32 v109, s10, 2
	s_nop 1
	v_writelane_b32 v109, s11, 3
	s_and_b64 s[10:11], s[8:9], s[10:11]
	s_mov_b64 exec, s[10:11]
	s_cbranch_execz .LBB91_30
; %bb.23:
	s_and_saveexec_b64 s[10:11], s[6:7]
	s_cbranch_execz .LBB91_29
; %bb.24:
	v_mul_lo_u32 v4, v92, s51
	v_ashrrev_i32_e32 v5, 31, v4
	v_lshl_add_u64 v[2:3], v[4:5], 2, v[2:3]
	v_mov_b32_e32 v4, 0x100
	v_lshl_add_u32 v7, v17, 2, v4
	v_mul_lo_u32 v4, v16, s50
	s_lshl_b32 s5, s50, 6
	s_mov_b64 s[14:15], 0
	v_mov_b32_e32 v8, v16
	s_branch .LBB91_26
.LBB91_25:                              ;   in Loop: Header=BB91_26 Depth=1
	s_or_b64 exec, exec, s[16:17]
	v_add_u32_e32 v8, 64, v8
	v_cmp_le_i32_e64 s[6:7], s46, v8
	s_xor_b64 s[16:17], vcc, -1
	s_or_b64 s[6:7], s[16:17], s[6:7]
	s_and_b64 s[6:7], exec, s[6:7]
	s_or_b64 s[14:15], s[6:7], s[14:15]
	v_add_u32_e32 v4, s5, v4
	s_andn2_b64 exec, exec, s[14:15]
	s_cbranch_execz .LBB91_28
.LBB91_26:                              ; =>This Inner Loop Header: Depth=1
	v_ashrrev_i32_e32 v5, 31, v4
	v_lshl_add_u64 v[10:11], v[4:5], 2, v[2:3]
	global_load_dword v5, v[10:11], off
	s_waitcnt vmcnt(0)
	v_cmp_ne_u32_e32 vcc, v5, v18
	v_cmp_eq_u32_e64 s[6:7], v5, v18
	s_and_saveexec_b64 s[16:17], s[6:7]
	s_cbranch_execz .LBB91_25
; %bb.27:                               ;   in Loop: Header=BB91_26 Depth=1
	v_mov_b32_e32 v1, 1
	ds_write_b32 v7, v8 offset:48
	s_branch .LBB91_25
.LBB91_28:
	s_or_b64 exec, exec, s[14:15]
.LBB91_29:
	s_or_b64 exec, exec, s[10:11]
.LBB91_30:
	s_or_b64 exec, exec, s[8:9]
	s_load_dwordx2 s[6:7], s[12:13], 0xc
	s_load_dwordx2 s[8:9], s[0:1], 0x8
	;; [unrolled: 1-line block ×3, first 2 shown]
	v_cmp_ne_u32_e32 vcc, 0, v1
	v_mul_hi_u32 v19, s3, v6
	s_waitcnt lgkmcnt(0)
	s_and_b32 s5, s7, 0xffff
	v_cndmask_b32_e64 v1, 0, 1, vcc
	v_writelane_b32 v109, s10, 4
	s_lshr_b32 s7, s6, 16
	v_or_b32_dpp v1, v1, v1 row_shl:1 row_mask:0xf bank_mask:0xf bound_ctrl:1
	s_and_b32 s6, s6, 0xffff
	v_writelane_b32 v109, s11, 5
	v_or_b32_dpp v1, v1, v1 row_shl:2 row_mask:0xf bank_mask:0xf bound_ctrl:1
	s_mul_i32 s10, s7, s6
	s_bfe_i32 s10, s10, 0x180000
	v_or_b32_dpp v1, v1, v1 row_shl:4 row_mask:0xf bank_mask:0xf bound_ctrl:1
	s_mul_i32 s5, s10, s5
	s_add_i32 s10, s5, 63
	v_or_b32_dpp v1, v1, v1 row_shl:8 row_mask:0xf bank_mask:0xf bound_ctrl:1
	s_bitcmp1_b32 exec_hi, 0
                                        ; kill: killed $sgpr12 killed $sgpr13
	s_nop 0
	v_mov_b32_dpp v2, v1 wave_shl:1 row_mask:0xf bank_mask:0xf bound_ctrl:1
	s_nop 1
	v_or_b32_dpp v1, v2, v1 row_mirror row_mask:0xf bank_mask:0xf bound_ctrl:1
	s_nop 0
	v_readlane_b32 s5, v1, 32
	s_cselect_b32 s5, s5, 0
	v_readlane_b32 s11, v1, 0
	s_or_b32 s5, s5, s11
	s_andn2_b32 s10, s10, 63
	s_cmp_lg_u32 s10, 64
	v_mov_b32_e32 v1, s5
	s_cbranch_scc0 .LBB91_37
; %bb.31:
	v_bfe_u32 v0, v0, 20, 10
	v_mbcnt_lo_u32_b32 v1, -1, 0
	v_mad_u32_u24 v0, v0, s7, v17
	v_mbcnt_hi_u32_b32 v2, -1, v1
	v_mad_u64_u32 v[0:1], s[6:7], v0, s6, v[16:17]
	v_lshrrev_b32_e32 v1, 6, v0
	v_or_b32_e32 v1, v2, v1
	v_cmp_eq_u32_e32 vcc, 0, v1
	s_and_saveexec_b64 s[6:7], vcc
	s_cbranch_execz .LBB91_33
; %bb.32:
	v_mov_b32_e32 v1, 0
	v_mov_b32_e32 v3, s5
	ds_write_b32 v1, v3
.LBB91_33:
	s_or_b64 exec, exec, s[6:7]
	v_cmp_eq_u32_e32 vcc, 0, v2
	v_cmp_lt_u32_e64 s[6:7], 63, v0
	s_and_b64 s[10:11], s[6:7], vcc
	s_waitcnt lgkmcnt(0)
	s_barrier
	s_and_saveexec_b64 s[6:7], s[10:11]
	s_cbranch_execz .LBB91_36
; %bb.34:
	v_mbcnt_lo_u32_b32 v0, exec_lo, 0
	v_mbcnt_hi_u32_b32 v0, exec_hi, v0
	v_cmp_eq_u32_e32 vcc, 0, v0
	s_and_b64 exec, exec, vcc
	s_cbranch_execz .LBB91_36
; %bb.35:
	v_mov_b32_e32 v0, 0
	v_mov_b32_e32 v1, s5
	ds_or_b32 v0, v1
.LBB91_36:
	s_or_b64 exec, exec, s[6:7]
	v_mov_b32_e32 v0, 0
	s_waitcnt lgkmcnt(0)
	s_barrier
	ds_read_b32 v1, v0
	s_waitcnt lgkmcnt(0)
	s_barrier
.LBB91_37:
	s_load_dwordx2 s[6:7], s[0:1], 0x0
	v_cmp_ne_u32_e32 vcc, 0, v1
	s_ashr_i32 s5, s4, 31
	s_ashr_i32 s10, s55, 31
	s_cbranch_vccz .LBB91_111
; %bb.38:
	v_lshlrev_b32_e32 v93, 6, v17
	v_add_u32_e32 v95, v93, v16
	v_cmp_le_i32_e32 vcc, s44, v95
	v_and_b32_e32 v94, 15, v16
                                        ; implicit-def: $sgpr11
	s_and_saveexec_b64 s[0:1], vcc
	s_xor_b64 s[0:1], exec, s[0:1]
; %bb.39:
	v_and_b32_e32 v94, 15, v16
	s_mov_b32 s11, 0
                                        ; implicit-def: $vgpr95
                                        ; implicit-def: $vgpr19
                                        ; implicit-def: $vgpr18
; %bb.40:
	s_or_saveexec_b64 s[0:1], s[0:1]
	s_lshl_b32 s12, s2, 6
	v_mov_b32_e32 v11, s11
	v_mov_b32_e32 v10, s11
	;; [unrolled: 1-line block ×16, first 2 shown]
	v_writelane_b32 v109, s0, 6
	s_nop 1
	v_writelane_b32 v109, s1, 7
	s_xor_b64 exec, exec, s[0:1]
	s_cbranch_execz .LBB91_100
; %bb.41:
	v_mul_lo_u32 v0, v19, s22
	v_sub_u32_e32 v0, s3, v0
	v_add_u32_e32 v1, 1, v19
	v_subrev_u32_e32 v2, s22, v0
	v_cmp_le_u32_e32 vcc, s22, v0
	s_xor_b32 s0, s5, s10
	v_writelane_b32 v109, s24, 8
	v_cndmask_b32_e32 v1, v19, v1, vcc
	v_cndmask_b32_e32 v0, v0, v2, vcc
	v_add_u32_e32 v2, 1, v1
	v_cmp_le_u32_e32 vcc, s22, v0
	v_writelane_b32 v109, s25, 9
	v_writelane_b32 v109, s12, 10
	v_cndmask_b32_e32 v0, v1, v2, vcc
	v_xor_b32_e32 v0, s0, v0
	v_subrev_u32_e32 v0, s0, v0
	v_mul_hi_i32 v1, v0, s28
	v_mul_lo_u32 v0, v0, s28
	v_mul_lo_u32 v2, v18, s52
	v_ashrrev_i32_e32 v3, 31, v2
	s_mul_i32 s0, s12, s47
	v_lshlrev_b64 v[0:1], 2, v[0:1]
	s_movk_i32 s2, 0x1080
	v_mov_b32_e32 v96, 0x100
	v_writelane_b32 v109, s4, 11
	s_waitcnt lgkmcnt(0)
	v_lshl_add_u64 v[4:5], s[6:7], 0, v[0:1]
	v_lshlrev_b64 v[2:3], 2, v[2:3]
	s_ashr_i32 s1, s0, 31
	v_mad_u32_u24 v6, v17, s2, v96
	s_mul_hi_i32 s3, s29, s4
	v_writelane_b32 v109, s28, 12
	s_mul_i32 s2, s29, s4
	v_lshl_add_u64 v[4:5], v[4:5], 0, v[2:3]
	s_lshl_b64 s[0:1], s[0:1], 2
	s_lshl_b64 s[2:3], s[2:3], 2
	v_lshl_add_u64 v[18:19], v[4:5], 0, s[0:1]
	v_writelane_b32 v109, s29, 13
	v_mul_hi_i32 v5, v90, s48
	v_mul_lo_u32 v4, v90, s48
	s_add_u32 s2, s8, s2
	v_writelane_b32 v109, s30, 14
	s_addc_u32 s3, s9, s3
	v_lshlrev_b64 v[4:5], 2, v[4:5]
	v_writelane_b32 v109, s31, 15
	v_lshl_add_u64 v[20:21], s[2:3], 0, v[4:5]
	s_lshl_b32 s2, s48, 2
	v_writelane_b32 v109, s2, 16
	s_lshl_b32 s2, s48, 3
	v_writelane_b32 v109, s2, 17
	v_lshl_add_u64 v[0:1], v[0:1], 0, s[0:1]
	s_mul_i32 s0, s47, 3
	v_lshrrev_b32_e32 v5, 1, v16
	v_lshl_add_u64 v[0:1], v[0:1], 0, v[2:3]
	v_writelane_b32 v109, s0, 18
	s_mul_i32 s0, s47, 5
	v_mul_u32_u24_e32 v4, 0x108, v94
	v_and_b32_e32 v5, 0x1f8, v5
	v_or_b32_e32 v26, 1, v90
	v_add_u32_e32 v27, 2, v90
	s_lshl_b32 s46, s48, 1
	v_add_u32_e32 v28, 3, v90
	v_add_u32_e32 v29, 4, v90
	;; [unrolled: 1-line block ×11, first 2 shown]
	s_ashr_i32 s3, s47, 31
	s_mov_b32 s2, s47
	v_lshlrev_b32_e32 v22, 2, v95
	v_mov_b32_e32 v23, 0
	v_lshl_add_u64 v[0:1], s[6:7], 0, v[0:1]
	v_writelane_b32 v109, s0, 19
	s_mul_i32 s0, s47, 6
	v_lshl_add_u32 v97, v16, 2, v6
	v_add3_u32 v98, v6, v4, v5
	s_lshl_b64 s[2:3], s[2:3], 2
	v_lshl_add_u64 v[24:25], v[0:1], 0, v[22:23]
	s_lshl_b32 s66, s47, 1
	s_lshl_b32 s68, s47, 2
	v_writelane_b32 v109, s0, 20
	s_mul_i32 s71, s47, 7
	s_lshl_b32 s72, s47, 3
	s_mul_i32 s73, s47, 9
	s_mul_i32 s74, s47, 10
	;; [unrolled: 1-line block ×7, first 2 shown]
	s_lshl_b32 s80, s47, 4
	s_mul_i32 s81, s47, 17
	s_mul_i32 s82, s47, 18
	;; [unrolled: 1-line block ×15, first 2 shown]
	s_lshl_b32 s96, s47, 5
	s_mul_i32 s97, s47, 33
	s_mul_i32 s98, s47, 34
	;; [unrolled: 1-line block ×11, first 2 shown]
	v_cmp_gt_i32_e64 s[6:7], s45, v90
	s_mul_i32 s57, s47, 44
	s_mul_i32 s0, s47, 45
	v_mov_b32_e32 v12, 0
	v_mov_b32_e32 v13, v23
	;; [unrolled: 1-line block ×16, first 2 shown]
	s_mul_i32 s1, s47, 46
	s_mul_i32 s59, s47, 47
	;; [unrolled: 1-line block ×18, first 2 shown]
	v_cmp_gt_i32_e64 s[8:9], s45, v26
	v_cmp_gt_i32_e64 s[10:11], s45, v27
	;; [unrolled: 1-line block ×13, first 2 shown]
	s_mov_b32 s45, s46
	s_mov_b64 s[46:47], 0
	s_mov_b64 s[50:51], 0x600
	s_branch .LBB91_44
.LBB91_42:                              ;   in Loop: Header=BB91_44 Depth=1
	v_mul_lo_u32 v22, v22, s53
	s_mul_i32 vcc_lo, s48, 13
	v_add_u32_e32 v22, vcc_lo, v22
	v_add_u32_e32 v100, v22, v95
	v_ashrrev_i32_e32 v101, 31, v100
	v_lshl_add_u64 v[100:101], v[100:101], 2, v[20:21]
	global_load_dword v22, v[100:101], off
.LBB91_43:                              ;   in Loop: Header=BB91_44 Depth=1
	v_add_u32_e32 v99, 0xc00, v97
	s_waitcnt vmcnt(0)
	ds_write2_b32 v99, v22, v23 offset0:106 offset1:172
	ds_write_b32 v97, v23 offset:4024
	ds_read2_b64 v[100:103], v98 offset0:8 offset1:12
	v_add_u32_e32 v95, 0x180, v95
	v_cmp_le_i32_e32 vcc, s44, v95
	v_lshl_add_u64 v[24:25], v[24:25], 0, s[50:51]
	s_or_b64 s[46:47], vcc, s[46:47]
	s_waitcnt lgkmcnt(0)
	v_mfma_f32_16x16x8_xf32 v[0:3], v[74:75], v[100:101], v[0:3]
	v_mfma_f32_16x16x8_xf32 v[8:11], v[42:43], v[100:101], v[8:11]
	v_mfma_f32_16x16x8_xf32 v[4:7], v[58:59], v[100:101], v[4:7]
	v_mfma_f32_16x16x8_xf32 v[12:15], v[88:89], v[100:101], v[12:15]
	v_mfma_f32_16x16x8_xf32 v[0:3], v[72:73], v[102:103], v[0:3]
	ds_read2_b64 v[72:75], v98 offset0:16 offset1:20
	v_mfma_f32_16x16x8_xf32 v[8:11], v[38:39], v[102:103], v[8:11]
	v_mfma_f32_16x16x8_xf32 v[4:7], v[54:55], v[102:103], v[4:7]
	v_mfma_f32_16x16x8_xf32 v[12:15], v[86:87], v[102:103], v[12:15]
	s_waitcnt lgkmcnt(0)
	v_mfma_f32_16x16x8_xf32 v[8:11], v[36:37], v[72:73], v[8:11]
	v_mfma_f32_16x16x8_xf32 v[4:7], v[52:53], v[72:73], v[4:7]
	v_mfma_f32_16x16x8_xf32 v[0:3], v[70:71], v[72:73], v[0:3]
	v_mfma_f32_16x16x8_xf32 v[12:15], v[82:83], v[72:73], v[12:15]
	v_mfma_f32_16x16x8_xf32 v[8:11], v[34:35], v[74:75], v[8:11]
	ds_read2_b64 v[34:37], v98 offset0:24 offset1:28
	v_mfma_f32_16x16x8_xf32 v[4:7], v[50:51], v[74:75], v[4:7]
	v_mfma_f32_16x16x8_xf32 v[0:3], v[68:69], v[74:75], v[0:3]
	v_mfma_f32_16x16x8_xf32 v[12:15], v[78:79], v[74:75], v[12:15]
	;; [unrolled: 10-line block ×3, first 2 shown]
	s_waitcnt lgkmcnt(0)
	v_mfma_f32_16x16x8_xf32 v[8:11], v[28:29], v[30:31], v[8:11]
	v_mfma_f32_16x16x8_xf32 v[4:7], v[44:45], v[30:31], v[4:7]
	v_mfma_f32_16x16x8_xf32 v[0:3], v[60:61], v[30:31], v[0:3]
	v_mfma_f32_16x16x8_xf32 v[12:15], v[76:77], v[30:31], v[12:15]
	v_mfma_f32_16x16x8_xf32 v[8:11], v[26:27], v[32:33], v[8:11]
	v_mfma_f32_16x16x8_xf32 v[4:7], v[40:41], v[32:33], v[4:7]
	v_mfma_f32_16x16x8_xf32 v[0:3], v[56:57], v[32:33], v[0:3]
	v_mfma_f32_16x16x8_xf32 v[12:15], v[64:65], v[32:33], v[12:15]
	s_andn2_b64 exec, exec, s[46:47]
	s_cbranch_execz .LBB91_99
.LBB91_44:                              ; =>This Inner Loop Header: Depth=1
	v_readlane_b32 vcc_lo, v109, 18
	v_lshl_add_u64 v[26:27], v[24:25], 0, s[2:3]
	global_load_dword v22, v[24:25], off
	global_load_dword v52, v[26:27], off
	v_add_u32_e32 v28, vcc_lo, v95
	v_readlane_b32 vcc_lo, v109, 19
	v_add_u32_e32 v26, s66, v95
	v_ashrrev_i32_e32 v27, 31, v26
	v_add_u32_e32 v32, vcc_lo, v95
	v_readlane_b32 vcc_lo, v109, 20
	v_add_u32_e32 v30, s68, v95
	v_add_u32_e32 v36, s71, v95
	v_add_u32_e32 v34, vcc_lo, v95
	v_lshl_add_u64 v[26:27], v[26:27], 2, v[18:19]
	v_ashrrev_i32_e32 v29, 31, v28
	v_ashrrev_i32_e32 v31, 31, v30
	;; [unrolled: 1-line block ×5, first 2 shown]
	v_lshl_add_u64 v[28:29], v[28:29], 2, v[18:19]
	v_lshl_add_u64 v[30:31], v[30:31], 2, v[18:19]
	;; [unrolled: 1-line block ×5, first 2 shown]
	global_load_dword v53, v[26:27], off
	global_load_dword v54, v[28:29], off
	;; [unrolled: 1-line block ×6, first 2 shown]
	v_add_u32_e32 v26, s72, v95
	v_add_u32_e32 v44, s81, v95
	;; [unrolled: 1-line block ×10, first 2 shown]
	v_ashrrev_i32_e32 v27, 31, v26
	v_ashrrev_i32_e32 v45, 31, v44
	;; [unrolled: 1-line block ×10, first 2 shown]
	v_lshl_add_u64 v[26:27], v[26:27], 2, v[18:19]
	v_lshl_add_u64 v[44:45], v[44:45], 2, v[18:19]
	v_add_u32_e32 v46, s82, v95
	v_add_u32_e32 v48, s83, v95
	;; [unrolled: 1-line block ×3, first 2 shown]
	v_lshl_add_u64 v[28:29], v[28:29], 2, v[18:19]
	v_lshl_add_u64 v[30:31], v[30:31], 2, v[18:19]
	v_lshl_add_u64 v[32:33], v[32:33], 2, v[18:19]
	v_lshl_add_u64 v[34:35], v[34:35], 2, v[18:19]
	v_lshl_add_u64 v[36:37], v[36:37], 2, v[18:19]
	v_lshl_add_u64 v[38:39], v[38:39], 2, v[18:19]
	v_lshl_add_u64 v[40:41], v[40:41], 2, v[18:19]
	v_lshl_add_u64 v[42:43], v[42:43], 2, v[18:19]
	global_load_dword v59, v[26:27], off
	global_load_dword v60, v[28:29], off
	;; [unrolled: 1-line block ×9, first 2 shown]
	s_nop 0
	global_load_dword v44, v[44:45], off
	v_add_u32_e32 v26, s85, v95
	v_ashrrev_i32_e32 v47, 31, v46
	v_ashrrev_i32_e32 v49, 31, v48
	;; [unrolled: 1-line block ×4, first 2 shown]
	v_add_u32_e32 v28, s86, v95
	v_add_u32_e32 v30, s87, v95
	;; [unrolled: 1-line block ×4, first 2 shown]
	v_lshl_add_u64 v[46:47], v[46:47], 2, v[18:19]
	v_lshl_add_u64 v[48:49], v[48:49], 2, v[18:19]
	;; [unrolled: 1-line block ×4, first 2 shown]
	v_ashrrev_i32_e32 v29, 31, v28
	v_ashrrev_i32_e32 v31, 31, v30
	;; [unrolled: 1-line block ×4, first 2 shown]
	v_lshl_add_u64 v[28:29], v[28:29], 2, v[18:19]
	v_lshl_add_u64 v[30:31], v[30:31], 2, v[18:19]
	;; [unrolled: 1-line block ×4, first 2 shown]
	v_add_u32_e32 v36, s95, v95
	v_add_u32_e32 v38, s96, v95
	;; [unrolled: 1-line block ×3, first 2 shown]
	v_ashrrev_i32_e32 v37, 31, v36
	v_ashrrev_i32_e32 v39, 31, v38
	s_waitcnt vmcnt(17)
	ds_write_b32 v97, v22 offset:64
	s_waitcnt vmcnt(16)
	ds_write_b32 v97, v52 offset:328
	;; [unrolled: 2-line block ×8, first 2 shown]
	global_load_dword v22, v[46:47], off
	global_load_dword v45, v[48:49], off
	s_nop 0
	global_load_dword v46, v[50:51], off
	global_load_dword v47, v[26:27], off
	;; [unrolled: 1-line block ×4, first 2 shown]
	s_nop 0
	global_load_dword v50, v[32:33], off
	global_load_dword v51, v[34:35], off
	v_add_u32_e32 v26, s90, v95
	v_ashrrev_i32_e32 v27, 31, v26
	v_add_u32_e32 v28, s91, v95
	v_add_u32_e32 v30, s92, v95
	;; [unrolled: 1-line block ×4, first 2 shown]
	v_lshl_add_u64 v[26:27], v[26:27], 2, v[18:19]
	v_ashrrev_i32_e32 v29, 31, v28
	v_ashrrev_i32_e32 v31, 31, v30
	v_ashrrev_i32_e32 v33, 31, v32
	v_ashrrev_i32_e32 v35, 31, v34
	v_ashrrev_i32_e32 v41, 31, v40
	v_lshl_add_u64 v[28:29], v[28:29], 2, v[18:19]
	v_lshl_add_u64 v[30:31], v[30:31], 2, v[18:19]
	v_lshl_add_u64 v[32:33], v[32:33], 2, v[18:19]
	v_lshl_add_u64 v[34:35], v[34:35], 2, v[18:19]
	v_lshl_add_u64 v[36:37], v[36:37], 2, v[18:19]
	v_lshl_add_u64 v[38:39], v[38:39], 2, v[18:19]
	v_lshl_add_u64 v[40:41], v[40:41], 2, v[18:19]
	global_load_dword v52, v[26:27], off
	global_load_dword v53, v[28:29], off
	global_load_dword v54, v[30:31], off
	global_load_dword v55, v[32:33], off
	global_load_dword v56, v[34:35], off
	global_load_dword v57, v[36:37], off
	global_load_dword v68, v[38:39], off
	global_load_dword v69, v[40:41], off
	v_add_u32_e32 v26, s98, v95
	v_ashrrev_i32_e32 v27, 31, v26
	v_add_u32_e32 v28, s99, v95
	v_add_u32_e32 v30, s42, v95
	v_add_u32_e32 v32, s43, v95
	v_add_u32_e32 v34, s58, v95
	v_add_u32_e32 v36, s5, v95
	v_add_u32_e32 v38, s38, v95
	v_add_u32_e32 v40, s39, v95
	v_lshl_add_u64 v[26:27], v[26:27], 2, v[18:19]
	v_ashrrev_i32_e32 v29, 31, v28
	v_ashrrev_i32_e32 v31, 31, v30
	v_ashrrev_i32_e32 v33, 31, v32
	v_ashrrev_i32_e32 v35, 31, v34
	v_ashrrev_i32_e32 v37, 31, v36
	v_ashrrev_i32_e32 v39, 31, v38
	v_ashrrev_i32_e32 v41, 31, v40
	v_lshl_add_u64 v[28:29], v[28:29], 2, v[18:19]
	v_lshl_add_u64 v[30:31], v[30:31], 2, v[18:19]
	v_lshl_add_u64 v[32:33], v[32:33], 2, v[18:19]
	v_lshl_add_u64 v[34:35], v[34:35], 2, v[18:19]
	v_lshl_add_u64 v[36:37], v[36:37], 2, v[18:19]
	v_lshl_add_u64 v[38:39], v[38:39], 2, v[18:19]
	v_lshl_add_u64 v[40:41], v[40:41], 2, v[18:19]
	global_load_dword v70, v[26:27], off
	global_load_dword v71, v[28:29], off
	global_load_dword v72, v[30:31], off
	global_load_dword v73, v[32:33], off
	global_load_dword v74, v[34:35], off
	global_load_dword v75, v[36:37], off
	global_load_dword v76, v[38:39], off
	global_load_dword v77, v[40:41], off
	v_add_u32_e32 v26, s52, v95
	v_ashrrev_i32_e32 v27, 31, v26
	v_add_u32_e32 v28, s56, v95
	v_add_u32_e32 v30, s57, v95
	v_add_u32_e32 v32, s0, v95
	v_add_u32_e32 v34, s1, v95
	v_add_u32_e32 v36, s59, v95
	v_add_u32_e32 v38, s61, v95
	v_add_u32_e32 v40, s62, v95
	v_lshl_add_u64 v[26:27], v[26:27], 2, v[18:19]
	v_ashrrev_i32_e32 v29, 31, v28
	v_ashrrev_i32_e32 v31, 31, v30
	;; [unrolled: 32-line block ×3, first 2 shown]
	v_ashrrev_i32_e32 v33, 31, v32
	v_ashrrev_i32_e32 v35, 31, v34
	v_ashrrev_i32_e32 v37, 31, v36
	v_ashrrev_i32_e32 v39, 31, v38
	v_ashrrev_i32_e32 v41, 31, v40
	v_lshl_add_u64 v[28:29], v[28:29], 2, v[18:19]
	v_lshl_add_u64 v[30:31], v[30:31], 2, v[18:19]
	;; [unrolled: 1-line block ×7, first 2 shown]
	global_load_dword v86, v[26:27], off
	global_load_dword v87, v[28:29], off
	;; [unrolled: 1-line block ×8, first 2 shown]
	v_add_u32_e32 v26, s4, v95
	v_ashrrev_i32_e32 v27, 31, v26
	v_add_u32_e32 v28, s55, v95
	v_add_u32_e32 v30, s60, v95
	;; [unrolled: 1-line block ×5, first 2 shown]
	v_lshl_add_u64 v[26:27], v[26:27], 2, v[18:19]
	v_ashrrev_i32_e32 v29, 31, v28
	v_ashrrev_i32_e32 v31, 31, v30
	;; [unrolled: 1-line block ×5, first 2 shown]
	v_lshl_add_u64 v[28:29], v[28:29], 2, v[18:19]
	v_lshl_add_u64 v[30:31], v[30:31], 2, v[18:19]
	;; [unrolled: 1-line block ×5, first 2 shown]
	global_load_dword v103, v[26:27], off
	global_load_dword v104, v[28:29], off
	global_load_dword v105, v[30:31], off
	global_load_dword v106, v[32:33], off
	global_load_dword v107, v[34:35], off
	global_load_dword v108, v[36:37], off
	s_waitcnt vmcnt(55)
	ds_write_b32 v97, v59 offset:2176
	s_waitcnt vmcnt(54)
	ds_write_b32 v97, v60 offset:2440
	s_waitcnt vmcnt(53)
	ds_write_b32 v97, v61 offset:2704
	s_waitcnt vmcnt(52)
	ds_write_b32 v97, v62 offset:2968
	s_waitcnt vmcnt(51)
	ds_write_b32 v97, v63 offset:3232
	s_waitcnt vmcnt(50)
	ds_write_b32 v97, v64 offset:3496
	s_waitcnt vmcnt(49)
	ds_write_b32 v97, v65 offset:3760
	s_waitcnt vmcnt(48)
	ds_write_b32 v97, v66 offset:4024
	ds_read_b64 v[42:43], v98 offset:64
	ds_read_b64 v[38:39], v98 offset:96
	ds_read_b64 v[36:37], v98 offset:128
	ds_read_b64 v[34:35], v98 offset:160
	ds_read_b64 v[32:33], v98 offset:192
	ds_read_b64 v[30:31], v98 offset:224
	ds_read_b64 v[28:29], v98 offset:256
	ds_read_b64 v[26:27], v98 offset:288
	s_waitcnt vmcnt(47)
	ds_write_b32 v97, v67 offset:64
	s_waitcnt vmcnt(46)
	ds_write_b32 v97, v44 offset:328
	s_waitcnt vmcnt(45)
	ds_write_b32 v97, v22 offset:592
	s_waitcnt vmcnt(44)
	ds_write_b32 v97, v45 offset:856
	s_waitcnt vmcnt(43)
	ds_write_b32 v97, v46 offset:1120
	s_waitcnt vmcnt(42)
	ds_write_b32 v97, v47 offset:1384
	s_waitcnt vmcnt(41)
	ds_write_b32 v97, v48 offset:1648
	s_waitcnt vmcnt(40)
	ds_write_b32 v97, v49 offset:1912
	s_waitcnt vmcnt(39)
	ds_write_b32 v97, v50 offset:2176
	s_waitcnt vmcnt(38)
	ds_write_b32 v97, v51 offset:2440
	s_waitcnt vmcnt(37)
	ds_write_b32 v97, v52 offset:2704
	s_waitcnt vmcnt(36)
	ds_write_b32 v97, v53 offset:2968
	s_waitcnt vmcnt(35)
	ds_write_b32 v97, v54 offset:3232
	s_waitcnt vmcnt(34)
	ds_write_b32 v97, v55 offset:3496
	s_waitcnt vmcnt(33)
	ds_write_b32 v97, v56 offset:3760
	s_waitcnt vmcnt(32)
	ds_write_b32 v97, v57 offset:4024
	ds_read_b64 v[58:59], v98 offset:64
	ds_read_b64 v[54:55], v98 offset:96
	ds_read_b64 v[52:53], v98 offset:128
	ds_read_b64 v[50:51], v98 offset:160
	ds_read_b64 v[48:49], v98 offset:192
	ds_read_b64 v[46:47], v98 offset:224
	ds_read_b64 v[44:45], v98 offset:256
	ds_read_b64 v[40:41], v98 offset:288
	s_waitcnt vmcnt(31)
	ds_write_b32 v97, v68 offset:64
	s_waitcnt vmcnt(30)
	ds_write_b32 v97, v69 offset:328
	s_waitcnt vmcnt(29)
	ds_write_b32 v97, v70 offset:592
	s_waitcnt vmcnt(28)
	ds_write_b32 v97, v71 offset:856
	s_waitcnt vmcnt(27)
	ds_write_b32 v97, v72 offset:1120
	s_waitcnt vmcnt(26)
	ds_write_b32 v97, v73 offset:1384
	s_waitcnt vmcnt(25)
	ds_write_b32 v97, v74 offset:1648
	s_waitcnt vmcnt(24)
	ds_write_b32 v97, v75 offset:1912
	s_waitcnt vmcnt(23)
	ds_write_b32 v97, v76 offset:2176
	s_waitcnt vmcnt(22)
	ds_write_b32 v97, v77 offset:2440
	s_waitcnt vmcnt(21)
	ds_write_b32 v97, v78 offset:2704
	s_waitcnt vmcnt(20)
	ds_write_b32 v97, v79 offset:2968
	s_waitcnt vmcnt(19)
	ds_write_b32 v97, v80 offset:3232
	s_waitcnt vmcnt(18)
	ds_write_b32 v97, v81 offset:3496
	s_waitcnt vmcnt(17)
	ds_write_b32 v97, v82 offset:3760
	s_waitcnt vmcnt(16)
	ds_write_b32 v97, v83 offset:4024
	ds_read_b64 v[74:75], v98 offset:64
	ds_read_b64 v[72:73], v98 offset:96
	ds_read_b64 v[70:71], v98 offset:128
	ds_read_b64 v[68:69], v98 offset:160
	ds_read_b64 v[66:67], v98 offset:192
	ds_read_b64 v[62:63], v98 offset:224
	ds_read_b64 v[60:61], v98 offset:256
	ds_read_b64 v[56:57], v98 offset:288
	s_waitcnt vmcnt(15)
	ds_write_b32 v97, v84 offset:64
	s_waitcnt vmcnt(14)
	ds_write_b32 v97, v85 offset:328
	s_waitcnt vmcnt(13)
	ds_write_b32 v97, v86 offset:592
	s_waitcnt vmcnt(12)
	ds_write_b32 v97, v87 offset:856
	s_waitcnt vmcnt(11)
	ds_write_b32 v97, v88 offset:1120
	s_waitcnt vmcnt(10)
	ds_write_b32 v97, v89 offset:1384
	s_waitcnt vmcnt(9)
	ds_write_b32 v97, v99 offset:1648
	s_waitcnt vmcnt(8)
	ds_write_b32 v97, v100 offset:1912
	s_waitcnt vmcnt(7)
	ds_write_b32 v97, v101 offset:2176
	s_waitcnt vmcnt(6)
	ds_write_b32 v97, v102 offset:2440
	s_waitcnt vmcnt(5)
	ds_write_b32 v97, v103 offset:2704
	s_waitcnt vmcnt(4)
	ds_write_b32 v97, v104 offset:2968
	s_waitcnt vmcnt(3)
	ds_write_b32 v97, v105 offset:3232
	s_waitcnt vmcnt(2)
	ds_write_b32 v97, v106 offset:3496
	s_waitcnt vmcnt(1)
	ds_write_b32 v97, v107 offset:3760
	s_waitcnt vmcnt(0)
	ds_write_b32 v97, v108 offset:4024
	ds_read_b64 v[88:89], v98 offset:64
	ds_read_b64 v[86:87], v98 offset:96
	;; [unrolled: 1-line block ×8, first 2 shown]
	s_andn2_b64 vcc, exec, s[6:7]
	v_mov_b32_e32 v22, 0
	s_cbranch_vccnz .LBB91_48
; %bb.45:                               ;   in Loop: Header=BB91_44 Depth=1
	ds_read_b32 v22, v96
	s_waitcnt lgkmcnt(0)
	v_cmp_gt_i32_e32 vcc, 0, v22
	s_cbranch_vccnz .LBB91_47
; %bb.46:                               ;   in Loop: Header=BB91_44 Depth=1
	v_mul_lo_u32 v22, v22, s53
	v_add_u32_e32 v100, v95, v22
	v_ashrrev_i32_e32 v101, 31, v100
	v_lshl_add_u64 v[100:101], v[100:101], 2, v[20:21]
	global_load_dword v22, v[100:101], off
	s_branch .LBB91_48
.LBB91_47:                              ;   in Loop: Header=BB91_44 Depth=1
	v_mov_b32_e32 v22, 0
.LBB91_48:                              ;   in Loop: Header=BB91_44 Depth=1
	s_waitcnt vmcnt(0)
	ds_write_b32 v97, v22 offset:64
	s_andn2_b64 vcc, exec, s[8:9]
	v_mov_b32_e32 v22, 0
	v_mov_b32_e32 v99, 0
	s_cbranch_vccnz .LBB91_51
; %bb.49:                               ;   in Loop: Header=BB91_44 Depth=1
	ds_read_b32 v99, v96 offset:4
	s_waitcnt lgkmcnt(0)
	v_cmp_gt_i32_e32 vcc, 0, v99
	s_cbranch_vccnz .LBB91_54
; %bb.50:                               ;   in Loop: Header=BB91_44 Depth=1
	v_mul_lo_u32 v99, v99, s53
	v_add_u32_e32 v99, s48, v99
	v_add_u32_e32 v100, v99, v95
	v_ashrrev_i32_e32 v101, 31, v100
	v_lshl_add_u64 v[100:101], v[100:101], 2, v[20:21]
	global_load_dword v99, v[100:101], off
.LBB91_51:                              ;   in Loop: Header=BB91_44 Depth=1
	s_andn2_b64 vcc, exec, s[10:11]
	s_waitcnt vmcnt(0)
	ds_write_b32 v97, v99 offset:328
	s_cbranch_vccnz .LBB91_56
.LBB91_52:                              ;   in Loop: Header=BB91_44 Depth=1
	ds_read_b32 v22, v96 offset:8
	s_waitcnt lgkmcnt(0)
	v_cmp_gt_i32_e32 vcc, 0, v22
	s_cbranch_vccnz .LBB91_55
; %bb.53:                               ;   in Loop: Header=BB91_44 Depth=1
	v_mul_lo_u32 v22, v22, s53
	v_add_u32_e32 v22, s45, v22
	v_add_u32_e32 v100, v22, v95
	v_ashrrev_i32_e32 v101, 31, v100
	v_lshl_add_u64 v[100:101], v[100:101], 2, v[20:21]
	global_load_dword v22, v[100:101], off
	s_branch .LBB91_56
.LBB91_54:                              ;   in Loop: Header=BB91_44 Depth=1
	v_mov_b32_e32 v99, 0
	s_andn2_b64 vcc, exec, s[10:11]
	ds_write_b32 v97, v99 offset:328
	s_cbranch_vccz .LBB91_52
	s_branch .LBB91_56
.LBB91_55:                              ;   in Loop: Header=BB91_44 Depth=1
	v_mov_b32_e32 v22, 0
.LBB91_56:                              ;   in Loop: Header=BB91_44 Depth=1
	s_waitcnt vmcnt(0)
	ds_write_b32 v97, v22 offset:592
	s_andn2_b64 vcc, exec, s[12:13]
	v_mov_b32_e32 v22, 0
	v_mov_b32_e32 v99, 0
	s_cbranch_vccnz .LBB91_59
; %bb.57:                               ;   in Loop: Header=BB91_44 Depth=1
	ds_read_b32 v99, v96 offset:12
	s_waitcnt lgkmcnt(0)
	v_cmp_gt_i32_e32 vcc, 0, v99
	s_cbranch_vccnz .LBB91_62
; %bb.58:                               ;   in Loop: Header=BB91_44 Depth=1
	v_mul_lo_u32 v99, v99, s53
	s_mul_i32 vcc_lo, s48, 3
	v_add_u32_e32 v99, vcc_lo, v99
	v_add_u32_e32 v100, v99, v95
	v_ashrrev_i32_e32 v101, 31, v100
	v_lshl_add_u64 v[100:101], v[100:101], 2, v[20:21]
	global_load_dword v99, v[100:101], off
.LBB91_59:                              ;   in Loop: Header=BB91_44 Depth=1
	s_andn2_b64 vcc, exec, s[14:15]
	s_waitcnt vmcnt(0)
	ds_write_b32 v97, v99 offset:856
	s_cbranch_vccnz .LBB91_64
.LBB91_60:                              ;   in Loop: Header=BB91_44 Depth=1
	ds_read_b32 v22, v96 offset:16
	s_waitcnt lgkmcnt(0)
	v_cmp_gt_i32_e32 vcc, 0, v22
	s_cbranch_vccnz .LBB91_63
; %bb.61:                               ;   in Loop: Header=BB91_44 Depth=1
	v_mul_lo_u32 v22, v22, s53
	v_readlane_b32 vcc_lo, v109, 16
	s_nop 1
	v_add_u32_e32 v22, vcc_lo, v22
	v_add_u32_e32 v100, v22, v95
	v_ashrrev_i32_e32 v101, 31, v100
	v_lshl_add_u64 v[100:101], v[100:101], 2, v[20:21]
	global_load_dword v22, v[100:101], off
	s_branch .LBB91_64
.LBB91_62:                              ;   in Loop: Header=BB91_44 Depth=1
	v_mov_b32_e32 v99, 0
	s_andn2_b64 vcc, exec, s[14:15]
	ds_write_b32 v97, v99 offset:856
	s_cbranch_vccz .LBB91_60
	s_branch .LBB91_64
.LBB91_63:                              ;   in Loop: Header=BB91_44 Depth=1
	v_mov_b32_e32 v22, 0
.LBB91_64:                              ;   in Loop: Header=BB91_44 Depth=1
	s_waitcnt vmcnt(0)
	ds_write_b32 v97, v22 offset:1120
	s_andn2_b64 vcc, exec, s[16:17]
	v_mov_b32_e32 v22, 0
	v_mov_b32_e32 v99, 0
	s_cbranch_vccnz .LBB91_67
; %bb.65:                               ;   in Loop: Header=BB91_44 Depth=1
	ds_read_b32 v99, v96 offset:20
	s_waitcnt lgkmcnt(0)
	v_cmp_gt_i32_e32 vcc, 0, v99
	s_cbranch_vccnz .LBB91_70
; %bb.66:                               ;   in Loop: Header=BB91_44 Depth=1
	v_mul_lo_u32 v99, v99, s53
	s_mul_i32 vcc_lo, s48, 5
	v_add_u32_e32 v99, vcc_lo, v99
	v_add_u32_e32 v100, v99, v95
	v_ashrrev_i32_e32 v101, 31, v100
	v_lshl_add_u64 v[100:101], v[100:101], 2, v[20:21]
	global_load_dword v99, v[100:101], off
.LBB91_67:                              ;   in Loop: Header=BB91_44 Depth=1
	s_andn2_b64 vcc, exec, s[18:19]
	s_waitcnt vmcnt(0)
	ds_write_b32 v97, v99 offset:1384
	s_cbranch_vccnz .LBB91_72
.LBB91_68:                              ;   in Loop: Header=BB91_44 Depth=1
	ds_read_b32 v22, v96 offset:24
	s_waitcnt lgkmcnt(0)
	v_cmp_gt_i32_e32 vcc, 0, v22
	s_cbranch_vccnz .LBB91_71
; %bb.69:                               ;   in Loop: Header=BB91_44 Depth=1
	v_mul_lo_u32 v22, v22, s53
	s_mul_i32 vcc_lo, s48, 6
	v_add_u32_e32 v22, vcc_lo, v22
	v_add_u32_e32 v100, v22, v95
	v_ashrrev_i32_e32 v101, 31, v100
	v_lshl_add_u64 v[100:101], v[100:101], 2, v[20:21]
	global_load_dword v22, v[100:101], off
	s_branch .LBB91_72
.LBB91_70:                              ;   in Loop: Header=BB91_44 Depth=1
	v_mov_b32_e32 v99, 0
	s_andn2_b64 vcc, exec, s[18:19]
	ds_write_b32 v97, v99 offset:1384
	s_cbranch_vccz .LBB91_68
	s_branch .LBB91_72
.LBB91_71:                              ;   in Loop: Header=BB91_44 Depth=1
	v_mov_b32_e32 v22, 0
.LBB91_72:                              ;   in Loop: Header=BB91_44 Depth=1
	s_waitcnt vmcnt(0)
	ds_write_b32 v97, v22 offset:1648
	s_andn2_b64 vcc, exec, s[20:21]
	v_mov_b32_e32 v22, 0
	v_mov_b32_e32 v99, 0
	s_cbranch_vccnz .LBB91_75
; %bb.73:                               ;   in Loop: Header=BB91_44 Depth=1
	ds_read_b32 v99, v96 offset:28
	s_waitcnt lgkmcnt(0)
	v_cmp_gt_i32_e32 vcc, 0, v99
	s_cbranch_vccnz .LBB91_78
; %bb.74:                               ;   in Loop: Header=BB91_44 Depth=1
	v_mul_lo_u32 v99, v99, s53
	s_mul_i32 vcc_lo, s48, 7
	v_add_u32_e32 v99, vcc_lo, v99
	v_add_u32_e32 v100, v99, v95
	v_ashrrev_i32_e32 v101, 31, v100
	v_lshl_add_u64 v[100:101], v[100:101], 2, v[20:21]
	global_load_dword v99, v[100:101], off
.LBB91_75:                              ;   in Loop: Header=BB91_44 Depth=1
	s_andn2_b64 vcc, exec, s[22:23]
	s_waitcnt vmcnt(0)
	ds_write_b32 v97, v99 offset:1912
	s_cbranch_vccnz .LBB91_80
.LBB91_76:                              ;   in Loop: Header=BB91_44 Depth=1
	ds_read_b32 v22, v96 offset:32
	s_waitcnt lgkmcnt(0)
	v_cmp_gt_i32_e32 vcc, 0, v22
	s_cbranch_vccnz .LBB91_79
; %bb.77:                               ;   in Loop: Header=BB91_44 Depth=1
	v_mul_lo_u32 v22, v22, s53
	v_readlane_b32 vcc_lo, v109, 17
	s_nop 1
	v_add_u32_e32 v22, vcc_lo, v22
	v_add_u32_e32 v100, v22, v95
	v_ashrrev_i32_e32 v101, 31, v100
	v_lshl_add_u64 v[100:101], v[100:101], 2, v[20:21]
	global_load_dword v22, v[100:101], off
	s_branch .LBB91_80
.LBB91_78:                              ;   in Loop: Header=BB91_44 Depth=1
	v_mov_b32_e32 v99, 0
	s_andn2_b64 vcc, exec, s[22:23]
	ds_write_b32 v97, v99 offset:1912
	s_cbranch_vccz .LBB91_76
	s_branch .LBB91_80
.LBB91_79:                              ;   in Loop: Header=BB91_44 Depth=1
	v_mov_b32_e32 v22, 0
.LBB91_80:                              ;   in Loop: Header=BB91_44 Depth=1
	s_waitcnt vmcnt(0)
	ds_write_b32 v97, v22 offset:2176
	s_andn2_b64 vcc, exec, s[24:25]
	v_mov_b32_e32 v22, 0
	v_mov_b32_e32 v99, 0
	s_cbranch_vccnz .LBB91_83
; %bb.81:                               ;   in Loop: Header=BB91_44 Depth=1
	ds_read_b32 v99, v96 offset:36
	s_waitcnt lgkmcnt(0)
	v_cmp_gt_i32_e32 vcc, 0, v99
	s_cbranch_vccnz .LBB91_86
; %bb.82:                               ;   in Loop: Header=BB91_44 Depth=1
	v_mul_lo_u32 v99, v99, s53
	s_mul_i32 vcc_lo, s48, 9
	v_add_u32_e32 v99, vcc_lo, v99
	v_add_u32_e32 v100, v99, v95
	v_ashrrev_i32_e32 v101, 31, v100
	v_lshl_add_u64 v[100:101], v[100:101], 2, v[20:21]
	global_load_dword v99, v[100:101], off
.LBB91_83:                              ;   in Loop: Header=BB91_44 Depth=1
	s_andn2_b64 vcc, exec, s[26:27]
	s_waitcnt vmcnt(0)
	ds_write_b32 v97, v99 offset:2440
	s_cbranch_vccnz .LBB91_88
.LBB91_84:                              ;   in Loop: Header=BB91_44 Depth=1
	ds_read_b32 v22, v96 offset:40
	s_waitcnt lgkmcnt(0)
	v_cmp_gt_i32_e32 vcc, 0, v22
	s_cbranch_vccnz .LBB91_87
; %bb.85:                               ;   in Loop: Header=BB91_44 Depth=1
	v_mul_lo_u32 v22, v22, s53
	s_mul_i32 vcc_lo, s48, 10
	v_add_u32_e32 v22, vcc_lo, v22
	v_add_u32_e32 v100, v22, v95
	v_ashrrev_i32_e32 v101, 31, v100
	v_lshl_add_u64 v[100:101], v[100:101], 2, v[20:21]
	global_load_dword v22, v[100:101], off
	s_branch .LBB91_88
.LBB91_86:                              ;   in Loop: Header=BB91_44 Depth=1
	v_mov_b32_e32 v99, 0
	s_andn2_b64 vcc, exec, s[26:27]
	ds_write_b32 v97, v99 offset:2440
	s_cbranch_vccz .LBB91_84
	s_branch .LBB91_88
.LBB91_87:                              ;   in Loop: Header=BB91_44 Depth=1
	v_mov_b32_e32 v22, 0
.LBB91_88:                              ;   in Loop: Header=BB91_44 Depth=1
	s_waitcnt vmcnt(0)
	ds_write_b32 v97, v22 offset:2704
	s_andn2_b64 vcc, exec, s[28:29]
	v_mov_b32_e32 v22, 0
	v_mov_b32_e32 v99, 0
	s_cbranch_vccz .LBB91_91
; %bb.89:                               ;   in Loop: Header=BB91_44 Depth=1
	s_andn2_b64 vcc, exec, s[30:31]
	ds_write_b32 v97, v99 offset:2968
	s_cbranch_vccz .LBB91_94
.LBB91_90:                              ;   in Loop: Header=BB91_44 Depth=1
	ds_write_b32 v97, v22 offset:3232
	s_andn2_b64 vcc, exec, s[34:35]
	v_mov_b32_e32 v22, 0
	s_cbranch_vccnz .LBB91_43
	s_branch .LBB91_97
.LBB91_91:                              ;   in Loop: Header=BB91_44 Depth=1
	ds_read_b32 v99, v96 offset:44
	s_waitcnt lgkmcnt(0)
	v_cmp_gt_i32_e32 vcc, 0, v99
	s_cbranch_vccnz .LBB91_93
; %bb.92:                               ;   in Loop: Header=BB91_44 Depth=1
	v_mul_lo_u32 v99, v99, s53
	s_mul_i32 vcc_lo, s48, 11
	v_add_u32_e32 v99, vcc_lo, v99
	v_add_u32_e32 v100, v99, v95
	v_ashrrev_i32_e32 v101, 31, v100
	v_lshl_add_u64 v[100:101], v[100:101], 2, v[20:21]
	global_load_dword v99, v[100:101], off
	s_andn2_b64 vcc, exec, s[30:31]
	s_waitcnt vmcnt(0)
	ds_write_b32 v97, v99 offset:2968
	s_cbranch_vccnz .LBB91_90
	s_branch .LBB91_94
.LBB91_93:                              ;   in Loop: Header=BB91_44 Depth=1
	v_mov_b32_e32 v99, 0
	s_andn2_b64 vcc, exec, s[30:31]
	ds_write_b32 v97, v99 offset:2968
	s_cbranch_vccnz .LBB91_90
.LBB91_94:                              ;   in Loop: Header=BB91_44 Depth=1
	ds_read_b32 v22, v96 offset:48
	s_waitcnt lgkmcnt(0)
	v_cmp_gt_i32_e32 vcc, 0, v22
	s_cbranch_vccnz .LBB91_96
; %bb.95:                               ;   in Loop: Header=BB91_44 Depth=1
	v_mul_lo_u32 v22, v22, s53
	s_mul_i32 vcc_lo, s48, 12
	v_add_u32_e32 v22, vcc_lo, v22
	v_add_u32_e32 v100, v22, v95
	v_ashrrev_i32_e32 v101, 31, v100
	v_lshl_add_u64 v[100:101], v[100:101], 2, v[20:21]
	global_load_dword v22, v[100:101], off
	s_waitcnt vmcnt(0)
	ds_write_b32 v97, v22 offset:3232
	s_andn2_b64 vcc, exec, s[34:35]
	v_mov_b32_e32 v22, 0
	s_cbranch_vccnz .LBB91_43
	s_branch .LBB91_97
.LBB91_96:                              ;   in Loop: Header=BB91_44 Depth=1
	v_mov_b32_e32 v22, 0
	ds_write_b32 v97, v22 offset:3232
	s_andn2_b64 vcc, exec, s[34:35]
	v_mov_b32_e32 v22, 0
	s_cbranch_vccnz .LBB91_43
.LBB91_97:                              ;   in Loop: Header=BB91_44 Depth=1
	ds_read_b32 v22, v96 offset:52
	s_waitcnt lgkmcnt(0)
	v_cmp_gt_i32_e32 vcc, 0, v22
	s_cbranch_vccz .LBB91_42
; %bb.98:                               ;   in Loop: Header=BB91_44 Depth=1
	v_mov_b32_e32 v22, 0
	s_branch .LBB91_43
.LBB91_99:
	s_or_b64 exec, exec, s[46:47]
	v_readlane_b32 s24, v109, 8
	v_readlane_b32 s28, v109, 12
	;; [unrolled: 1-line block ×8, first 2 shown]
.LBB91_100:
	v_readlane_b32 s0, v109, 6
	v_readlane_b32 s1, v109, 7
	s_or_b64 exec, exec, s[0:1]
	v_mul_u32_u24_e32 v18, 0x608, v94
	s_movk_i32 s1, 0x100
	v_lshlrev_b32_e32 v19, 2, v93
	v_add3_u32 v18, s1, v18, v19
	v_and_b32_e32 v20, 0x3f0, v16
	v_add_u32_e32 v21, v18, v20
	s_waitcnt lgkmcnt(0)
	s_barrier
	v_add_u32_e32 v19, 64, v18
	ds_write2_b32 v21, v8, v9 offset0:16 offset1:17
	v_or_b32_e32 v9, 12, v16
	v_add_u32_e32 v8, v19, v20
	v_and_b32_e32 v9, 0x3fc, v9
	ds_write_b32 v8, v10 offset:8
	v_add_u32_e32 v10, v18, v9
	ds_write_b32 v10, v11 offset:64
	ds_write2_b32 v8, v4, v5 offset0:16 offset1:17
	ds_write_b32 v8, v6 offset:72
	v_add_u32_e32 v4, v19, v9
	ds_write_b32 v4, v7 offset:64
	ds_write2_b32 v8, v0, v1 offset0:32 offset1:33
	ds_write_b32 v8, v2 offset:136
	ds_write_b32 v4, v3 offset:128
	ds_write2_b32 v8, v12, v13 offset0:48 offset1:49
	ds_write_b32 v8, v14 offset:200
	ds_write_b32 v4, v15 offset:192
	v_mov_b32_e32 v0, 0x100
	s_movk_i32 s0, 0x608
	v_lshl_add_u32 v9, v16, 2, v0
	v_mad_u32_u24 v1, v17, s0, v9
	s_waitcnt lgkmcnt(0)
	s_barrier
	ds_read2_b32 v[6:7], v1 offset0:16 offset1:80
	ds_read2_b32 v[2:3], v1 offset0:144 offset1:208
	v_add_u32_e32 v1, 64, v1
	ds_read2st64_b32 v[4:5], v1 offset0:4 offset1:5
	v_cmp_gt_u32_e32 vcc, 14, v17
	v_mov_b32_e32 v10, -1
	s_and_saveexec_b64 s[0:1], vcc
	s_cbranch_execz .LBB91_102
; %bb.101:
	v_lshl_add_u32 v0, v17, 2, v0
	ds_read_b32 v10, v0
.LBB91_102:
	s_or_b64 exec, exec, s[0:1]
	s_mul_hi_i32 s1, s30, s4
	s_mul_i32 s0, s30, s4
	s_lshl_b64 s[0:1], s[0:1], 2
	v_readlane_b32 s2, v109, 4
	v_mul_hi_i32 v1, v90, s49
	v_mul_lo_u32 v0, v90, s49
	v_readlane_b32 s3, v109, 5
	s_add_u32 s0, s2, s0
	s_addc_u32 s1, s3, s1
	v_lshlrev_b64 v[0:1], 2, v[0:1]
	s_waitcnt lgkmcnt(0)
	v_cmp_lt_i32_e32 vcc, -1, v10
	v_mul_u32_u24_e32 v11, 0x608, v17
	v_add_u32_e32 v8, s12, v16
	v_lshl_add_u64 v[0:1], s[0:1], 0, v[0:1]
	s_and_b64 s[2:3], vcc, s[24:25]
	s_and_saveexec_b64 s[0:1], s[2:3]
	s_cbranch_execz .LBB91_104
; %bb.103:
	v_add_f32_e32 v6, 0, v6
	v_add_f32_e32 v6, v6, v7
	;; [unrolled: 1-line block ×6, first 2 shown]
	v_mul_lo_u32 v2, v10, s54
	v_mul_lo_u32 v3, v17, s49
	v_add3_u32 v2, v8, v3, v2
	v_mov_b32_e32 v3, 0
	v_lshl_add_u64 v[2:3], v[2:3], 2, v[0:1]
	global_store_dword v[2:3], v4, off
.LBB91_104:
	s_or_b64 exec, exec, s[0:1]
	v_add_u32_e32 v9, v11, v9
	v_add_u32_e32 v2, 0x70, v9
	ds_read2st64_b32 v[6:7], v2 offset0:36 offset1:37
	ds_read2st64_b32 v[4:5], v2 offset0:38 offset1:39
	;; [unrolled: 1-line block ×3, first 2 shown]
	v_cmp_gt_u32_e32 vcc, 8, v17
	v_mov_b32_e32 v10, -1
	s_and_saveexec_b64 s[0:1], vcc
	s_cbranch_execz .LBB91_106
; %bb.105:
	v_mov_b32_e32 v10, 0x100
	v_lshl_add_u32 v10, v17, 2, v10
	ds_read_b32 v10, v10 offset:24
.LBB91_106:
	s_or_b64 exec, exec, s[0:1]
	v_readlane_b32 s0, v109, 0
	s_waitcnt lgkmcnt(0)
	v_cmp_lt_i32_e32 vcc, -1, v10
	v_readlane_b32 s1, v109, 1
	s_and_b64 s[2:3], vcc, s[0:1]
	s_and_saveexec_b64 s[0:1], s[2:3]
	s_cbranch_execz .LBB91_108
; %bb.107:
	v_add_f32_e32 v6, 0, v6
	v_add_f32_e32 v6, v6, v7
	;; [unrolled: 1-line block ×6, first 2 shown]
	v_mul_lo_u32 v2, v10, s54
	v_mul_lo_u32 v3, v91, s49
	v_add3_u32 v2, v8, v3, v2
	v_mov_b32_e32 v3, 0
	v_lshl_add_u64 v[2:3], v[2:3], 2, v[0:1]
	global_store_dword v[2:3], v4, off
.LBB91_108:
	s_or_b64 exec, exec, s[0:1]
	v_cmp_gt_u32_e32 vcc, 2, v17
	s_and_saveexec_b64 s[0:1], vcc
	s_cbranch_execz .LBB91_111
; %bb.109:
	v_mov_b32_e32 v2, 0x100
	v_lshl_add_u32 v2, v17, 2, v2
	ds_read_b32 v2, v2 offset:48
	v_readlane_b32 s0, v109, 2
	v_readlane_b32 s1, v109, 3
	s_waitcnt lgkmcnt(0)
	v_cmp_lt_i32_e32 vcc, -1, v2
	s_and_b64 s[0:1], vcc, s[0:1]
	s_and_b64 exec, exec, s[0:1]
	s_cbranch_execz .LBB91_111
; %bb.110:
	v_add_u32_e32 v6, 0xa0, v9
	ds_read2st64_b32 v[4:5], v6 offset0:72 offset1:73
	v_mul_lo_u32 v9, v2, s54
	ds_read2st64_b32 v[2:3], v6 offset0:74 offset1:75
	ds_read2st64_b32 v[6:7], v6 offset0:76 offset1:77
	v_mul_lo_u32 v10, v92, s49
	s_waitcnt lgkmcnt(2)
	v_add_f32_e32 v4, 0, v4
	v_add_f32_e32 v4, v4, v5
	s_waitcnt lgkmcnt(1)
	v_add_f32_e32 v2, v4, v2
	v_add_f32_e32 v2, v2, v3
	;; [unrolled: 3-line block ×3, first 2 shown]
	v_add3_u32 v2, v8, v10, v9
	v_mov_b32_e32 v3, 0
	v_lshl_add_u64 v[0:1], v[2:3], 2, v[0:1]
	global_store_dword v[0:1], v4, off
.LBB91_111:
	s_endpgm
	.section	.rodata,"a",@progbits
	.p2align	6, 0x0
	.amdhsa_kernel _ZL9mul_mat_fIfLi64ELi14ELi6ELb1EEvPKT_PKfPKiPfiiiiiiiiiiiiiiii
		.amdhsa_group_segment_fixed_size 256
		.amdhsa_private_segment_fixed_size 0
		.amdhsa_kernarg_size 352
		.amdhsa_user_sgpr_count 2
		.amdhsa_user_sgpr_dispatch_ptr 0
		.amdhsa_user_sgpr_queue_ptr 0
		.amdhsa_user_sgpr_kernarg_segment_ptr 1
		.amdhsa_user_sgpr_dispatch_id 0
		.amdhsa_user_sgpr_kernarg_preload_length 0
		.amdhsa_user_sgpr_kernarg_preload_offset 0
		.amdhsa_user_sgpr_private_segment_size 0
		.amdhsa_uses_dynamic_stack 0
		.amdhsa_enable_private_segment 0
		.amdhsa_system_sgpr_workgroup_id_x 1
		.amdhsa_system_sgpr_workgroup_id_y 1
		.amdhsa_system_sgpr_workgroup_id_z 1
		.amdhsa_system_sgpr_workgroup_info 0
		.amdhsa_system_vgpr_workitem_id 2
		.amdhsa_next_free_vgpr 110
		.amdhsa_next_free_sgpr 100
		.amdhsa_accum_offset 112
		.amdhsa_reserve_vcc 1
		.amdhsa_float_round_mode_32 0
		.amdhsa_float_round_mode_16_64 0
		.amdhsa_float_denorm_mode_32 3
		.amdhsa_float_denorm_mode_16_64 3
		.amdhsa_dx10_clamp 1
		.amdhsa_ieee_mode 1
		.amdhsa_fp16_overflow 0
		.amdhsa_tg_split 0
		.amdhsa_exception_fp_ieee_invalid_op 0
		.amdhsa_exception_fp_denorm_src 0
		.amdhsa_exception_fp_ieee_div_zero 0
		.amdhsa_exception_fp_ieee_overflow 0
		.amdhsa_exception_fp_ieee_underflow 0
		.amdhsa_exception_fp_ieee_inexact 0
		.amdhsa_exception_int_div_zero 0
	.end_amdhsa_kernel
	.section	.text._ZL9mul_mat_fIfLi64ELi14ELi6ELb1EEvPKT_PKfPKiPfiiiiiiiiiiiiiiii,"axG",@progbits,_ZL9mul_mat_fIfLi64ELi14ELi6ELb1EEvPKT_PKfPKiPfiiiiiiiiiiiiiiii,comdat
.Lfunc_end91:
	.size	_ZL9mul_mat_fIfLi64ELi14ELi6ELb1EEvPKT_PKfPKiPfiiiiiiiiiiiiiiii, .Lfunc_end91-_ZL9mul_mat_fIfLi64ELi14ELi6ELb1EEvPKT_PKfPKiPfiiiiiiiiiiiiiiii
                                        ; -- End function
	.section	.AMDGPU.csdata,"",@progbits
; Kernel info:
; codeLenInByte = 8004
; NumSgprs: 106
; NumVgprs: 110
; NumAgprs: 0
; TotalNumVgprs: 110
; ScratchSize: 0
; MemoryBound: 0
; FloatMode: 240
; IeeeMode: 1
; LDSByteSize: 256 bytes/workgroup (compile time only)
; SGPRBlocks: 13
; VGPRBlocks: 13
; NumSGPRsForWavesPerEU: 106
; NumVGPRsForWavesPerEU: 110
; AccumOffset: 112
; Occupancy: 4
; WaveLimiterHint : 0
; COMPUTE_PGM_RSRC2:SCRATCH_EN: 0
; COMPUTE_PGM_RSRC2:USER_SGPR: 2
; COMPUTE_PGM_RSRC2:TRAP_HANDLER: 0
; COMPUTE_PGM_RSRC2:TGID_X_EN: 1
; COMPUTE_PGM_RSRC2:TGID_Y_EN: 1
; COMPUTE_PGM_RSRC2:TGID_Z_EN: 1
; COMPUTE_PGM_RSRC2:TIDIG_COMP_CNT: 2
; COMPUTE_PGM_RSRC3_GFX90A:ACCUM_OFFSET: 27
; COMPUTE_PGM_RSRC3_GFX90A:TG_SPLIT: 0
	.section	.text._ZL9mul_mat_fIfLi64ELi14ELi6ELb0EEvPKT_PKfPKiPfiiiiiiiiiiiiiiii,"axG",@progbits,_ZL9mul_mat_fIfLi64ELi14ELi6ELb0EEvPKT_PKfPKiPfiiiiiiiiiiiiiiii,comdat
	.globl	_ZL9mul_mat_fIfLi64ELi14ELi6ELb0EEvPKT_PKfPKiPfiiiiiiiiiiiiiiii ; -- Begin function _ZL9mul_mat_fIfLi64ELi14ELi6ELb0EEvPKT_PKfPKiPfiiiiiiiiiiiiiiii
	.p2align	8
	.type	_ZL9mul_mat_fIfLi64ELi14ELi6ELb0EEvPKT_PKfPKiPfiiiiiiiiiiiiiiii,@function
_ZL9mul_mat_fIfLi64ELi14ELi6ELb0EEvPKT_PKfPKiPfiiiiiiiiiiiiiiii: ; @_ZL9mul_mat_fIfLi64ELi14ELi6ELb0EEvPKT_PKfPKiPfiiiiiiiiiiiiiiii
; %bb.0:
	s_load_dword s5, s[0:1], 0x20
	s_load_dwordx4 s[16:19], s[0:1], 0x2c
	v_bfe_u32 v62, v0, 10, 10
	v_lshlrev_b32_e32 v64, 6, v62
	v_and_b32_e32 v63, 0x3ff, v0
	v_add_u32_e32 v66, v64, v63
	s_mov_b32 s20, 0
	s_waitcnt lgkmcnt(0)
	s_ashr_i32 s19, s4, 31
	v_cmp_le_i32_e32 vcc, s5, v66
	v_and_b32_e32 v65, 15, v63
	s_and_saveexec_b64 s[6:7], vcc
	s_xor_b64 s[6:7], exec, s[6:7]
; %bb.1:
	v_and_b32_e32 v65, 15, v63
                                        ; implicit-def: $vgpr66
; %bb.2:
	s_or_saveexec_b64 s[24:25], s[6:7]
	s_load_dwordx8 s[8:15], s[0:1], 0x40
	s_load_dwordx2 s[6:7], s[0:1], 0x18
	s_lshl_b32 s2, s2, 6
	v_mov_b32_e32 v11, s20
	v_mov_b32_e32 v10, s20
	;; [unrolled: 1-line block ×16, first 2 shown]
	s_xor_b64 exec, exec, s[24:25]
	s_cbranch_execz .LBB92_6
; %bb.3:
	s_waitcnt lgkmcnt(0)
	s_abs_i32 s26, s8
	v_cvt_f32_u32_e32 v0, s26
	s_abs_i32 s27, s12
	v_cvt_f32_u32_e32 v1, s27
	s_sub_i32 s20, 0, s26
	v_rcp_iflag_f32_e32 v0, v0
	s_abs_i32 s28, s3
	v_rcp_iflag_f32_e32 v1, v1
	s_sub_i32 s21, 0, s27
	v_mul_f32_e32 v0, 0x4f7ffffe, v0
	v_cvt_u32_f32_e32 v0, v0
	v_mul_f32_e32 v1, 0x4f7ffffe, v1
	v_cvt_u32_f32_e32 v1, v1
	s_abs_i32 s29, s4
	v_mul_lo_u32 v2, s20, v0
	v_mul_hi_u32 v2, v0, v2
	v_add_u32_e32 v0, v0, v2
	v_mul_hi_u32 v0, s28, v0
	v_mul_lo_u32 v3, s21, v1
	v_mul_lo_u32 v2, v0, s26
	v_mul_hi_u32 v3, v1, v3
	v_sub_u32_e32 v2, s28, v2
	v_add_u32_e32 v1, v1, v3
	v_add_u32_e32 v3, 1, v0
	v_subrev_u32_e32 v4, s26, v2
	v_cmp_le_u32_e32 vcc, s26, v2
	s_load_dwordx4 s[20:23], s[0:1], 0x0
	s_ashr_i32 s0, s3, 31
	v_cndmask_b32_e32 v0, v0, v3, vcc
	v_cndmask_b32_e32 v2, v2, v4, vcc
	s_ashr_i32 s1, s8, 31
	v_add_u32_e32 v3, 1, v0
	v_cmp_le_u32_e32 vcc, s26, v2
	s_xor_b32 s0, s0, s1
	v_mul_hi_u32 v1, s29, v1
	v_cndmask_b32_e32 v0, v0, v3, vcc
	v_xor_b32_e32 v0, s0, v0
	v_subrev_u32_e32 v2, s0, v0
	v_mul_lo_u32 v0, v1, s27
	v_sub_u32_e32 v0, s29, v0
	v_add_u32_e32 v3, 1, v1
	v_subrev_u32_e32 v4, s27, v0
	v_cmp_le_u32_e32 vcc, s27, v0
	s_ashr_i32 s8, s12, 31
	s_xor_b32 s0, s19, s8
	v_cndmask_b32_e32 v1, v1, v3, vcc
	v_cndmask_b32_e32 v0, v0, v4, vcc
	v_add_u32_e32 v3, 1, v1
	v_cmp_le_u32_e32 vcc, s27, v0
	v_mul_lo_u32 v2, v2, s9
	s_mul_i32 s12, s3, s10
	v_cndmask_b32_e32 v0, v1, v3, vcc
	v_xor_b32_e32 v0, s0, v0
	v_subrev_u32_e32 v0, s0, v0
	v_ashrrev_i32_e32 v3, 31, v2
	s_mul_i32 s0, s2, s16
	s_ashr_i32 s1, s0, 31
	v_lshlrev_b64 v[2:3], 2, v[2:3]
	v_mul_hi_i32 v1, v0, s13
	v_mul_lo_u32 v0, v0, s13
	s_mul_hi_i32 s9, s14, s4
	s_mul_i32 s8, s14, s4
	s_lshl_b64 s[0:1], s[0:1], 2
	s_waitcnt lgkmcnt(0)
	v_lshl_add_u64 v[2:3], s[20:21], 0, v[2:3]
	s_ashr_i32 s13, s12, 31
	v_lshl_add_u64 v[2:3], v[2:3], 0, s[0:1]
	s_lshl_b64 s[8:9], s[8:9], 2
	s_lshl_b64 s[0:1], s[12:13], 2
	s_add_u32 s12, s22, s0
	s_addc_u32 s13, s23, s1
	s_add_u32 s0, s12, s8
	s_movk_i32 s10, 0x1080
	v_lshrrev_b32_e32 v6, 1, v63
	s_addc_u32 s1, s13, s9
	v_mad_u32_u24 v4, v62, s10, 0
	v_lshlrev_b32_e32 v18, 2, v63
	v_mul_u32_u24_e32 v5, 0x108, v65
	v_and_b32_e32 v6, 0x1f8, v6
	s_ashr_i32 s21, s16, 31
	s_mov_b32 s20, s16
	v_mov_b32_e32 v19, 0
	v_lshlrev_b64 v[0:1], 2, v[0:1]
	v_add_u32_e32 v67, v4, v18
	v_add3_u32 v68, v4, v5, v6
	v_lshlrev_b32_e32 v4, 8, v62
	v_mov_b32_e32 v5, v19
	s_lshl_b64 s[20:21], s[20:21], 2
	v_lshl_add_u64 v[16:17], v[2:3], 0, v[0:1]
	s_ashr_i32 s23, s17, 31
	s_mov_b32 s22, s17
	v_lshl_add_u64 v[0:1], v[0:1], 0, v[4:5]
	v_lshl_add_u64 v[6:7], v[2:3], 0, s[20:21]
	;; [unrolled: 1-line block ×5, first 2 shown]
	s_lshl_b64 s[8:9], s[22:23], 2
	s_add_u32 s8, s12, s8
	s_addc_u32 s9, s13, s9
	v_lshl_add_u64 v[24:25], s[8:9], 0, v[0:1]
	v_lshl_add_u64 v[26:27], s[12:13], 0, v[0:1]
	s_lshl_b32 s10, s17, 1
	s_mul_i32 s14, s17, 3
	s_lshl_b32 s19, s17, 2
	s_mul_i32 s20, s17, 5
	s_mul_i32 s21, s17, 6
	s_mul_i32 s22, s17, 7
	s_lshl_b32 s23, s17, 3
	s_mul_i32 s26, s17, 9
	s_mul_i32 s27, s17, 10
	s_mul_i32 s28, s17, 11
	s_mul_i32 s29, s17, 12
	s_mul_i32 s17, s17, 13
	s_lshl_b32 s30, s16, 1
	s_mul_i32 s31, s16, 3
	s_lshl_b32 s33, s16, 2
	s_mul_i32 s34, s16, 5
	s_mul_i32 s35, s16, 6
	;; [unrolled: 1-line block ×3, first 2 shown]
	s_lshl_b32 s37, s16, 3
	s_mul_i32 s38, s16, 9
	s_mul_i32 s39, s16, 10
	;; [unrolled: 1-line block ×7, first 2 shown]
	s_lshl_b32 s45, s16, 4
	s_mul_i32 s46, s16, 17
	s_mul_i32 s47, s16, 18
	;; [unrolled: 1-line block ×15, first 2 shown]
	s_lshl_b32 s61, s16, 5
	s_mul_i32 s62, s16, 33
	s_mul_i32 s63, s16, 34
	;; [unrolled: 1-line block ×16, first 2 shown]
	v_mov_b32_e32 v12, v19
	v_mov_b32_e32 v13, v19
	;; [unrolled: 1-line block ×15, first 2 shown]
	s_mul_i32 s78, s16, 49
	s_mul_i32 s79, s16, 50
	;; [unrolled: 1-line block ×15, first 2 shown]
	s_mov_b64 s[8:9], 0
	s_mov_b64 s[12:13], 0x600
.LBB92_4:                               ; =>This Inner Loop Header: Depth=1
	v_add_u32_e32 v52, s30, v66
	v_add_u32_e32 v48, s33, v66
	;; [unrolled: 1-line block ×16, first 2 shown]
	v_ashrrev_i32_e32 v53, 31, v52
	v_ashrrev_i32_e32 v49, 31, v48
	;; [unrolled: 1-line block ×8, first 2 shown]
	v_lshl_add_u64 v[58:59], v[22:23], 0, v[18:19]
	v_lshl_add_u64 v[60:61], v[20:21], 0, v[18:19]
	;; [unrolled: 1-line block ×3, first 2 shown]
	v_add_u32_e32 v76, s47, v66
	v_add_u32_e32 v78, s48, v66
	v_ashrrev_i32_e32 v57, 31, v56
	v_lshl_add_u64 v[52:53], v[52:53], 2, v[16:17]
	v_ashrrev_i32_e32 v55, 31, v54
	v_lshl_add_u64 v[48:49], v[48:49], 2, v[16:17]
	;; [unrolled: 2-line block ×6, first 2 shown]
	v_lshl_add_u64 v[28:29], v[28:29], 2, v[16:17]
	v_lshl_add_u64 v[32:33], v[32:33], 2, v[16:17]
	v_ashrrev_i32_e32 v35, 31, v34
	v_ashrrev_i32_e32 v75, 31, v74
	v_lshl_add_u64 v[72:73], v[24:25], 0, v[18:19]
	v_add_u32_e32 v80, s49, v66
	v_add_u32_e32 v82, s50, v66
	global_load_dword v69, v[58:59], off
	s_nop 0
	global_load_dword v60, v[60:61], off
	s_nop 0
	global_load_dword v58, v[70:71], off
	global_load_dword v59, v[72:73], off
	v_lshl_add_u64 v[56:57], v[56:57], 2, v[16:17]
	global_load_dword v52, v[52:53], off
	s_nop 0
	global_load_dword v53, v[56:57], off
	v_lshl_add_u64 v[54:55], v[54:55], 2, v[16:17]
	global_load_dword v48, v[48:49], off
	s_nop 0
	;; [unrolled: 4-line block ×6, first 2 shown]
	global_load_dword v31, v[38:39], off
	s_nop 0
	global_load_dword v28, v[28:29], off
	s_nop 0
	global_load_dword v29, v[32:33], off
	v_lshl_add_u64 v[32:33], v[34:35], 2, v[16:17]
	v_lshl_add_u64 v[34:35], v[74:75], 2, v[16:17]
	v_ashrrev_i32_e32 v77, 31, v76
	v_ashrrev_i32_e32 v79, 31, v78
	v_add_u32_e32 v84, s51, v66
	v_add_u32_e32 v86, s52, v66
	global_load_dword v32, v[32:33], off
	s_nop 0
	global_load_dword v33, v[34:35], off
	v_lshl_add_u64 v[34:35], v[76:77], 2, v[16:17]
	v_lshl_add_u64 v[38:39], v[78:79], 2, v[16:17]
	v_ashrrev_i32_e32 v81, 31, v80
	v_ashrrev_i32_e32 v83, 31, v82
	v_add_u32_e32 v88, s53, v66
	v_add_u32_e32 v90, s54, v66
	global_load_dword v34, v[34:35], off
	s_nop 0
	global_load_dword v35, v[38:39], off
	v_lshl_add_u64 v[38:39], v[80:81], 2, v[16:17]
	v_lshl_add_u64 v[42:43], v[82:83], 2, v[16:17]
	v_ashrrev_i32_e32 v85, 31, v84
	v_ashrrev_i32_e32 v87, 31, v86
	v_add_u32_e32 v70, s55, v66
	v_add_u32_e32 v56, s56, v66
	global_load_dword v38, v[38:39], off
	s_nop 0
	global_load_dword v39, v[42:43], off
	v_lshl_add_u64 v[42:43], v[84:85], 2, v[16:17]
	v_lshl_add_u64 v[46:47], v[86:87], 2, v[16:17]
	v_ashrrev_i32_e32 v89, 31, v88
	v_ashrrev_i32_e32 v91, 31, v90
	v_add_u32_e32 v54, s57, v66
	v_add_u32_e32 v72, s58, v66
	global_load_dword v42, v[42:43], off
	s_nop 0
	global_load_dword v43, v[46:47], off
	v_lshl_add_u64 v[46:47], v[88:89], 2, v[16:17]
	v_lshl_add_u64 v[50:51], v[90:91], 2, v[16:17]
	v_ashrrev_i32_e32 v71, 31, v70
	v_ashrrev_i32_e32 v57, 31, v56
	v_add_u32_e32 v92, s59, v66
	v_add_u32_e32 v94, s60, v66
	global_load_dword v46, v[46:47], off
	s_nop 0
	global_load_dword v47, v[50:51], off
	v_lshl_add_u64 v[50:51], v[70:71], 2, v[16:17]
	v_lshl_add_u64 v[56:57], v[56:57], 2, v[16:17]
	v_ashrrev_i32_e32 v55, 31, v54
	v_ashrrev_i32_e32 v73, 31, v72
	v_add_u32_e32 v96, s61, v66
	v_add_u32_e32 v98, s62, v66
	global_load_dword v50, v[50:51], off
	s_nop 0
	global_load_dword v51, v[56:57], off
	v_lshl_add_u64 v[54:55], v[54:55], 2, v[16:17]
	v_lshl_add_u64 v[56:57], v[72:73], 2, v[16:17]
	v_ashrrev_i32_e32 v93, 31, v92
	v_ashrrev_i32_e32 v95, 31, v94
	v_add_u32_e32 v74, s63, v66
	v_add_u32_e32 v76, s64, v66
	global_load_dword v54, v[54:55], off
	s_nop 0
	global_load_dword v55, v[56:57], off
	v_lshl_add_u64 v[56:57], v[92:93], 2, v[16:17]
	v_lshl_add_u64 v[70:71], v[94:95], 2, v[16:17]
	v_ashrrev_i32_e32 v97, 31, v96
	v_ashrrev_i32_e32 v99, 31, v98
	v_add_u32_e32 v78, s65, v66
	v_add_u32_e32 v80, s66, v66
	global_load_dword v56, v[56:57], off
	s_nop 0
	global_load_dword v57, v[70:71], off
	v_lshl_add_u64 v[70:71], v[96:97], 2, v[16:17]
	v_lshl_add_u64 v[72:73], v[98:99], 2, v[16:17]
	v_ashrrev_i32_e32 v75, 31, v74
	v_ashrrev_i32_e32 v77, 31, v76
	v_add_u32_e32 v82, s67, v66
	v_add_u32_e32 v84, s68, v66
	global_load_dword v61, v[70:71], off
	s_nop 0
	global_load_dword v70, v[72:73], off
	v_lshl_add_u64 v[72:73], v[74:75], 2, v[16:17]
	v_lshl_add_u64 v[74:75], v[76:77], 2, v[16:17]
	v_ashrrev_i32_e32 v79, 31, v78
	v_ashrrev_i32_e32 v81, 31, v80
	v_add_u32_e32 v86, s69, v66
	v_add_u32_e32 v88, s70, v66
	global_load_dword v71, v[72:73], off
	s_nop 0
	global_load_dword v72, v[74:75], off
	v_lshl_add_u64 v[74:75], v[78:79], 2, v[16:17]
	v_lshl_add_u64 v[76:77], v[80:81], 2, v[16:17]
	v_ashrrev_i32_e32 v83, 31, v82
	v_ashrrev_i32_e32 v85, 31, v84
	v_add_u32_e32 v90, s71, v66
	v_add_u32_e32 v92, s72, v66
	global_load_dword v73, v[74:75], off
	s_nop 0
	global_load_dword v74, v[76:77], off
	v_lshl_add_u64 v[76:77], v[82:83], 2, v[16:17]
	v_lshl_add_u64 v[78:79], v[84:85], 2, v[16:17]
	v_ashrrev_i32_e32 v87, 31, v86
	v_ashrrev_i32_e32 v89, 31, v88
	global_load_dword v75, v[76:77], off
	s_nop 0
	global_load_dword v76, v[78:79], off
	v_lshl_add_u64 v[78:79], v[86:87], 2, v[16:17]
	v_lshl_add_u64 v[80:81], v[88:89], 2, v[16:17]
	v_ashrrev_i32_e32 v91, 31, v90
	v_ashrrev_i32_e32 v93, 31, v92
	v_add_u32_e32 v94, s73, v66
	v_add_u32_e32 v82, s74, v66
	global_load_dword v77, v[78:79], off
	s_nop 0
	global_load_dword v78, v[80:81], off
	v_add_u32_e32 v84, s75, v66
	v_lshl_add_u64 v[80:81], v[90:91], 2, v[16:17]
	v_lshl_add_u64 v[86:87], v[92:93], 2, v[16:17]
	global_load_dword v79, v[80:81], off
	s_nop 0
	global_load_dword v80, v[86:87], off
	v_add_u32_e32 v86, s76, v66
	v_ashrrev_i32_e32 v95, 31, v94
	v_ashrrev_i32_e32 v83, 31, v82
	;; [unrolled: 1-line block ×3, first 2 shown]
	v_lshl_add_u64 v[88:89], v[94:95], 2, v[16:17]
	v_lshl_add_u64 v[82:83], v[82:83], 2, v[16:17]
	v_ashrrev_i32_e32 v87, 31, v86
	v_lshl_add_u64 v[84:85], v[84:85], 2, v[16:17]
	global_load_dword v81, v[88:89], off
	s_nop 0
	global_load_dword v82, v[82:83], off
	v_add_u32_e32 v88, s77, v66
	v_lshl_add_u64 v[86:87], v[86:87], 2, v[16:17]
	global_load_dword v83, v[84:85], off
	global_load_dword v90, v[86:87], off
	v_add_u32_e32 v84, s78, v66
	v_ashrrev_i32_e32 v89, 31, v88
	v_ashrrev_i32_e32 v85, 31, v84
	v_lshl_add_u64 v[86:87], v[88:89], 2, v[16:17]
	v_lshl_add_u64 v[84:85], v[84:85], 2, v[16:17]
	global_load_dword v86, v[86:87], off
	s_nop 0
	global_load_dword v87, v[84:85], off
	v_add_u32_e32 v84, s79, v66
	v_ashrrev_i32_e32 v85, 31, v84
	v_lshl_add_u64 v[84:85], v[84:85], 2, v[16:17]
	global_load_dword v88, v[84:85], off
	v_add_u32_e32 v84, s80, v66
	v_ashrrev_i32_e32 v85, 31, v84
	v_lshl_add_u64 v[84:85], v[84:85], 2, v[16:17]
	;; [unrolled: 4-line block ×26, first 2 shown]
	global_load_dword v114, v[84:85], off
	s_waitcnt vmcnt(62)
	ds_write_b32 v67, v69
	ds_write_b32 v67, v60 offset:264
	ds_write_b32 v67, v52 offset:528
	;; [unrolled: 1-line block ×13, first 2 shown]
	s_waitcnt vmcnt(61)
	ds_write_b32 v67, v28 offset:3696
	s_waitcnt vmcnt(60)
	ds_write_b32 v67, v29 offset:3960
	ds_read_b64 v[28:29], v68
	ds_read_b64 v[30:31], v68 offset:32
	ds_read_b64 v[36:37], v68 offset:64
	ds_read_b64 v[40:41], v68 offset:96
	ds_read_b64 v[44:45], v68 offset:128
	ds_read_b64 v[48:49], v68 offset:160
	ds_read_b64 v[52:53], v68 offset:192
	ds_read_b64 v[84:85], v68 offset:224
	s_waitcnt vmcnt(59)
	ds_write_b32 v67, v32
	s_waitcnt vmcnt(58)
	ds_write_b32 v67, v33 offset:264
	s_waitcnt vmcnt(57)
	ds_write_b32 v67, v34 offset:528
	s_waitcnt vmcnt(56)
	ds_write_b32 v67, v35 offset:792
	s_waitcnt vmcnt(55)
	ds_write_b32 v67, v38 offset:1056
	s_waitcnt vmcnt(54)
	ds_write_b32 v67, v39 offset:1320
	s_waitcnt vmcnt(53)
	ds_write_b32 v67, v42 offset:1584
	s_waitcnt vmcnt(52)
	ds_write_b32 v67, v43 offset:1848
	s_waitcnt vmcnt(51)
	ds_write_b32 v67, v46 offset:2112
	s_waitcnt vmcnt(50)
	ds_write_b32 v67, v47 offset:2376
	s_waitcnt vmcnt(49)
	ds_write_b32 v67, v50 offset:2640
	s_waitcnt vmcnt(48)
	ds_write_b32 v67, v51 offset:2904
	s_waitcnt vmcnt(47)
	ds_write_b32 v67, v54 offset:3168
	s_waitcnt vmcnt(46)
	ds_write_b32 v67, v55 offset:3432
	s_waitcnt vmcnt(45)
	ds_write_b32 v67, v56 offset:3696
	s_waitcnt vmcnt(44)
	ds_write_b32 v67, v57 offset:3960
	ds_read_b64 v[32:33], v68
	ds_read_b64 v[34:35], v68 offset:32
	ds_read_b64 v[38:39], v68 offset:64
	ds_read_b64 v[42:43], v68 offset:96
	ds_read_b64 v[46:47], v68 offset:128
	ds_read_b64 v[50:51], v68 offset:160
	ds_read_b64 v[54:55], v68 offset:192
	ds_read_b64 v[56:57], v68 offset:224
	s_waitcnt vmcnt(43)
	ds_write_b32 v67, v61
	s_waitcnt vmcnt(42)
	ds_write_b32 v67, v70 offset:264
	s_waitcnt vmcnt(41)
	ds_write_b32 v67, v71 offset:528
	s_waitcnt vmcnt(40)
	ds_write_b32 v67, v72 offset:792
	s_waitcnt vmcnt(39)
	ds_write_b32 v67, v73 offset:1056
	s_waitcnt vmcnt(38)
	ds_write_b32 v67, v74 offset:1320
	s_waitcnt vmcnt(37)
	ds_write_b32 v67, v75 offset:1584
	s_waitcnt vmcnt(36)
	ds_write_b32 v67, v76 offset:1848
	s_waitcnt vmcnt(35)
	ds_write_b32 v67, v77 offset:2112
	s_waitcnt vmcnt(34)
	ds_write_b32 v67, v78 offset:2376
	s_waitcnt vmcnt(33)
	ds_write_b32 v67, v79 offset:2640
	s_waitcnt vmcnt(32)
	ds_write_b32 v67, v80 offset:2904
	s_waitcnt vmcnt(31)
	ds_write_b32 v67, v81 offset:3168
	s_waitcnt vmcnt(30)
	ds_write_b32 v67, v82 offset:3432
	s_waitcnt vmcnt(29)
	ds_write_b32 v67, v83 offset:3696
	s_waitcnt vmcnt(28)
	ds_write_b32 v67, v90 offset:3960
	ds_read_b64 v[60:61], v68
	ds_read_b64 v[70:71], v68 offset:32
	ds_read_b64 v[72:73], v68 offset:64
	ds_read_b64 v[74:75], v68 offset:96
	ds_read_b64 v[76:77], v68 offset:128
	ds_read_b64 v[78:79], v68 offset:160
	ds_read_b64 v[80:81], v68 offset:192
	ds_read_b64 v[82:83], v68 offset:224
	s_waitcnt vmcnt(27)
	ds_write_b32 v67, v86
	s_waitcnt vmcnt(26)
	ds_write_b32 v67, v87 offset:264
	s_waitcnt vmcnt(25)
	ds_write_b32 v67, v88 offset:528
	s_waitcnt vmcnt(24)
	ds_write_b32 v67, v89 offset:792
	s_waitcnt vmcnt(23)
	ds_write_b32 v67, v91 offset:1056
	s_waitcnt vmcnt(22)
	ds_write_b32 v67, v92 offset:1320
	s_waitcnt vmcnt(21)
	ds_write_b32 v67, v93 offset:1584
	s_waitcnt vmcnt(20)
	ds_write_b32 v67, v94 offset:1848
	s_waitcnt vmcnt(19)
	ds_write_b32 v67, v95 offset:2112
	s_waitcnt vmcnt(18)
	ds_write_b32 v67, v96 offset:2376
	s_waitcnt vmcnt(17)
	ds_write_b32 v67, v97 offset:2640
	s_waitcnt vmcnt(16)
	ds_write_b32 v67, v98 offset:2904
	s_waitcnt vmcnt(15)
	ds_write_b32 v67, v99 offset:3168
	s_waitcnt vmcnt(14)
	ds_write_b32 v67, v100 offset:3432
	s_waitcnt vmcnt(13)
	ds_write_b32 v67, v101 offset:3696
	s_waitcnt vmcnt(12)
	ds_write_b32 v67, v102 offset:3960
	ds_read_b64 v[86:87], v68
	ds_read_b64 v[88:89], v68 offset:32
	ds_read_b64 v[90:91], v68 offset:64
	ds_read_b64 v[92:93], v68 offset:96
	ds_read_b64 v[94:95], v68 offset:128
	ds_read_b64 v[96:97], v68 offset:160
	ds_read_b64 v[98:99], v68 offset:192
	ds_read_b64 v[100:101], v68 offset:224
	ds_write_b32 v67, v58
	ds_write_b32 v67, v59 offset:264
	s_waitcnt vmcnt(11)
	ds_write_b32 v67, v103 offset:528
	s_waitcnt vmcnt(10)
	;; [unrolled: 2-line block ×12, first 2 shown]
	ds_write_b32 v67, v114 offset:3432
	ds_write_b32 v67, v19 offset:3696
	;; [unrolled: 1-line block ×3, first 2 shown]
	ds_read_b64 v[58:59], v68
	s_waitcnt lgkmcnt(0)
	v_mfma_f32_16x16x8_xf32 v[8:11], v[28:29], v[58:59], v[8:11]
	ds_read_b64 v[28:29], v68 offset:32
	v_add_u32_e32 v66, 0x180, v66
	v_cmp_le_i32_e32 vcc, s5, v66
	v_mfma_f32_16x16x8_xf32 v[4:7], v[32:33], v[58:59], v[4:7]
	v_lshl_add_u64 v[20:21], v[20:21], 0, s[12:13]
	v_lshl_add_u64 v[22:23], v[22:23], 0, s[12:13]
	;; [unrolled: 1-line block ×3, first 2 shown]
	v_mfma_f32_16x16x8_xf32 v[0:3], v[60:61], v[58:59], v[0:3]
	s_or_b64 s[8:9], vcc, s[8:9]
	v_lshl_add_u64 v[26:27], v[26:27], 0, s[12:13]
	v_mfma_f32_16x16x8_xf32 v[12:15], v[86:87], v[58:59], v[12:15]
	s_waitcnt lgkmcnt(0)
	v_mfma_f32_16x16x8_xf32 v[8:11], v[30:31], v[28:29], v[8:11]
	v_mfma_f32_16x16x8_xf32 v[4:7], v[34:35], v[28:29], v[4:7]
	v_mfma_f32_16x16x8_xf32 v[0:3], v[70:71], v[28:29], v[0:3]
	v_mfma_f32_16x16x8_xf32 v[12:15], v[88:89], v[28:29], v[12:15]
	ds_read_b64 v[28:29], v68 offset:64
	s_waitcnt lgkmcnt(0)
	v_mfma_f32_16x16x8_xf32 v[8:11], v[36:37], v[28:29], v[8:11]
	v_mfma_f32_16x16x8_xf32 v[4:7], v[38:39], v[28:29], v[4:7]
	v_mfma_f32_16x16x8_xf32 v[0:3], v[72:73], v[28:29], v[0:3]
	v_mfma_f32_16x16x8_xf32 v[12:15], v[90:91], v[28:29], v[12:15]
	ds_read_b64 v[28:29], v68 offset:96
	;; [unrolled: 6-line block ×6, first 2 shown]
	s_waitcnt lgkmcnt(0)
	v_mfma_f32_16x16x8_xf32 v[8:11], v[84:85], v[28:29], v[8:11]
	v_mfma_f32_16x16x8_xf32 v[4:7], v[56:57], v[28:29], v[4:7]
	;; [unrolled: 1-line block ×4, first 2 shown]
	s_andn2_b64 exec, exec, s[8:9]
	s_cbranch_execnz .LBB92_4
; %bb.5:
	s_or_b64 exec, exec, s[8:9]
.LBB92_6:
	s_or_b64 exec, exec, s[24:25]
	v_mul_u32_u24_e32 v16, 0x608, v65
	v_lshlrev_b32_e32 v17, 2, v64
	s_waitcnt lgkmcnt(0)
	s_mul_hi_i32 s1, s15, s4
	s_mul_i32 s0, s15, s4
	v_add3_u32 v16, 0, v16, v17
	v_and_b32_e32 v17, 0x3f0, v63
	s_lshl_b64 s[0:1], s[0:1], 2
	v_add_u32_e32 v17, v16, v17
	s_mul_i32 s4, s3, s11
	s_add_u32 s3, s6, s0
	s_barrier
	ds_write2_b32 v17, v8, v9 offset1:1
	ds_write_b32 v17, v10 offset:8
	v_or_b32_e32 v8, 12, v63
	s_addc_u32 s6, s7, s1
	s_ashr_i32 s5, s4, 31
	v_and_b32_e32 v8, 0x3fc, v8
	s_lshl_b64 s[0:1], s[4:5], 2
	v_add_u32_e32 v8, v16, v8
	s_add_u32 s0, s3, s0
	s_movk_i32 s3, 0x608
	ds_write_b32 v8, v11
	ds_write2_b32 v17, v4, v5 offset0:16 offset1:17
	ds_write_b32 v17, v6 offset:72
	ds_write_b32 v8, v7 offset:64
	ds_write2_b32 v17, v0, v1 offset0:32 offset1:33
	ds_write_b32 v17, v2 offset:136
	ds_write_b32 v8, v3 offset:128
	ds_write2_b32 v17, v12, v13 offset0:48 offset1:49
	ds_write_b32 v17, v14 offset:200
	ds_write_b32 v8, v15 offset:192
	v_lshl_add_u32 v1, v63, 2, 0
	v_mad_u32_u24 v8, v62, s3, v1
	s_waitcnt lgkmcnt(0)
	s_barrier
	ds_read2st64_b32 v[2:3], v8 offset1:1
	ds_read2st64_b32 v[4:5], v8 offset0:2 offset1:3
	ds_read2st64_b32 v[6:7], v8 offset0:4 offset1:5
	v_add_u32_e32 v11, 48, v8
	v_add_u32_e32 v0, s2, v63
	s_waitcnt lgkmcnt(2)
	v_add_f32_e32 v2, 0, v2
	v_add_f32_e32 v2, v2, v3
	s_waitcnt lgkmcnt(1)
	v_add_f32_e32 v2, v2, v4
	v_add_f32_e32 v2, v2, v5
	s_waitcnt lgkmcnt(0)
	v_add_f32_e32 v2, v2, v6
	ds_read2st64_b32 v[4:5], v11 offset0:36 offset1:37
	ds_read2st64_b32 v[8:9], v11 offset0:38 offset1:39
	v_add_f32_e32 v10, v2, v7
	v_mad_u64_u32 v[2:3], s[4:5], v62, s18, v[0:1]
	s_addc_u32 s1, s6, s1
	v_mov_b32_e32 v3, 0
	v_lshl_add_u64 v[6:7], v[2:3], 2, s[0:1]
	global_store_dword v[6:7], v10, off
	ds_read2st64_b32 v[6:7], v11 offset0:40 offset1:41
	s_waitcnt lgkmcnt(2)
	v_add_f32_e32 v4, 0, v4
	v_add_f32_e32 v4, v4, v5
	s_waitcnt lgkmcnt(1)
	v_add_f32_e32 v4, v4, v8
	v_add_f32_e32 v4, v4, v9
	;; [unrolled: 3-line block ×3, first 2 shown]
	v_mad_u64_u32 v[4:5], s[4:5], s18, 6, v[2:3]
	v_mov_b32_e32 v5, v3
	v_lshl_add_u64 v[4:5], v[4:5], 2, s[0:1]
	v_cmp_gt_u32_e32 vcc, 2, v62
	global_store_dword v[4:5], v6, off
	s_and_saveexec_b64 s[4:5], vcc
	s_cbranch_execz .LBB92_8
; %bb.7:
	v_or_b32_e32 v2, 12, v62
	v_mad_u32_u24 v8, v2, s3, v1
	ds_read2st64_b32 v[4:5], v8 offset1:1
	ds_read2st64_b32 v[6:7], v8 offset0:2 offset1:3
	v_mad_u64_u32 v[0:1], s[2:3], v2, s18, v[0:1]
	ds_read2st64_b32 v[8:9], v8 offset0:4 offset1:5
	s_waitcnt lgkmcnt(2)
	v_add_f32_e32 v1, 0, v4
	v_add_f32_e32 v1, v1, v5
	s_waitcnt lgkmcnt(1)
	v_add_f32_e32 v1, v1, v6
	v_add_f32_e32 v1, v1, v7
	;; [unrolled: 3-line block ×3, first 2 shown]
	v_mov_b32_e32 v1, v3
	v_lshl_add_u64 v[0:1], v[0:1], 2, s[0:1]
	global_store_dword v[0:1], v2, off
.LBB92_8:
	s_endpgm
	.section	.rodata,"a",@progbits
	.p2align	6, 0x0
	.amdhsa_kernel _ZL9mul_mat_fIfLi64ELi14ELi6ELb0EEvPKT_PKfPKiPfiiiiiiiiiiiiiiii
		.amdhsa_group_segment_fixed_size 0
		.amdhsa_private_segment_fixed_size 0
		.amdhsa_kernarg_size 96
		.amdhsa_user_sgpr_count 2
		.amdhsa_user_sgpr_dispatch_ptr 0
		.amdhsa_user_sgpr_queue_ptr 0
		.amdhsa_user_sgpr_kernarg_segment_ptr 1
		.amdhsa_user_sgpr_dispatch_id 0
		.amdhsa_user_sgpr_kernarg_preload_length 0
		.amdhsa_user_sgpr_kernarg_preload_offset 0
		.amdhsa_user_sgpr_private_segment_size 0
		.amdhsa_uses_dynamic_stack 0
		.amdhsa_enable_private_segment 0
		.amdhsa_system_sgpr_workgroup_id_x 1
		.amdhsa_system_sgpr_workgroup_id_y 1
		.amdhsa_system_sgpr_workgroup_id_z 1
		.amdhsa_system_sgpr_workgroup_info 0
		.amdhsa_system_vgpr_workitem_id 1
		.amdhsa_next_free_vgpr 115
		.amdhsa_next_free_sgpr 92
		.amdhsa_accum_offset 116
		.amdhsa_reserve_vcc 1
		.amdhsa_float_round_mode_32 0
		.amdhsa_float_round_mode_16_64 0
		.amdhsa_float_denorm_mode_32 3
		.amdhsa_float_denorm_mode_16_64 3
		.amdhsa_dx10_clamp 1
		.amdhsa_ieee_mode 1
		.amdhsa_fp16_overflow 0
		.amdhsa_tg_split 0
		.amdhsa_exception_fp_ieee_invalid_op 0
		.amdhsa_exception_fp_denorm_src 0
		.amdhsa_exception_fp_ieee_div_zero 0
		.amdhsa_exception_fp_ieee_overflow 0
		.amdhsa_exception_fp_ieee_underflow 0
		.amdhsa_exception_fp_ieee_inexact 0
		.amdhsa_exception_int_div_zero 0
	.end_amdhsa_kernel
	.section	.text._ZL9mul_mat_fIfLi64ELi14ELi6ELb0EEvPKT_PKfPKiPfiiiiiiiiiiiiiiii,"axG",@progbits,_ZL9mul_mat_fIfLi64ELi14ELi6ELb0EEvPKT_PKfPKiPfiiiiiiiiiiiiiiii,comdat
.Lfunc_end92:
	.size	_ZL9mul_mat_fIfLi64ELi14ELi6ELb0EEvPKT_PKfPKiPfiiiiiiiiiiiiiiii, .Lfunc_end92-_ZL9mul_mat_fIfLi64ELi14ELi6ELb0EEvPKT_PKfPKiPfiiiiiiiiiiiiiiii
                                        ; -- End function
	.section	.AMDGPU.csdata,"",@progbits
; Kernel info:
; codeLenInByte = 5092
; NumSgprs: 98
; NumVgprs: 115
; NumAgprs: 0
; TotalNumVgprs: 115
; ScratchSize: 0
; MemoryBound: 0
; FloatMode: 240
; IeeeMode: 1
; LDSByteSize: 0 bytes/workgroup (compile time only)
; SGPRBlocks: 12
; VGPRBlocks: 14
; NumSGPRsForWavesPerEU: 98
; NumVGPRsForWavesPerEU: 115
; AccumOffset: 116
; Occupancy: 4
; WaveLimiterHint : 0
; COMPUTE_PGM_RSRC2:SCRATCH_EN: 0
; COMPUTE_PGM_RSRC2:USER_SGPR: 2
; COMPUTE_PGM_RSRC2:TRAP_HANDLER: 0
; COMPUTE_PGM_RSRC2:TGID_X_EN: 1
; COMPUTE_PGM_RSRC2:TGID_Y_EN: 1
; COMPUTE_PGM_RSRC2:TGID_Z_EN: 1
; COMPUTE_PGM_RSRC2:TIDIG_COMP_CNT: 1
; COMPUTE_PGM_RSRC3_GFX90A:ACCUM_OFFSET: 28
; COMPUTE_PGM_RSRC3_GFX90A:TG_SPLIT: 0
	.section	.text._ZL13mul_mat_f_idsIfLi64ELi14ELi7EEvPKT_PKfPKiS6_S6_Pfiiiiiiiiiiiiii15HIP_vector_typeIjLj3EES9_,"axG",@progbits,_ZL13mul_mat_f_idsIfLi64ELi14ELi7EEvPKT_PKfPKiS6_S6_Pfiiiiiiiiiiiiii15HIP_vector_typeIjLj3EES9_,comdat
	.globl	_ZL13mul_mat_f_idsIfLi64ELi14ELi7EEvPKT_PKfPKiS6_S6_Pfiiiiiiiiiiiiii15HIP_vector_typeIjLj3EES9_ ; -- Begin function _ZL13mul_mat_f_idsIfLi64ELi14ELi7EEvPKT_PKfPKiS6_S6_Pfiiiiiiiiiiiiii15HIP_vector_typeIjLj3EES9_
	.p2align	8
	.type	_ZL13mul_mat_f_idsIfLi64ELi14ELi7EEvPKT_PKfPKiS6_S6_Pfiiiiiiiiiiiiii15HIP_vector_typeIjLj3EES9_,@function
_ZL13mul_mat_f_idsIfLi64ELi14ELi7EEvPKT_PKfPKiS6_S6_Pfiiiiiiiiiiiiii15HIP_vector_typeIjLj3EES9_: ; @_ZL13mul_mat_f_idsIfLi64ELi14ELi7EEvPKT_PKfPKiS6_S6_Pfiiiiiiiiiiiiii15HIP_vector_typeIjLj3EES9_
; %bb.0:
	s_load_dwordx2 s[6:7], s[0:1], 0x20
	s_mov_b32 s34, s3
	s_ashr_i32 s35, s3, 31
	s_lshl_b64 s[8:9], s[34:35], 2
	s_waitcnt lgkmcnt(0)
	s_add_u32 s6, s6, s8
	s_addc_u32 s7, s7, s9
	s_load_dwordx2 s[26:27], s[6:7], 0x0
	s_waitcnt lgkmcnt(0)
	s_sub_i32 s33, s27, s26
	s_add_i32 s3, s33, 13
	s_mul_hi_i32 s5, s3, 0x92492493
	s_add_i32 s5, s5, s3
	s_lshr_b32 s3, s5, 31
	s_ashr_i32 s5, s5, 3
	s_add_i32 s5, s5, s3
	s_cmp_ge_i32 s4, s5
	s_cbranch_scc1 .LBB93_55
; %bb.1:
	v_bfe_u32 v16, v0, 10, 10
	v_lshlrev_b32_e32 v86, 6, v16
	v_and_b32_e32 v17, 0x3ff, v0
	s_load_dwordx4 s[12:15], s[0:1], 0x30
	s_load_dwordx2 s[20:21], s[0:1], 0x40
	s_load_dwordx4 s[8:11], s[0:1], 0x4c
	s_load_dwordx4 s[16:19], s[0:1], 0x68
	s_load_dwordx2 s[24:25], s[0:1], 0x78
	v_add_u32_e32 v88, v86, v17
	s_ashr_i32 s27, s26, 31
	s_waitcnt lgkmcnt(0)
	v_cmp_le_i32_e32 vcc, s12, v88
	v_and_b32_e32 v87, 15, v17
                                        ; implicit-def: $sgpr3
	s_and_saveexec_b64 s[6:7], vcc
	s_xor_b64 s[6:7], exec, s[6:7]
; %bb.2:
	v_and_b32_e32 v87, 15, v17
	s_mov_b32 s3, 0
                                        ; implicit-def: $vgpr88
; %bb.3:
	s_or_saveexec_b64 s[28:29], s[6:7]
	s_load_dwordx2 s[22:23], s[0:1], 0x18
	s_load_dwordx2 s[6:7], s[0:1], 0x28
                                        ; implicit-def: $vgpr106 : SGPR spill to VGPR lane
	s_lshl_b32 s11, s2, 6
	s_mul_i32 s2, s4, 14
	v_mov_b32_e32 v15, s3
	v_mov_b32_e32 v14, s3
	s_waitcnt lgkmcnt(0)
	v_writelane_b32 v106, s6, 0
	v_mov_b32_e32 v13, s3
	v_mov_b32_e32 v12, s3
	;; [unrolled: 1-line block ×14, first 2 shown]
	v_writelane_b32 v106, s7, 1
	s_xor_b64 exec, exec, s[28:29]
	s_cbranch_execz .LBB93_49
; %bb.4:
	v_writelane_b32 v106, s28, 2
	s_movk_i32 s3, 0x1080
	v_mad_u32_u24 v1, v16, s3, 0
	v_writelane_b32 v106, s29, 3
	v_writelane_b32 v106, s22, 4
	v_lshrrev_b32_e32 v3, 1, v17
	v_mov_b32_e32 v19, 0
	v_writelane_b32 v106, s23, 5
	v_writelane_b32 v106, s24, 6
	s_load_dwordx4 s[4:7], s[0:1], 0x0
	s_load_dwordx2 s[22:23], s[0:1], 0x10
	v_writelane_b32 v106, s25, 7
	s_mul_i32 s0, s34, s8
	s_mul_i32 s24, s11, s15
	s_ashr_i32 s1, s0, 31
	s_ashr_i32 s25, s24, 31
	s_lshl_b64 s[24:25], s[24:25], 2
	s_lshl_b64 s[0:1], s[0:1], 2
	s_add_u32 s24, s0, s24
	v_writelane_b32 v106, s11, 8
	s_addc_u32 s25, s1, s25
	s_waitcnt lgkmcnt(0)
	s_add_u32 s0, s24, s4
	v_writelane_b32 v106, s26, 9
	s_addc_u32 s1, s25, s5
	v_lshlrev_b32_e32 v0, 2, v17
	v_writelane_b32 v106, s27, 10
	s_lshl_b64 s[26:27], s[26:27], 2
	s_add_u32 s8, s22, s26
	s_addc_u32 s11, s23, s27
	s_cmp_lt_i32 s2, s33
	s_cselect_b64 s[34:35], -1, 0
	s_ashr_i32 s3, s2, 31
	s_lshl_b64 s[22:23], s[2:3], 2
	s_add_u32 s36, s8, s22
	s_addc_u32 s37, s11, s23
	s_or_b32 s3, s2, 1
	s_cmp_lt_i32 s3, s33
	s_cselect_b64 s[38:39], -1, 0
	s_add_i32 s3, s2, 2
	s_cmp_lt_i32 s3, s33
	s_cselect_b64 s[40:41], -1, 0
	s_add_i32 s3, s2, 3
	;; [unrolled: 3-line block ×3, first 2 shown]
	v_mul_u32_u24_e32 v2, 0x108, v87
	v_and_b32_e32 v3, 0x1f8, v3
	s_cmp_lt_i32 s3, s33
	v_lshlrev_b32_e32 v18, 8, v16
	v_add_u32_e32 v89, v1, v0
	v_add3_u32 v90, v1, v2, v3
	s_cselect_b64 s[44:45], -1, 0
	s_add_i32 s3, s2, 5
	v_lshl_add_u64 v[2:3], s[24:25], 0, v[18:19]
	v_mov_b32_e32 v1, v19
	s_cmp_lt_i32 s3, s33
	v_lshl_add_u64 v[0:1], v[2:3], 0, v[0:1]
	s_cselect_b64 s[46:47], -1, 0
	s_add_i32 s3, s2, 6
	v_lshl_add_u64 v[20:21], s[4:5], 0, v[0:1]
	s_mul_i32 s4, s15, 3
	s_cmp_lt_i32 s3, s33
	v_writelane_b32 v106, s4, 11
	s_mul_i32 s4, s15, 5
	s_cselect_b64 s[48:49], -1, 0
	s_add_i32 s3, s2, 7
	v_writelane_b32 v106, s4, 12
	s_mul_i32 s4, s15, 6
	s_cmp_lt_i32 s3, s33
	v_writelane_b32 v106, s4, 13
	s_mul_i32 s4, s15, 7
	s_cselect_b64 s[50:51], -1, 0
	s_add_i32 s3, s2, 8
	v_writelane_b32 v106, s4, 14
	;; [unrolled: 7-line block ×7, first 2 shown]
	s_mul_i32 s4, s15, 20
	s_cmp_lt_i32 s3, s33
	v_writelane_b32 v106, s4, 25
	s_mul_i32 s4, s15, 21
	s_cselect_b64 s[62:63], -1, 0
	s_ashr_i32 s23, s15, 31
	s_mov_b32 s22, s15
	v_writelane_b32 v106, s4, 26
	s_mul_i32 s4, s15, 22
	s_lshl_b64 s[64:65], s[22:23], 2
	s_lshl_b32 s3, s15, 1
	s_lshl_b32 s68, s15, 2
	s_lshl_b32 s72, s15, 3
	s_lshl_b32 s80, s15, 4
	v_writelane_b32 v106, s4, 27
	s_mul_i32 s87, s15, 23
	s_mul_i32 s88, s15, 24
	s_mul_i32 s89, s15, 25
	s_mul_i32 s90, s15, 26
	s_mul_i32 s91, s15, 27
	s_mul_i32 s92, s15, 28
	s_mul_i32 s93, s15, 29
	s_mul_i32 s94, s15, 30
	s_mul_i32 s95, s15, 31
	s_lshl_b32 s96, s15, 5
	s_mul_i32 s97, s15, 33
	s_mul_i32 s98, s15, 34
	;; [unrolled: 1-line block ×7, first 2 shown]
	v_mov_b32_e32 v8, 0
	v_mov_b32_e32 v9, v19
	;; [unrolled: 1-line block ×16, first 2 shown]
	s_mul_i32 s28, s15, 40
	s_mul_i32 s29, s15, 41
	;; [unrolled: 1-line block ×24, first 2 shown]
	s_mov_b64 s[4:5], 0
	s_mov_b64 s[66:67], 0x700
	s_branch .LBB93_6
.LBB93_5:                               ;   in Loop: Header=BB93_6 Depth=1
	s_waitcnt vmcnt(0)
	ds_write2_b32 v89, v18, v92 offset1:66
	ds_write2_b32 v89, v91, v94 offset0:132 offset1:198
	v_add_u32_e32 v18, 0x400, v89
	ds_write2_b32 v18, v93, v96 offset0:8 offset1:74
	ds_write2_b32 v18, v95, v98 offset0:140 offset1:206
	v_add_u32_e32 v18, 0x800, v89
	ds_write2_b32 v18, v97, v100 offset0:16 offset1:82
	;; [unrolled: 3-line block ×3, first 2 shown]
	ds_write2_b32 v18, v19, v19 offset0:156 offset1:222
	ds_read2_b64 v[92:95], v90 offset1:4
	v_add_u32_e32 v88, 0x1c0, v88
	s_waitcnt lgkmcnt(0)
	v_mfma_f32_16x16x8_xf32 v[0:3], v[70:71], v[92:93], v[0:3]
	v_cmp_le_i32_e32 vcc, s12, v88
	v_lshl_add_u64 v[20:21], v[20:21], 0, s[66:67]
	s_or_b64 s[4:5], vcc, s[4:5]
	v_mfma_f32_16x16x8_xf32 v[8:11], v[38:39], v[92:93], v[8:11]
	v_mfma_f32_16x16x8_xf32 v[4:7], v[54:55], v[92:93], v[4:7]
	v_mfma_f32_16x16x8_xf32 v[12:15], v[84:85], v[92:93], v[12:15]
	v_mfma_f32_16x16x8_xf32 v[0:3], v[68:69], v[94:95], v[0:3]
	ds_read2_b64 v[68:71], v90 offset0:8 offset1:12
	v_mfma_f32_16x16x8_xf32 v[8:11], v[34:35], v[94:95], v[8:11]
	v_mfma_f32_16x16x8_xf32 v[4:7], v[50:51], v[94:95], v[4:7]
	v_mfma_f32_16x16x8_xf32 v[12:15], v[82:83], v[94:95], v[12:15]
	s_waitcnt lgkmcnt(0)
	v_mfma_f32_16x16x8_xf32 v[8:11], v[32:33], v[68:69], v[8:11]
	v_mfma_f32_16x16x8_xf32 v[4:7], v[48:49], v[68:69], v[4:7]
	v_mfma_f32_16x16x8_xf32 v[0:3], v[66:67], v[68:69], v[0:3]
	v_mfma_f32_16x16x8_xf32 v[12:15], v[78:79], v[68:69], v[12:15]
	v_mfma_f32_16x16x8_xf32 v[8:11], v[30:31], v[70:71], v[8:11]
	ds_read2_b64 v[30:33], v90 offset0:16 offset1:20
	v_mfma_f32_16x16x8_xf32 v[4:7], v[46:47], v[70:71], v[4:7]
	v_mfma_f32_16x16x8_xf32 v[0:3], v[64:65], v[70:71], v[0:3]
	v_mfma_f32_16x16x8_xf32 v[12:15], v[74:75], v[70:71], v[12:15]
	s_waitcnt lgkmcnt(0)
	v_mfma_f32_16x16x8_xf32 v[8:11], v[28:29], v[30:31], v[8:11]
	;; [unrolled: 10-line block ×3, first 2 shown]
	v_mfma_f32_16x16x8_xf32 v[4:7], v[40:41], v[26:27], v[4:7]
	v_mfma_f32_16x16x8_xf32 v[0:3], v[56:57], v[26:27], v[0:3]
	;; [unrolled: 1-line block ×7, first 2 shown]
	s_andn2_b64 exec, exec, s[4:5]
	s_cbranch_execz .LBB93_48
.LBB93_6:                               ; =>This Inner Loop Header: Depth=1
	v_readlane_b32 s86, v106, 11
	v_lshl_add_u64 v[22:23], v[20:21], 0, s[64:65]
	global_load_dword v18, v[20:21], off
	global_load_dword v48, v[22:23], off
	v_add_u32_e32 v24, s86, v88
	v_readlane_b32 s86, v106, 12
	v_add_u32_e32 v22, s3, v88
	v_ashrrev_i32_e32 v23, 31, v22
	v_add_u32_e32 v28, s86, v88
	v_readlane_b32 s86, v106, 13
	v_add_u32_e32 v26, s68, v88
	v_lshl_add_u64 v[22:23], v[22:23], 2, s[0:1]
	v_add_u32_e32 v30, s86, v88
	v_readlane_b32 s86, v106, 14
	v_ashrrev_i32_e32 v25, 31, v24
	v_ashrrev_i32_e32 v27, 31, v26
	v_add_u32_e32 v32, s86, v88
	v_ashrrev_i32_e32 v29, 31, v28
	v_ashrrev_i32_e32 v31, 31, v30
	;; [unrolled: 1-line block ×3, first 2 shown]
	v_lshl_add_u64 v[24:25], v[24:25], 2, s[0:1]
	v_lshl_add_u64 v[26:27], v[26:27], 2, s[0:1]
	;; [unrolled: 1-line block ×5, first 2 shown]
	global_load_dword v49, v[22:23], off
	global_load_dword v50, v[24:25], off
	;; [unrolled: 1-line block ×6, first 2 shown]
	v_readlane_b32 s86, v106, 15
	v_add_u32_e32 v22, s72, v88
	v_add_u32_e32 v38, s80, v88
	;; [unrolled: 1-line block ×3, first 2 shown]
	v_readlane_b32 s86, v106, 16
	v_ashrrev_i32_e32 v23, 31, v22
	v_ashrrev_i32_e32 v25, 31, v24
	v_add_u32_e32 v26, s86, v88
	v_readlane_b32 s86, v106, 17
	v_ashrrev_i32_e32 v27, 31, v26
	v_ashrrev_i32_e32 v39, 31, v38
	v_add_u32_e32 v28, s86, v88
	v_readlane_b32 s86, v106, 18
	v_ashrrev_i32_e32 v29, 31, v28
	v_lshl_add_u64 v[22:23], v[22:23], 2, s[0:1]
	v_add_u32_e32 v30, s86, v88
	v_readlane_b32 s86, v106, 19
	v_ashrrev_i32_e32 v31, 31, v30
	v_lshl_add_u64 v[24:25], v[24:25], 2, s[0:1]
	;; [unrolled: 4-line block ×6, first 2 shown]
	v_add_u32_e32 v42, s86, v88
	v_readlane_b32 s86, v106, 24
	v_lshl_add_u64 v[32:33], v[32:33], 2, s[0:1]
	v_lshl_add_u64 v[34:35], v[34:35], 2, s[0:1]
	v_add_u32_e32 v44, s86, v88
	v_readlane_b32 s86, v106, 25
	v_lshl_add_u64 v[36:37], v[36:37], 2, s[0:1]
	v_lshl_add_u64 v[38:39], v[38:39], 2, s[0:1]
	v_add_u32_e32 v46, s86, v88
	v_readlane_b32 s86, v106, 26
	global_load_dword v55, v[22:23], off
	global_load_dword v56, v[24:25], off
	;; [unrolled: 1-line block ×9, first 2 shown]
	s_nop 0
	global_load_dword v40, v[40:41], off
	v_add_u32_e32 v22, s86, v88
	v_readlane_b32 s86, v106, 27
	v_ashrrev_i32_e32 v43, 31, v42
	v_ashrrev_i32_e32 v45, 31, v44
	;; [unrolled: 1-line block ×4, first 2 shown]
	v_add_u32_e32 v24, s86, v88
	v_add_u32_e32 v26, s87, v88
	;; [unrolled: 1-line block ×4, first 2 shown]
	v_lshl_add_u64 v[42:43], v[42:43], 2, s[0:1]
	v_lshl_add_u64 v[44:45], v[44:45], 2, s[0:1]
	;; [unrolled: 1-line block ×4, first 2 shown]
	s_waitcnt vmcnt(17)
	ds_write_b32 v89, v18
	s_waitcnt vmcnt(16)
	ds_write_b32 v89, v48 offset:264
	s_waitcnt vmcnt(15)
	ds_write_b32 v89, v49 offset:528
	;; [unrolled: 2-line block ×7, first 2 shown]
	v_ashrrev_i32_e32 v25, 31, v24
	v_ashrrev_i32_e32 v27, 31, v26
	;; [unrolled: 1-line block ×4, first 2 shown]
	v_lshl_add_u64 v[24:25], v[24:25], 2, s[0:1]
	v_lshl_add_u64 v[26:27], v[26:27], 2, s[0:1]
	;; [unrolled: 1-line block ×4, first 2 shown]
	global_load_dword v18, v[42:43], off
	global_load_dword v41, v[44:45], off
	s_nop 0
	global_load_dword v42, v[46:47], off
	global_load_dword v43, v[22:23], off
	;; [unrolled: 1-line block ×4, first 2 shown]
	s_nop 0
	global_load_dword v46, v[28:29], off
	global_load_dword v47, v[30:31], off
	v_add_u32_e32 v22, s90, v88
	v_ashrrev_i32_e32 v23, 31, v22
	v_add_u32_e32 v24, s91, v88
	v_add_u32_e32 v26, s92, v88
	v_add_u32_e32 v28, s93, v88
	v_add_u32_e32 v30, s94, v88
	v_add_u32_e32 v32, s95, v88
	v_add_u32_e32 v34, s96, v88
	v_add_u32_e32 v36, s97, v88
	v_lshl_add_u64 v[22:23], v[22:23], 2, s[0:1]
	v_ashrrev_i32_e32 v25, 31, v24
	v_ashrrev_i32_e32 v27, 31, v26
	v_ashrrev_i32_e32 v29, 31, v28
	v_ashrrev_i32_e32 v31, 31, v30
	v_ashrrev_i32_e32 v33, 31, v32
	v_ashrrev_i32_e32 v35, 31, v34
	v_ashrrev_i32_e32 v37, 31, v36
	v_lshl_add_u64 v[24:25], v[24:25], 2, s[0:1]
	v_lshl_add_u64 v[26:27], v[26:27], 2, s[0:1]
	v_lshl_add_u64 v[28:29], v[28:29], 2, s[0:1]
	v_lshl_add_u64 v[30:31], v[30:31], 2, s[0:1]
	v_lshl_add_u64 v[32:33], v[32:33], 2, s[0:1]
	v_lshl_add_u64 v[34:35], v[34:35], 2, s[0:1]
	v_lshl_add_u64 v[36:37], v[36:37], 2, s[0:1]
	global_load_dword v48, v[22:23], off
	global_load_dword v49, v[24:25], off
	global_load_dword v50, v[26:27], off
	global_load_dword v51, v[28:29], off
	global_load_dword v52, v[30:31], off
	global_load_dword v53, v[32:33], off
	global_load_dword v64, v[34:35], off
	global_load_dword v65, v[36:37], off
	v_add_u32_e32 v22, s98, v88
	v_ashrrev_i32_e32 v23, 31, v22
	v_add_u32_e32 v24, s99, v88
	v_add_u32_e32 v26, s24, v88
	v_add_u32_e32 v28, s25, v88
	v_add_u32_e32 v30, s22, v88
	v_add_u32_e32 v32, s23, v88
	v_add_u32_e32 v34, s28, v88
	v_add_u32_e32 v36, s29, v88
	v_lshl_add_u64 v[22:23], v[22:23], 2, s[0:1]
	v_ashrrev_i32_e32 v25, 31, v24
	v_ashrrev_i32_e32 v27, 31, v26
	v_ashrrev_i32_e32 v29, 31, v28
	v_ashrrev_i32_e32 v31, 31, v30
	v_ashrrev_i32_e32 v33, 31, v32
	v_ashrrev_i32_e32 v35, 31, v34
	v_ashrrev_i32_e32 v37, 31, v36
	v_lshl_add_u64 v[24:25], v[24:25], 2, s[0:1]
	v_lshl_add_u64 v[26:27], v[26:27], 2, s[0:1]
	v_lshl_add_u64 v[28:29], v[28:29], 2, s[0:1]
	v_lshl_add_u64 v[30:31], v[30:31], 2, s[0:1]
	v_lshl_add_u64 v[32:33], v[32:33], 2, s[0:1]
	v_lshl_add_u64 v[34:35], v[34:35], 2, s[0:1]
	v_lshl_add_u64 v[36:37], v[36:37], 2, s[0:1]
	global_load_dword v66, v[22:23], off
	global_load_dword v67, v[24:25], off
	global_load_dword v68, v[26:27], off
	global_load_dword v69, v[28:29], off
	global_load_dword v70, v[30:31], off
	global_load_dword v71, v[32:33], off
	;; [unrolled: 32-line block ×4, first 2 shown]
	global_load_dword v93, v[34:35], off
	global_load_dword v94, v[36:37], off
	v_add_u32_e32 v22, s81, v88
	v_ashrrev_i32_e32 v23, 31, v22
	v_add_u32_e32 v24, s82, v88
	v_add_u32_e32 v26, s83, v88
	;; [unrolled: 1-line block ×5, first 2 shown]
	v_lshl_add_u64 v[22:23], v[22:23], 2, s[0:1]
	v_ashrrev_i32_e32 v25, 31, v24
	v_ashrrev_i32_e32 v27, 31, v26
	;; [unrolled: 1-line block ×5, first 2 shown]
	v_lshl_add_u64 v[24:25], v[24:25], 2, s[0:1]
	v_lshl_add_u64 v[26:27], v[26:27], 2, s[0:1]
	v_lshl_add_u64 v[28:29], v[28:29], 2, s[0:1]
	v_lshl_add_u64 v[30:31], v[30:31], 2, s[0:1]
	v_lshl_add_u64 v[32:33], v[32:33], 2, s[0:1]
	global_load_dword v95, v[22:23], off
	global_load_dword v96, v[24:25], off
	;; [unrolled: 1-line block ×6, first 2 shown]
	s_waitcnt vmcnt(55)
	ds_write_b32 v89, v55 offset:2112
	s_waitcnt vmcnt(54)
	ds_write_b32 v89, v56 offset:2376
	s_waitcnt vmcnt(53)
	ds_write_b32 v89, v57 offset:2640
	s_waitcnt vmcnt(52)
	ds_write_b32 v89, v58 offset:2904
	s_waitcnt vmcnt(51)
	ds_write_b32 v89, v59 offset:3168
	s_waitcnt vmcnt(50)
	ds_write_b32 v89, v60 offset:3432
	s_waitcnt vmcnt(49)
	ds_write_b32 v89, v61 offset:3696
	s_waitcnt vmcnt(48)
	ds_write_b32 v89, v62 offset:3960
	ds_read_b64 v[38:39], v90
	ds_read_b64 v[34:35], v90 offset:32
	ds_read_b64 v[32:33], v90 offset:64
	ds_read_b64 v[30:31], v90 offset:96
	ds_read_b64 v[28:29], v90 offset:128
	ds_read_b64 v[26:27], v90 offset:160
	ds_read_b64 v[24:25], v90 offset:192
	ds_read_b64 v[22:23], v90 offset:224
	s_waitcnt vmcnt(47)
	ds_write_b32 v89, v63
	s_waitcnt vmcnt(46)
	ds_write_b32 v89, v40 offset:264
	s_waitcnt vmcnt(45)
	ds_write_b32 v89, v18 offset:528
	s_waitcnt vmcnt(44)
	ds_write_b32 v89, v41 offset:792
	s_waitcnt vmcnt(43)
	ds_write_b32 v89, v42 offset:1056
	s_waitcnt vmcnt(42)
	ds_write_b32 v89, v43 offset:1320
	s_waitcnt vmcnt(41)
	ds_write_b32 v89, v44 offset:1584
	s_waitcnt vmcnt(40)
	ds_write_b32 v89, v45 offset:1848
	s_waitcnt vmcnt(39)
	ds_write_b32 v89, v46 offset:2112
	s_waitcnt vmcnt(38)
	ds_write_b32 v89, v47 offset:2376
	s_waitcnt vmcnt(37)
	ds_write_b32 v89, v48 offset:2640
	s_waitcnt vmcnt(36)
	ds_write_b32 v89, v49 offset:2904
	s_waitcnt vmcnt(35)
	ds_write_b32 v89, v50 offset:3168
	s_waitcnt vmcnt(34)
	ds_write_b32 v89, v51 offset:3432
	s_waitcnt vmcnt(33)
	ds_write_b32 v89, v52 offset:3696
	s_waitcnt vmcnt(32)
	ds_write_b32 v89, v53 offset:3960
	ds_read_b64 v[54:55], v90
	ds_read_b64 v[50:51], v90 offset:32
	ds_read_b64 v[48:49], v90 offset:64
	ds_read_b64 v[46:47], v90 offset:96
	ds_read_b64 v[44:45], v90 offset:128
	ds_read_b64 v[42:43], v90 offset:160
	ds_read_b64 v[40:41], v90 offset:192
	ds_read_b64 v[36:37], v90 offset:224
	s_waitcnt vmcnt(31)
	ds_write_b32 v89, v64
	s_waitcnt vmcnt(30)
	ds_write_b32 v89, v65 offset:264
	s_waitcnt vmcnt(29)
	ds_write_b32 v89, v66 offset:528
	s_waitcnt vmcnt(28)
	ds_write_b32 v89, v67 offset:792
	s_waitcnt vmcnt(27)
	ds_write_b32 v89, v68 offset:1056
	s_waitcnt vmcnt(26)
	ds_write_b32 v89, v69 offset:1320
	s_waitcnt vmcnt(25)
	ds_write_b32 v89, v70 offset:1584
	s_waitcnt vmcnt(24)
	ds_write_b32 v89, v71 offset:1848
	;; [unrolled: 40-line block ×3, first 2 shown]
	s_waitcnt vmcnt(7)
	ds_write_b32 v89, v93 offset:2112
	s_waitcnt vmcnt(6)
	ds_write_b32 v89, v94 offset:2376
	;; [unrolled: 2-line block ×8, first 2 shown]
	ds_read_b64 v[84:85], v90
	ds_read_b64 v[82:83], v90 offset:32
	ds_read_b64 v[78:79], v90 offset:64
	;; [unrolled: 1-line block ×7, first 2 shown]
	s_andn2_b64 vcc, exec, s[34:35]
	v_mov_b32_e32 v18, 0
	s_cbranch_vccnz .LBB93_9
; %bb.7:                                ;   in Loop: Header=BB93_6 Depth=1
	s_load_dword vcc_lo, s[36:37], 0x0
	v_mov_b32_e32 v18, 0
	s_waitcnt lgkmcnt(0)
	s_mul_hi_u32 vcc_hi, vcc_lo, s16
	s_add_i32 vcc_hi, vcc_lo, vcc_hi
	s_lshr_b32 s86, vcc_hi, s17
	s_cmp_ge_i32 s86, s13
	s_cbranch_scc1 .LBB93_9
; %bb.8:                                ;   in Loop: Header=BB93_6 Depth=1
	s_mul_i32 vcc_hi, s86, s18
	s_sub_i32 vcc_lo, vcc_lo, vcc_hi
	s_mul_i32 vcc_lo, vcc_lo, s9
	s_mul_i32 s86, s86, s20
	s_add_i32 s86, s86, vcc_lo
	v_add_u32_e32 v92, s86, v88
	v_ashrrev_i32_e32 v93, 31, v92
	v_lshl_add_u64 v[92:93], v[92:93], 2, s[6:7]
	global_load_dword v18, v[92:93], off
.LBB93_9:                               ;   in Loop: Header=BB93_6 Depth=1
	s_andn2_b64 vcc, exec, s[38:39]
	v_mov_b32_e32 v91, 0
	v_mov_b32_e32 v92, 0
	s_cbranch_vccnz .LBB93_12
; %bb.10:                               ;   in Loop: Header=BB93_6 Depth=1
	s_load_dword vcc_lo, s[36:37], 0x4
	v_mov_b32_e32 v92, 0
	s_waitcnt lgkmcnt(0)
	s_mul_hi_u32 s86, vcc_lo, s16
	s_add_i32 s86, vcc_lo, s86
	s_lshr_b32 vcc_hi, s86, s17
	s_cmp_ge_i32 vcc_hi, s13
	s_cbranch_scc1 .LBB93_12
; %bb.11:                               ;   in Loop: Header=BB93_6 Depth=1
	s_mul_i32 s86, vcc_hi, s18
	s_sub_i32 s86, vcc_lo, s86
	s_mul_i32 s86, s86, s9
	s_mul_i32 vcc_lo, vcc_hi, s20
	s_add_i32 vcc_lo, vcc_lo, s86
	v_add_u32_e32 v92, vcc_lo, v88
	v_ashrrev_i32_e32 v93, 31, v92
	v_lshl_add_u64 v[92:93], v[92:93], 2, s[6:7]
	global_load_dword v92, v[92:93], off
.LBB93_12:                              ;   in Loop: Header=BB93_6 Depth=1
	s_andn2_b64 vcc, exec, s[40:41]
	s_cbranch_vccnz .LBB93_15
; %bb.13:                               ;   in Loop: Header=BB93_6 Depth=1
	s_load_dword vcc_lo, s[36:37], 0x8
	v_mov_b32_e32 v91, 0
	s_waitcnt lgkmcnt(0)
	s_mul_hi_u32 s86, vcc_lo, s16
	s_add_i32 s86, vcc_lo, s86
	s_lshr_b32 vcc_hi, s86, s17
	s_cmp_ge_i32 vcc_hi, s13
	s_cbranch_scc1 .LBB93_15
; %bb.14:                               ;   in Loop: Header=BB93_6 Depth=1
	s_mul_i32 s86, vcc_hi, s18
	s_sub_i32 s86, vcc_lo, s86
	s_mul_i32 s86, s86, s9
	s_mul_i32 vcc_lo, vcc_hi, s20
	s_add_i32 vcc_lo, vcc_lo, s86
	v_add_u32_e32 v94, vcc_lo, v88
	v_ashrrev_i32_e32 v95, 31, v94
	v_lshl_add_u64 v[94:95], v[94:95], 2, s[6:7]
	global_load_dword v91, v[94:95], off
.LBB93_15:                              ;   in Loop: Header=BB93_6 Depth=1
	s_andn2_b64 vcc, exec, s[42:43]
	v_mov_b32_e32 v93, 0
	v_mov_b32_e32 v94, 0
	s_cbranch_vccnz .LBB93_18
; %bb.16:                               ;   in Loop: Header=BB93_6 Depth=1
	s_load_dword vcc_lo, s[36:37], 0xc
	v_mov_b32_e32 v94, 0
	s_waitcnt lgkmcnt(0)
	s_mul_hi_u32 s86, vcc_lo, s16
	s_add_i32 s86, vcc_lo, s86
	s_lshr_b32 vcc_hi, s86, s17
	s_cmp_ge_i32 vcc_hi, s13
	s_cbranch_scc1 .LBB93_18
; %bb.17:                               ;   in Loop: Header=BB93_6 Depth=1
	s_mul_i32 s86, vcc_hi, s18
	s_sub_i32 s86, vcc_lo, s86
	s_mul_i32 s86, s86, s9
	s_mul_i32 vcc_lo, vcc_hi, s20
	s_add_i32 vcc_lo, vcc_lo, s86
	v_add_u32_e32 v94, vcc_lo, v88
	v_ashrrev_i32_e32 v95, 31, v94
	v_lshl_add_u64 v[94:95], v[94:95], 2, s[6:7]
	global_load_dword v94, v[94:95], off
.LBB93_18:                              ;   in Loop: Header=BB93_6 Depth=1
	s_andn2_b64 vcc, exec, s[44:45]
	s_cbranch_vccnz .LBB93_21
; %bb.19:                               ;   in Loop: Header=BB93_6 Depth=1
	s_load_dword vcc_lo, s[36:37], 0x10
	v_mov_b32_e32 v93, 0
	s_waitcnt lgkmcnt(0)
	s_mul_hi_u32 s86, vcc_lo, s16
	s_add_i32 s86, vcc_lo, s86
	s_lshr_b32 vcc_hi, s86, s17
	s_cmp_ge_i32 vcc_hi, s13
	s_cbranch_scc1 .LBB93_21
; %bb.20:                               ;   in Loop: Header=BB93_6 Depth=1
	s_mul_i32 s86, vcc_hi, s18
	s_sub_i32 s86, vcc_lo, s86
	s_mul_i32 s86, s86, s9
	s_mul_i32 vcc_lo, vcc_hi, s20
	s_add_i32 vcc_lo, vcc_lo, s86
	v_add_u32_e32 v96, vcc_lo, v88
	v_ashrrev_i32_e32 v97, 31, v96
	v_lshl_add_u64 v[96:97], v[96:97], 2, s[6:7]
	global_load_dword v93, v[96:97], off
.LBB93_21:                              ;   in Loop: Header=BB93_6 Depth=1
	;; [unrolled: 46-line block ×6, first 2 shown]
	s_andn2_b64 vcc, exec, s[62:63]
	v_mov_b32_e32 v103, 0
	s_cbranch_vccnz .LBB93_5
; %bb.46:                               ;   in Loop: Header=BB93_6 Depth=1
	s_load_dword vcc_lo, s[36:37], 0x34
	v_mov_b32_e32 v103, 0
	s_waitcnt lgkmcnt(0)
	s_mul_hi_u32 s86, vcc_lo, s16
	s_add_i32 s86, vcc_lo, s86
	s_lshr_b32 vcc_hi, s86, s17
	s_cmp_ge_i32 vcc_hi, s13
	s_cbranch_scc1 .LBB93_5
; %bb.47:                               ;   in Loop: Header=BB93_6 Depth=1
	s_mul_i32 s86, vcc_hi, s18
	s_sub_i32 s86, vcc_lo, s86
	s_mul_i32 s86, s86, s9
	s_mul_i32 vcc_lo, vcc_hi, s20
	s_add_i32 vcc_lo, vcc_lo, s86
	v_add_u32_e32 v104, vcc_lo, v88
	v_ashrrev_i32_e32 v105, 31, v104
	v_lshl_add_u64 v[104:105], v[104:105], 2, s[6:7]
	global_load_dword v103, v[104:105], off
	s_branch .LBB93_5
.LBB93_48:
	s_or_b64 exec, exec, s[4:5]
	v_readlane_b32 s24, v106, 6
	v_readlane_b32 s26, v106, 9
	;; [unrolled: 1-line block ×9, first 2 shown]
.LBB93_49:
	s_or_b64 exec, exec, s[28:29]
	v_mul_u32_u24_e32 v18, 0x708, v87
	v_lshlrev_b32_e32 v19, 2, v86
	v_add3_u32 v18, 0, v18, v19
	v_and_b32_e32 v19, 0x3f0, v17
	v_add_u32_e32 v19, v18, v19
	s_lshl_b64 s[0:1], s[26:27], 2
	s_barrier
	ds_write2_b32 v19, v8, v9 offset1:1
	ds_write_b32 v19, v10 offset:8
	v_or_b32_e32 v8, 12, v17
	s_add_u32 s4, s22, s0
	v_and_b32_e32 v8, 0x3fc, v8
	s_addc_u32 s5, s23, s1
	v_add_u32_e32 v8, v18, v8
	ds_write_b32 v8, v11
	ds_write2_b32 v19, v4, v5 offset0:16 offset1:17
	ds_write_b32 v19, v6 offset:72
	ds_write_b32 v8, v7 offset:64
	ds_write2_b32 v19, v0, v1 offset0:32 offset1:33
	ds_write_b32 v19, v2 offset:136
	ds_write_b32 v8, v3 offset:128
	;; [unrolled: 3-line block ×3, first 2 shown]
	s_cmp_gt_i32 s14, 0
	v_add_u32_e32 v0, s2, v16
	s_cselect_b64 s[6:7], -1, 0
	v_cmp_gt_i32_e64 s[0:1], s33, v0
	v_cmp_gt_u32_e32 vcc, 14, v16
	s_and_b64 s[0:1], s[6:7], s[0:1]
	v_lshl_add_u32 v3, v17, 2, 0
	v_add_u32_e32 v2, s11, v17
	v_mul_u32_u24_e32 v4, 0x708, v16
	s_and_b64 s[8:9], vcc, s[0:1]
	s_waitcnt lgkmcnt(0)
	s_barrier
	s_and_saveexec_b64 s[0:1], s[8:9]
	s_cbranch_execz .LBB93_52
; %bb.50:
	v_ashrrev_i32_e32 v1, 31, v0
	v_lshl_add_u64 v[6:7], v[0:1], 2, s[4:5]
	global_load_dword v1, v[6:7], off
	s_waitcnt vmcnt(0)
	v_mul_hi_u32 v5, v1, s19
	v_add_u32_e32 v5, v1, v5
	v_lshrrev_b32_e32 v5, s24, v5
	v_cmp_gt_i32_e32 vcc, s13, v5
	s_and_b64 exec, exec, vcc
	s_cbranch_execz .LBB93_52
; %bb.51:
	v_add_u32_e32 v12, v3, v4
	ds_read2st64_b32 v[6:7], v12 offset1:1
	ds_read2st64_b32 v[8:9], v12 offset0:2 offset1:3
	ds_read2st64_b32 v[10:11], v12 offset0:4 offset1:5
	ds_read_b32 v12, v12 offset:1536
	v_mul_lo_u32 v13, v5, s25
	v_sub_u32_e32 v1, v1, v13
	v_mul_lo_u32 v1, v1, s10
	s_waitcnt lgkmcnt(3)
	v_add_f32_e32 v6, 0, v6
	v_add_f32_e32 v6, v6, v7
	s_waitcnt lgkmcnt(2)
	v_add_f32_e32 v6, v6, v8
	v_add_f32_e32 v6, v6, v9
	;; [unrolled: 3-line block ×3, first 2 shown]
	v_mul_lo_u32 v5, v5, s21
	v_readlane_b32 s8, v106, 0
	s_waitcnt lgkmcnt(0)
	v_add_f32_e32 v8, v6, v12
	v_add3_u32 v6, v2, v5, v1
	v_mov_b32_e32 v7, 0
	v_readlane_b32 s9, v106, 1
	s_nop 1
	v_lshl_add_u64 v[6:7], v[6:7], 2, s[8:9]
	global_store_dword v[6:7], v8, off
.LBB93_52:
	s_or_b64 exec, exec, s[0:1]
	v_add_u32_e32 v0, 7, v0
	v_cmp_gt_i32_e64 s[0:1], s33, v0
	v_cmp_gt_u32_e32 vcc, 7, v16
	s_and_b64 s[0:1], s[6:7], s[0:1]
	s_and_b64 s[0:1], vcc, s[0:1]
	s_and_saveexec_b64 s[6:7], s[0:1]
	s_cbranch_execz .LBB93_55
; %bb.53:
	s_ashr_i32 s3, s2, 31
	v_mov_b32_e32 v17, 0
	v_lshl_add_u64 v[0:1], v[16:17], 0, s[2:3]
	v_lshl_add_u64 v[0:1], v[0:1], 2, s[4:5]
	global_load_dword v0, v[0:1], off offset:28
	s_waitcnt vmcnt(0)
	v_mul_hi_u32 v1, v0, s19
	v_add_u32_e32 v1, v0, v1
	v_lshrrev_b32_e32 v1, s24, v1
	v_cmp_gt_i32_e32 vcc, s13, v1
	s_and_b64 exec, exec, vcc
	s_cbranch_execz .LBB93_55
; %bb.54:
	v_add_u32_e32 v3, v4, v3
	v_add_u32_e32 v8, 56, v3
	ds_read2st64_b32 v[4:5], v8 offset0:49 offset1:50
	ds_read2st64_b32 v[6:7], v8 offset0:51 offset1:52
	ds_read_b32 v3, v3 offset:14136
	ds_read2st64_b32 v[8:9], v8 offset0:53 offset1:54
	v_mul_lo_u32 v10, v1, s25
	v_sub_u32_e32 v0, v0, v10
	v_mul_lo_u32 v0, v0, s10
	s_waitcnt lgkmcnt(3)
	v_add_f32_e32 v4, 0, v4
	v_add_f32_e32 v4, v4, v5
	s_waitcnt lgkmcnt(2)
	v_add_f32_e32 v4, v4, v6
	v_add_f32_e32 v4, v4, v7
	s_waitcnt lgkmcnt(0)
	v_add_f32_e32 v4, v4, v8
	v_mul_lo_u32 v1, v1, s21
	v_readlane_b32 s0, v106, 0
	v_add_f32_e32 v4, v4, v9
	v_add3_u32 v16, v2, v1, v0
	v_readlane_b32 s1, v106, 1
	v_add_f32_e32 v3, v4, v3
	s_nop 0
	v_lshl_add_u64 v[0:1], v[16:17], 2, s[0:1]
	global_store_dword v[0:1], v3, off
.LBB93_55:
	s_endpgm
	.section	.rodata,"a",@progbits
	.p2align	6, 0x0
	.amdhsa_kernel _ZL13mul_mat_f_idsIfLi64ELi14ELi7EEvPKT_PKfPKiS6_S6_Pfiiiiiiiiiiiiii15HIP_vector_typeIjLj3EES9_
		.amdhsa_group_segment_fixed_size 0
		.amdhsa_private_segment_fixed_size 0
		.amdhsa_kernarg_size 128
		.amdhsa_user_sgpr_count 2
		.amdhsa_user_sgpr_dispatch_ptr 0
		.amdhsa_user_sgpr_queue_ptr 0
		.amdhsa_user_sgpr_kernarg_segment_ptr 1
		.amdhsa_user_sgpr_dispatch_id 0
		.amdhsa_user_sgpr_kernarg_preload_length 0
		.amdhsa_user_sgpr_kernarg_preload_offset 0
		.amdhsa_user_sgpr_private_segment_size 0
		.amdhsa_uses_dynamic_stack 0
		.amdhsa_enable_private_segment 0
		.amdhsa_system_sgpr_workgroup_id_x 1
		.amdhsa_system_sgpr_workgroup_id_y 1
		.amdhsa_system_sgpr_workgroup_id_z 1
		.amdhsa_system_sgpr_workgroup_info 0
		.amdhsa_system_vgpr_workitem_id 1
		.amdhsa_next_free_vgpr 107
		.amdhsa_next_free_sgpr 100
		.amdhsa_accum_offset 108
		.amdhsa_reserve_vcc 1
		.amdhsa_float_round_mode_32 0
		.amdhsa_float_round_mode_16_64 0
		.amdhsa_float_denorm_mode_32 3
		.amdhsa_float_denorm_mode_16_64 3
		.amdhsa_dx10_clamp 1
		.amdhsa_ieee_mode 1
		.amdhsa_fp16_overflow 0
		.amdhsa_tg_split 0
		.amdhsa_exception_fp_ieee_invalid_op 0
		.amdhsa_exception_fp_denorm_src 0
		.amdhsa_exception_fp_ieee_div_zero 0
		.amdhsa_exception_fp_ieee_overflow 0
		.amdhsa_exception_fp_ieee_underflow 0
		.amdhsa_exception_fp_ieee_inexact 0
		.amdhsa_exception_int_div_zero 0
	.end_amdhsa_kernel
	.section	.text._ZL13mul_mat_f_idsIfLi64ELi14ELi7EEvPKT_PKfPKiS6_S6_Pfiiiiiiiiiiiiii15HIP_vector_typeIjLj3EES9_,"axG",@progbits,_ZL13mul_mat_f_idsIfLi64ELi14ELi7EEvPKT_PKfPKiS6_S6_Pfiiiiiiiiiiiiii15HIP_vector_typeIjLj3EES9_,comdat
.Lfunc_end93:
	.size	_ZL13mul_mat_f_idsIfLi64ELi14ELi7EEvPKT_PKfPKiS6_S6_Pfiiiiiiiiiiiiii15HIP_vector_typeIjLj3EES9_, .Lfunc_end93-_ZL13mul_mat_f_idsIfLi64ELi14ELi7EEvPKT_PKfPKiS6_S6_Pfiiiiiiiiiiiiii15HIP_vector_typeIjLj3EES9_
                                        ; -- End function
	.section	.AMDGPU.csdata,"",@progbits
; Kernel info:
; codeLenInByte = 6360
; NumSgprs: 106
; NumVgprs: 107
; NumAgprs: 0
; TotalNumVgprs: 107
; ScratchSize: 0
; MemoryBound: 0
; FloatMode: 240
; IeeeMode: 1
; LDSByteSize: 0 bytes/workgroup (compile time only)
; SGPRBlocks: 13
; VGPRBlocks: 13
; NumSGPRsForWavesPerEU: 106
; NumVGPRsForWavesPerEU: 107
; AccumOffset: 108
; Occupancy: 4
; WaveLimiterHint : 1
; COMPUTE_PGM_RSRC2:SCRATCH_EN: 0
; COMPUTE_PGM_RSRC2:USER_SGPR: 2
; COMPUTE_PGM_RSRC2:TRAP_HANDLER: 0
; COMPUTE_PGM_RSRC2:TGID_X_EN: 1
; COMPUTE_PGM_RSRC2:TGID_Y_EN: 1
; COMPUTE_PGM_RSRC2:TGID_Z_EN: 1
; COMPUTE_PGM_RSRC2:TIDIG_COMP_CNT: 1
; COMPUTE_PGM_RSRC3_GFX90A:ACCUM_OFFSET: 26
; COMPUTE_PGM_RSRC3_GFX90A:TG_SPLIT: 0
	.section	.text._ZL9mul_mat_fIfLi64ELi14ELi7ELb1EEvPKT_PKfPKiPfiiiiiiiiiiiiiiii,"axG",@progbits,_ZL9mul_mat_fIfLi64ELi14ELi7ELb1EEvPKT_PKfPKiPfiiiiiiiiiiiiiiii,comdat
	.globl	_ZL9mul_mat_fIfLi64ELi14ELi7ELb1EEvPKT_PKfPKiPfiiiiiiiiiiiiiiii ; -- Begin function _ZL9mul_mat_fIfLi64ELi14ELi7ELb1EEvPKT_PKfPKiPfiiiiiiiiiiiiiiii
	.p2align	8
	.type	_ZL9mul_mat_fIfLi64ELi14ELi7ELb1EEvPKT_PKfPKiPfiiiiiiiiiiiiiiii,@function
_ZL9mul_mat_fIfLi64ELi14ELi7ELb1EEvPKT_PKfPKiPfiiiiiiiiiiiiiiii: ; @_ZL9mul_mat_fIfLi64ELi14ELi7ELb1EEvPKT_PKfPKiPfiiiiiiiiiiiiiiii
; %bb.0:
	s_load_dwordx8 s[40:47], s[0:1], 0x20
	s_load_dwordx4 s[48:51], s[0:1], 0x44
	s_load_dword s7, s[0:1], 0x64
	s_load_dwordx2 s[8:9], s[0:1], 0x10
	v_and_b32_e32 v16, 0x3ff, v0
	v_bfe_u32 v17, v0, 10, 10
	s_waitcnt lgkmcnt(0)
	s_add_i32 s6, s41, 13
	s_mul_hi_i32 s5, s6, 0x92492493
	s_add_i32 s5, s5, s6
	s_lshr_b32 s6, s5, 31
	s_ashr_i32 s5, s5, 3
	s_add_i32 s5, s5, s6
	v_cvt_f32_u32_e32 v1, s5
	s_add_u32 s12, s0, 0x60
	s_addc_u32 s13, s1, 0
	s_sub_i32 s6, 0, s5
	v_rcp_iflag_f32_e32 v1, v1
	s_abs_i32 s22, s51
	v_mul_f32_e32 v1, 0x4f7ffffe, v1
	v_cvt_u32_f32_e32 v1, v1
	v_mul_lo_u32 v2, s6, v1
	v_mul_hi_u32 v2, v1, v2
	v_add_u32_e32 v1, v1, v2
	v_mul_hi_u32 v1, s7, v1
	v_mul_lo_u32 v2, v1, s5
	v_sub_u32_e32 v2, s7, v2
	v_add_u32_e32 v3, 1, v1
	v_subrev_u32_e32 v4, s5, v2
	v_cmp_le_u32_e32 vcc, s5, v2
	s_nop 1
	v_cndmask_b32_e32 v1, v1, v3, vcc
	v_cndmask_b32_e32 v2, v2, v4, vcc
	v_add_u32_e32 v3, 1, v1
	v_cmp_le_u32_e32 vcc, s5, v2
	s_sub_i32 s5, 0, s22
	s_nop 0
	v_cndmask_b32_e32 v1, v1, v3, vcc
	v_cvt_f32_u32_e32 v2, v1
	v_cvt_f32_u32_e32 v3, s22
	v_cmp_eq_u32_e32 vcc, 0, v16
	v_rcp_iflag_f32_e32 v2, v2
	v_rcp_iflag_f32_e32 v3, v3
	v_mul_f32_e32 v2, 0x4f7ffffe, v2
	v_cvt_u32_f32_e32 v2, v2
	v_mul_f32_e32 v3, 0x4f7ffffe, v3
	v_cvt_u32_f32_e32 v8, v3
	v_sub_u32_e32 v3, 0, v1
	v_mul_lo_u32 v3, v3, v2
	v_mul_hi_u32 v3, v2, v3
	v_add_u32_e32 v2, v2, v3
	v_mul_hi_u32 v2, s3, v2
	s_and_saveexec_b64 s[6:7], vcc
	s_cbranch_execz .LBB94_2
; %bb.1:
	v_mov_b32_e32 v3, 0x100
	v_lshl_add_u32 v3, v17, 2, v3
	v_mov_b32_e32 v4, -1
	ds_write_b32 v3, v4
.LBB94_2:
	s_or_b64 exec, exec, s[6:7]
	v_mul_lo_u32 v3, v2, v1
	v_sub_u32_e32 v3, s3, v3
	v_add_u32_e32 v4, 1, v2
	v_sub_u32_e32 v5, v3, v1
	v_cmp_ge_u32_e64 s[6:7], v3, v1
	v_mul_lo_u32 v9, s5, v8
	s_nop 0
	v_cndmask_b32_e64 v2, v2, v4, s[6:7]
	v_cndmask_b32_e64 v3, v3, v5, s[6:7]
	v_add_u32_e32 v4, 1, v2
	v_cmp_ge_u32_e64 s[6:7], v3, v1
	s_nop 1
	v_cndmask_b32_e64 v2, v2, v4, s[6:7]
	v_mul_lo_u32 v90, v2, 14
	v_mul_lo_u32 v1, v2, v1
	v_mul_hi_i32 v3, v90, s47
	v_mul_lo_u32 v2, v90, s47
	v_sub_u32_e32 v18, s3, v1
	v_lshlrev_b64 v[2:3], 2, v[2:3]
	v_add_u32_e32 v1, v17, v90
	v_lshl_add_u64 v[2:3], s[8:9], 0, v[2:3]
	v_cmp_gt_i32_e64 s[6:7], s42, v16
	v_cmp_gt_i32_e64 s[24:25], s41, v1
	v_mov_b32_e32 v1, 0
	s_and_saveexec_b64 s[14:15], s[24:25]
	s_cbranch_execz .LBB94_10
; %bb.3:
	v_mov_b32_e32 v1, 0
	s_and_saveexec_b64 s[16:17], s[6:7]
	s_cbranch_execz .LBB94_9
; %bb.4:
	v_mul_lo_u32 v4, v17, s47
	v_ashrrev_i32_e32 v5, 31, v4
	v_mov_b32_e32 v1, 0x100
	v_lshl_add_u64 v[4:5], v[4:5], 2, v[2:3]
	v_lshl_add_u32 v10, v17, 2, v1
	v_mul_lo_u32 v6, v16, s46
	s_lshl_b32 s3, s46, 6
	s_mov_b64 s[18:19], 0
	v_mov_b32_e32 v1, 0
	v_mov_b32_e32 v11, v16
	s_branch .LBB94_6
.LBB94_5:                               ;   in Loop: Header=BB94_6 Depth=1
	s_or_b64 exec, exec, s[20:21]
	v_add_u32_e32 v11, 64, v11
	v_cmp_le_i32_e64 s[10:11], s42, v11
	s_xor_b64 s[8:9], s[8:9], -1
	s_or_b64 s[8:9], s[8:9], s[10:11]
	s_and_b64 s[8:9], exec, s[8:9]
	s_or_b64 s[18:19], s[8:9], s[18:19]
	v_add_u32_e32 v6, s3, v6
	s_andn2_b64 exec, exec, s[18:19]
	s_cbranch_execz .LBB94_8
.LBB94_6:                               ; =>This Inner Loop Header: Depth=1
	v_ashrrev_i32_e32 v7, 31, v6
	v_lshl_add_u64 v[12:13], v[6:7], 2, v[4:5]
	global_load_dword v7, v[12:13], off
	s_waitcnt vmcnt(0)
	v_cmp_ne_u32_e64 s[8:9], v7, v18
	v_cmp_eq_u32_e64 s[10:11], v7, v18
	s_and_saveexec_b64 s[20:21], s[10:11]
	s_cbranch_execz .LBB94_5
; %bb.7:                                ;   in Loop: Header=BB94_6 Depth=1
	v_mov_b32_e32 v1, 1
	ds_write_b32 v10, v11
	s_branch .LBB94_5
.LBB94_8:
	s_or_b64 exec, exec, s[18:19]
.LBB94_9:
	s_or_b64 exec, exec, s[16:17]
.LBB94_10:
	s_or_b64 exec, exec, s[14:15]
	v_mul_hi_u32 v4, v8, v9
	s_and_saveexec_b64 s[8:9], vcc
	s_cbranch_execz .LBB94_12
; %bb.11:
	v_mov_b32_e32 v5, 0x100
	v_lshl_add_u32 v5, v17, 2, v5
	v_mov_b32_e32 v6, -1
	ds_write_b32 v5, v6 offset:28
.LBB94_12:
	s_or_b64 exec, exec, s[8:9]
	s_load_dwordx4 s[28:31], s[0:1], 0x54
	v_add_u32_e32 v91, 7, v17
	s_abs_i32 s3, s4
	v_add_u32_e32 v6, v8, v4
	v_add_u32_e32 v4, v91, v90
	v_cmp_gt_i32_e64 s[10:11], s41, v4
	s_mov_b64 s[8:9], exec
                                        ; implicit-def: $vgpr108 : SGPR spill to VGPR lane
	s_nop 0
	v_writelane_b32 v108, s10, 0
	s_nop 1
	v_writelane_b32 v108, s11, 1
	s_and_b64 s[10:11], s[8:9], s[10:11]
	s_mov_b64 exec, s[10:11]
	s_cbranch_execz .LBB94_20
; %bb.13:
	s_and_saveexec_b64 s[10:11], s[6:7]
	s_cbranch_execz .LBB94_19
; %bb.14:
	v_mul_lo_u32 v4, v91, s47
	v_ashrrev_i32_e32 v5, 31, v4
	v_lshl_add_u64 v[2:3], v[4:5], 2, v[2:3]
	v_mov_b32_e32 v4, 0x100
	v_lshl_add_u32 v7, v17, 2, v4
	v_mul_lo_u32 v4, v16, s46
	s_lshl_b32 s5, s46, 6
	s_mov_b64 s[14:15], 0
	v_mov_b32_e32 v8, v16
	s_branch .LBB94_16
.LBB94_15:                              ;   in Loop: Header=BB94_16 Depth=1
	s_or_b64 exec, exec, s[16:17]
	v_add_u32_e32 v8, 64, v8
	v_cmp_le_i32_e64 s[6:7], s42, v8
	s_xor_b64 s[16:17], vcc, -1
	s_or_b64 s[6:7], s[16:17], s[6:7]
	s_and_b64 s[6:7], exec, s[6:7]
	s_or_b64 s[14:15], s[6:7], s[14:15]
	v_add_u32_e32 v4, s5, v4
	s_andn2_b64 exec, exec, s[14:15]
	s_cbranch_execz .LBB94_18
.LBB94_16:                              ; =>This Inner Loop Header: Depth=1
	v_ashrrev_i32_e32 v5, 31, v4
	v_lshl_add_u64 v[10:11], v[4:5], 2, v[2:3]
	global_load_dword v5, v[10:11], off
	s_waitcnt vmcnt(0)
	v_cmp_ne_u32_e32 vcc, v5, v18
	v_cmp_eq_u32_e64 s[6:7], v5, v18
	s_and_saveexec_b64 s[16:17], s[6:7]
	s_cbranch_execz .LBB94_15
; %bb.17:                               ;   in Loop: Header=BB94_16 Depth=1
	v_mov_b32_e32 v1, 1
	ds_write_b32 v7, v8 offset:28
	s_branch .LBB94_15
.LBB94_18:
	s_or_b64 exec, exec, s[14:15]
.LBB94_19:
	s_or_b64 exec, exec, s[10:11]
.LBB94_20:
	s_or_b64 exec, exec, s[8:9]
	s_load_dwordx2 s[6:7], s[12:13], 0xc
	s_load_dwordx2 s[8:9], s[0:1], 0x8
	;; [unrolled: 1-line block ×3, first 2 shown]
	v_cmp_ne_u32_e32 vcc, 0, v1
	v_mul_hi_u32 v19, s3, v6
	s_waitcnt lgkmcnt(0)
	s_and_b32 s5, s7, 0xffff
	v_cndmask_b32_e64 v1, 0, 1, vcc
	v_writelane_b32 v108, s10, 2
	s_lshr_b32 s7, s6, 16
	v_or_b32_dpp v1, v1, v1 row_shl:1 row_mask:0xf bank_mask:0xf bound_ctrl:1
	s_and_b32 s6, s6, 0xffff
	v_writelane_b32 v108, s11, 3
	v_or_b32_dpp v1, v1, v1 row_shl:2 row_mask:0xf bank_mask:0xf bound_ctrl:1
	s_mul_i32 s10, s7, s6
	s_bfe_i32 s10, s10, 0x180000
	v_or_b32_dpp v1, v1, v1 row_shl:4 row_mask:0xf bank_mask:0xf bound_ctrl:1
	s_mul_i32 s5, s10, s5
	s_add_i32 s10, s5, 63
	v_or_b32_dpp v1, v1, v1 row_shl:8 row_mask:0xf bank_mask:0xf bound_ctrl:1
	s_bitcmp1_b32 exec_hi, 0
                                        ; kill: killed $sgpr12 killed $sgpr13
	s_nop 0
	v_mov_b32_dpp v2, v1 wave_shl:1 row_mask:0xf bank_mask:0xf bound_ctrl:1
	s_nop 1
	v_or_b32_dpp v1, v2, v1 row_mirror row_mask:0xf bank_mask:0xf bound_ctrl:1
	s_nop 0
	v_readlane_b32 s5, v1, 32
	s_cselect_b32 s5, s5, 0
	v_readlane_b32 s11, v1, 0
	s_or_b32 s5, s5, s11
	s_andn2_b32 s10, s10, 63
	s_cmp_lg_u32 s10, 64
	v_mov_b32_e32 v1, s5
	s_cbranch_scc0 .LBB94_27
; %bb.21:
	v_bfe_u32 v0, v0, 20, 10
	v_mbcnt_lo_u32_b32 v1, -1, 0
	v_mad_u32_u24 v0, v0, s7, v17
	v_mbcnt_hi_u32_b32 v2, -1, v1
	v_mad_u64_u32 v[0:1], s[6:7], v0, s6, v[16:17]
	v_lshrrev_b32_e32 v1, 6, v0
	v_or_b32_e32 v1, v2, v1
	v_cmp_eq_u32_e32 vcc, 0, v1
	s_and_saveexec_b64 s[6:7], vcc
	s_cbranch_execz .LBB94_23
; %bb.22:
	v_mov_b32_e32 v1, 0
	v_mov_b32_e32 v3, s5
	ds_write_b32 v1, v3
.LBB94_23:
	s_or_b64 exec, exec, s[6:7]
	v_cmp_eq_u32_e32 vcc, 0, v2
	v_cmp_lt_u32_e64 s[6:7], 63, v0
	s_and_b64 s[10:11], s[6:7], vcc
	s_waitcnt lgkmcnt(0)
	s_barrier
	s_and_saveexec_b64 s[6:7], s[10:11]
	s_cbranch_execz .LBB94_26
; %bb.24:
	v_mbcnt_lo_u32_b32 v0, exec_lo, 0
	v_mbcnt_hi_u32_b32 v0, exec_hi, v0
	v_cmp_eq_u32_e32 vcc, 0, v0
	s_and_b64 exec, exec, vcc
	s_cbranch_execz .LBB94_26
; %bb.25:
	v_mov_b32_e32 v0, 0
	v_mov_b32_e32 v1, s5
	ds_or_b32 v0, v1
.LBB94_26:
	s_or_b64 exec, exec, s[6:7]
	v_mov_b32_e32 v0, 0
	s_waitcnt lgkmcnt(0)
	s_barrier
	ds_read_b32 v1, v0
	s_waitcnt lgkmcnt(0)
	s_barrier
.LBB94_27:
	s_load_dwordx2 s[0:1], s[0:1], 0x0
	v_cmp_ne_u32_e32 vcc, 0, v1
	s_ashr_i32 s5, s4, 31
	s_ashr_i32 s10, s51, 31
	s_cbranch_vccz .LBB94_98
; %bb.28:
	v_lshlrev_b32_e32 v92, 6, v17
	v_add_u32_e32 v94, v92, v16
	v_cmp_le_i32_e32 vcc, s40, v94
	v_and_b32_e32 v93, 15, v16
                                        ; implicit-def: $sgpr11
	s_and_saveexec_b64 s[6:7], vcc
	s_xor_b64 s[6:7], exec, s[6:7]
; %bb.29:
	v_and_b32_e32 v93, 15, v16
	s_mov_b32 s11, 0
                                        ; implicit-def: $vgpr94
                                        ; implicit-def: $vgpr19
                                        ; implicit-def: $vgpr18
; %bb.30:
	s_or_saveexec_b64 s[12:13], s[6:7]
	s_lshl_b32 s6, s2, 6
	v_mov_b32_e32 v11, s11
	v_mov_b32_e32 v10, s11
	;; [unrolled: 1-line block ×16, first 2 shown]
	v_writelane_b32 v108, s12, 4
	s_nop 1
	v_writelane_b32 v108, s13, 5
	s_xor_b64 exec, exec, s[12:13]
	s_cbranch_execz .LBB94_90
; %bb.31:
	v_mul_lo_u32 v0, v19, s22
	v_sub_u32_e32 v0, s3, v0
	v_add_u32_e32 v1, 1, v19
	v_subrev_u32_e32 v2, s22, v0
	v_cmp_le_u32_e32 vcc, s22, v0
	s_xor_b32 s2, s5, s10
	v_writelane_b32 v108, s24, 6
	v_cndmask_b32_e32 v1, v19, v1, vcc
	v_cndmask_b32_e32 v0, v0, v2, vcc
	v_add_u32_e32 v2, 1, v1
	v_cmp_le_u32_e32 vcc, s22, v0
	v_writelane_b32 v108, s25, 7
	v_writelane_b32 v108, s6, 8
	v_cndmask_b32_e32 v0, v1, v2, vcc
	v_xor_b32_e32 v0, s2, v0
	v_subrev_u32_e32 v0, s2, v0
	s_mul_i32 s2, s6, s43
	v_mul_hi_i32 v1, v0, s28
	v_mul_lo_u32 v0, v0, s28
	v_mul_lo_u32 v2, v18, s48
	s_ashr_i32 s3, s2, 31
	v_ashrrev_i32_e32 v3, 31, v2
	v_lshlrev_b64 v[0:1], 2, v[0:1]
	s_lshl_b64 s[6:7], s[2:3], 2
	s_movk_i32 s2, 0x1080
	v_mov_b32_e32 v95, 0x100
	v_writelane_b32 v108, s4, 9
	s_waitcnt lgkmcnt(0)
	v_lshl_add_u64 v[4:5], s[0:1], 0, v[0:1]
	v_lshlrev_b64 v[2:3], 2, v[2:3]
	v_mad_u32_u24 v6, v17, s2, v95
	s_mul_hi_i32 s3, s29, s4
	v_writelane_b32 v108, s28, 10
	s_mul_i32 s2, s29, s4
	v_lshl_add_u64 v[4:5], v[4:5], 0, v[2:3]
	s_lshl_b64 s[2:3], s[2:3], 2
	v_lshl_add_u64 v[18:19], v[4:5], 0, s[6:7]
	v_writelane_b32 v108, s29, 11
	v_mul_hi_i32 v5, v90, s44
	v_mul_lo_u32 v4, v90, s44
	s_add_u32 s2, s8, s2
	v_writelane_b32 v108, s30, 12
	s_addc_u32 s3, s9, s3
	v_lshlrev_b64 v[4:5], 2, v[4:5]
	v_writelane_b32 v108, s31, 13
	v_lshl_add_u64 v[20:21], s[2:3], 0, v[4:5]
	s_lshl_b32 s2, s44, 2
	v_lshl_add_u64 v[0:1], v[0:1], 0, s[6:7]
	v_writelane_b32 v108, s2, 14
	s_lshl_b32 s2, s44, 3
	v_lshl_add_u64 v[0:1], v[0:1], 0, v[2:3]
	v_writelane_b32 v108, s2, 15
	v_lshl_add_u64 v[0:1], s[0:1], 0, v[0:1]
	s_mul_i32 s0, s43, 3
	v_lshrrev_b32_e32 v5, 1, v16
	v_writelane_b32 v108, s0, 16
	s_mul_i32 s0, s43, 5
	v_mul_u32_u24_e32 v4, 0x108, v93
	v_and_b32_e32 v5, 0x1f8, v5
	v_or_b32_e32 v26, 1, v90
	v_add_u32_e32 v27, 2, v90
	s_lshl_b32 s42, s44, 1
	v_add_u32_e32 v28, 3, v90
	v_add_u32_e32 v29, 4, v90
	v_add_u32_e32 v30, 5, v90
	v_add_u32_e32 v31, 6, v90
	v_add_u32_e32 v32, 7, v90
	v_add_u32_e32 v33, 8, v90
	v_add_u32_e32 v34, 9, v90
	v_add_u32_e32 v35, 10, v90
	v_add_u32_e32 v36, 11, v90
	v_add_u32_e32 v37, 12, v90
	v_add_u32_e32 v38, 13, v90
	s_ashr_i32 s3, s43, 31
	s_mov_b32 s2, s43
	v_lshlrev_b32_e32 v22, 2, v94
	v_mov_b32_e32 v23, 0
	v_writelane_b32 v108, s0, 17
	s_mul_i32 s0, s43, 6
	v_lshl_add_u32 v96, v16, 2, v6
	v_add3_u32 v97, v6, v4, v5
	s_lshl_b64 s[2:3], s[2:3], 2
	v_lshl_add_u64 v[24:25], v[0:1], 0, v[22:23]
	s_lshl_b32 s64, s43, 1
	s_lshl_b32 s66, s43, 2
	v_writelane_b32 v108, s0, 18
	s_mul_i32 s69, s43, 7
	s_lshl_b32 s70, s43, 3
	s_mul_i32 s71, s43, 9
	s_mul_i32 s72, s43, 10
	;; [unrolled: 1-line block ×7, first 2 shown]
	s_lshl_b32 s78, s43, 4
	s_mul_i32 s79, s43, 17
	s_mul_i32 s80, s43, 18
	s_mul_i32 s81, s43, 19
	s_mul_i32 s82, s43, 20
	s_mul_i32 s83, s43, 21
	s_mul_i32 s84, s43, 22
	s_mul_i32 s85, s43, 23
	s_mul_i32 s86, s43, 24
	s_mul_i32 s87, s43, 25
	s_mul_i32 s88, s43, 26
	s_mul_i32 s89, s43, 27
	s_mul_i32 s90, s43, 28
	s_mul_i32 s91, s43, 29
	s_mul_i32 s92, s43, 30
	s_mul_i32 s93, s43, 31
	s_lshl_b32 s94, s43, 5
	s_mul_i32 s95, s43, 33
	s_mul_i32 s96, s43, 34
	;; [unrolled: 1-line block ×23, first 2 shown]
	v_cmp_gt_i32_e64 s[0:1], s41, v90
	s_mul_i32 s37, s43, 56
	s_mul_i32 s33, s43, 57
	v_mov_b32_e32 v12, 0
	v_mov_b32_e32 v13, v23
	;; [unrolled: 1-line block ×16, first 2 shown]
	s_mul_i32 s4, s43, 58
	s_mul_i32 s51, s43, 59
	s_mul_i32 s58, s43, 60
	s_mul_i32 s65, s43, 61
	s_mul_i32 s67, s43, 62
	s_mul_i32 s68, s43, 63
	v_cmp_gt_i32_e64 s[6:7], s41, v26
	v_cmp_gt_i32_e64 s[8:9], s41, v27
	;; [unrolled: 1-line block ×13, first 2 shown]
	s_mov_b32 s41, s42
	s_mov_b64 s[42:43], 0
	s_mov_b64 s[52:53], 0x700
	s_branch .LBB94_34
.LBB94_32:                              ;   in Loop: Header=BB94_34 Depth=1
	v_mul_lo_u32 v22, v22, s49
	s_mul_i32 vcc_lo, s44, 13
	v_add_u32_e32 v22, vcc_lo, v22
	v_add_u32_e32 v98, v22, v94
	v_ashrrev_i32_e32 v99, 31, v98
	v_lshl_add_u64 v[98:99], v[98:99], 2, v[20:21]
	global_load_dword v22, v[98:99], off
.LBB94_33:                              ;   in Loop: Header=BB94_34 Depth=1
	v_add_u32_e32 v98, 0xc00, v96
	s_waitcnt vmcnt(0)
	ds_write2_b32 v98, v22, v23 offset0:106 offset1:172
	ds_write_b32 v96, v23 offset:4024
	ds_read2_b64 v[98:101], v97 offset0:8 offset1:12
	v_add_u32_e32 v94, 0x1c0, v94
	v_cmp_le_i32_e32 vcc, s40, v94
	v_lshl_add_u64 v[24:25], v[24:25], 0, s[52:53]
	s_or_b64 s[42:43], vcc, s[42:43]
	s_waitcnt lgkmcnt(0)
	v_mfma_f32_16x16x8_xf32 v[0:3], v[74:75], v[98:99], v[0:3]
	v_mfma_f32_16x16x8_xf32 v[8:11], v[42:43], v[98:99], v[8:11]
	v_mfma_f32_16x16x8_xf32 v[4:7], v[58:59], v[98:99], v[4:7]
	v_mfma_f32_16x16x8_xf32 v[12:15], v[88:89], v[98:99], v[12:15]
	v_mfma_f32_16x16x8_xf32 v[0:3], v[72:73], v[100:101], v[0:3]
	ds_read2_b64 v[72:75], v97 offset0:16 offset1:20
	v_mfma_f32_16x16x8_xf32 v[8:11], v[38:39], v[100:101], v[8:11]
	v_mfma_f32_16x16x8_xf32 v[4:7], v[54:55], v[100:101], v[4:7]
	v_mfma_f32_16x16x8_xf32 v[12:15], v[86:87], v[100:101], v[12:15]
	s_waitcnt lgkmcnt(0)
	v_mfma_f32_16x16x8_xf32 v[8:11], v[36:37], v[72:73], v[8:11]
	v_mfma_f32_16x16x8_xf32 v[4:7], v[52:53], v[72:73], v[4:7]
	v_mfma_f32_16x16x8_xf32 v[0:3], v[70:71], v[72:73], v[0:3]
	v_mfma_f32_16x16x8_xf32 v[12:15], v[82:83], v[72:73], v[12:15]
	v_mfma_f32_16x16x8_xf32 v[8:11], v[34:35], v[74:75], v[8:11]
	ds_read2_b64 v[34:37], v97 offset0:24 offset1:28
	v_mfma_f32_16x16x8_xf32 v[4:7], v[50:51], v[74:75], v[4:7]
	v_mfma_f32_16x16x8_xf32 v[0:3], v[68:69], v[74:75], v[0:3]
	v_mfma_f32_16x16x8_xf32 v[12:15], v[78:79], v[74:75], v[12:15]
	;; [unrolled: 10-line block ×3, first 2 shown]
	s_waitcnt lgkmcnt(0)
	v_mfma_f32_16x16x8_xf32 v[8:11], v[28:29], v[30:31], v[8:11]
	v_mfma_f32_16x16x8_xf32 v[4:7], v[44:45], v[30:31], v[4:7]
	;; [unrolled: 1-line block ×8, first 2 shown]
	s_andn2_b64 exec, exec, s[42:43]
	s_cbranch_execz .LBB94_89
.LBB94_34:                              ; =>This Inner Loop Header: Depth=1
	v_readlane_b32 vcc_lo, v108, 16
	v_lshl_add_u64 v[26:27], v[24:25], 0, s[2:3]
	global_load_dword v22, v[24:25], off
	global_load_dword v52, v[26:27], off
	v_add_u32_e32 v28, vcc_lo, v94
	v_readlane_b32 vcc_lo, v108, 17
	v_add_u32_e32 v26, s64, v94
	v_ashrrev_i32_e32 v27, 31, v26
	v_add_u32_e32 v32, vcc_lo, v94
	v_readlane_b32 vcc_lo, v108, 18
	v_add_u32_e32 v30, s66, v94
	v_add_u32_e32 v36, s69, v94
	v_add_u32_e32 v34, vcc_lo, v94
	v_lshl_add_u64 v[26:27], v[26:27], 2, v[18:19]
	v_ashrrev_i32_e32 v29, 31, v28
	v_ashrrev_i32_e32 v31, 31, v30
	;; [unrolled: 1-line block ×5, first 2 shown]
	v_lshl_add_u64 v[28:29], v[28:29], 2, v[18:19]
	v_lshl_add_u64 v[30:31], v[30:31], 2, v[18:19]
	v_lshl_add_u64 v[32:33], v[32:33], 2, v[18:19]
	v_lshl_add_u64 v[34:35], v[34:35], 2, v[18:19]
	v_lshl_add_u64 v[36:37], v[36:37], 2, v[18:19]
	global_load_dword v53, v[26:27], off
	global_load_dword v54, v[28:29], off
	;; [unrolled: 1-line block ×6, first 2 shown]
	v_add_u32_e32 v26, s70, v94
	v_add_u32_e32 v44, s79, v94
	;; [unrolled: 1-line block ×10, first 2 shown]
	v_ashrrev_i32_e32 v27, 31, v26
	v_ashrrev_i32_e32 v45, 31, v44
	;; [unrolled: 1-line block ×10, first 2 shown]
	v_lshl_add_u64 v[26:27], v[26:27], 2, v[18:19]
	v_lshl_add_u64 v[44:45], v[44:45], 2, v[18:19]
	v_add_u32_e32 v46, s80, v94
	v_add_u32_e32 v48, s81, v94
	;; [unrolled: 1-line block ×3, first 2 shown]
	v_lshl_add_u64 v[28:29], v[28:29], 2, v[18:19]
	v_lshl_add_u64 v[30:31], v[30:31], 2, v[18:19]
	;; [unrolled: 1-line block ×8, first 2 shown]
	global_load_dword v59, v[26:27], off
	global_load_dword v60, v[28:29], off
	;; [unrolled: 1-line block ×9, first 2 shown]
	s_nop 0
	global_load_dword v44, v[44:45], off
	v_add_u32_e32 v26, s83, v94
	v_ashrrev_i32_e32 v47, 31, v46
	v_ashrrev_i32_e32 v49, 31, v48
	;; [unrolled: 1-line block ×4, first 2 shown]
	v_add_u32_e32 v28, s84, v94
	v_add_u32_e32 v30, s85, v94
	;; [unrolled: 1-line block ×4, first 2 shown]
	v_lshl_add_u64 v[46:47], v[46:47], 2, v[18:19]
	v_lshl_add_u64 v[48:49], v[48:49], 2, v[18:19]
	;; [unrolled: 1-line block ×4, first 2 shown]
	v_ashrrev_i32_e32 v29, 31, v28
	v_ashrrev_i32_e32 v31, 31, v30
	;; [unrolled: 1-line block ×4, first 2 shown]
	v_lshl_add_u64 v[28:29], v[28:29], 2, v[18:19]
	v_lshl_add_u64 v[30:31], v[30:31], 2, v[18:19]
	;; [unrolled: 1-line block ×4, first 2 shown]
	v_add_u32_e32 v36, s93, v94
	v_add_u32_e32 v38, s94, v94
	;; [unrolled: 1-line block ×3, first 2 shown]
	v_ashrrev_i32_e32 v37, 31, v36
	v_ashrrev_i32_e32 v39, 31, v38
	s_waitcnt vmcnt(17)
	ds_write_b32 v96, v22 offset:64
	s_waitcnt vmcnt(16)
	ds_write_b32 v96, v52 offset:328
	;; [unrolled: 2-line block ×8, first 2 shown]
	global_load_dword v22, v[46:47], off
	global_load_dword v45, v[48:49], off
	s_nop 0
	global_load_dword v46, v[50:51], off
	global_load_dword v47, v[26:27], off
	;; [unrolled: 1-line block ×4, first 2 shown]
	s_nop 0
	global_load_dword v50, v[32:33], off
	global_load_dword v51, v[34:35], off
	v_add_u32_e32 v26, s88, v94
	v_ashrrev_i32_e32 v27, 31, v26
	v_add_u32_e32 v28, s89, v94
	v_add_u32_e32 v30, s90, v94
	;; [unrolled: 1-line block ×4, first 2 shown]
	v_lshl_add_u64 v[26:27], v[26:27], 2, v[18:19]
	v_ashrrev_i32_e32 v29, 31, v28
	v_ashrrev_i32_e32 v31, 31, v30
	v_ashrrev_i32_e32 v33, 31, v32
	v_ashrrev_i32_e32 v35, 31, v34
	v_ashrrev_i32_e32 v41, 31, v40
	v_lshl_add_u64 v[28:29], v[28:29], 2, v[18:19]
	v_lshl_add_u64 v[30:31], v[30:31], 2, v[18:19]
	v_lshl_add_u64 v[32:33], v[32:33], 2, v[18:19]
	v_lshl_add_u64 v[34:35], v[34:35], 2, v[18:19]
	v_lshl_add_u64 v[36:37], v[36:37], 2, v[18:19]
	v_lshl_add_u64 v[38:39], v[38:39], 2, v[18:19]
	v_lshl_add_u64 v[40:41], v[40:41], 2, v[18:19]
	global_load_dword v52, v[26:27], off
	global_load_dword v53, v[28:29], off
	global_load_dword v54, v[30:31], off
	global_load_dword v55, v[32:33], off
	global_load_dword v56, v[34:35], off
	global_load_dword v57, v[36:37], off
	global_load_dword v68, v[38:39], off
	global_load_dword v69, v[40:41], off
	v_add_u32_e32 v26, s96, v94
	v_ashrrev_i32_e32 v27, 31, v26
	v_add_u32_e32 v28, s97, v94
	v_add_u32_e32 v30, s98, v94
	v_add_u32_e32 v32, s99, v94
	v_add_u32_e32 v34, s38, v94
	v_add_u32_e32 v36, s39, v94
	v_add_u32_e32 v38, s54, v94
	v_add_u32_e32 v40, s5, v94
	v_lshl_add_u64 v[26:27], v[26:27], 2, v[18:19]
	v_ashrrev_i32_e32 v29, 31, v28
	v_ashrrev_i32_e32 v31, 31, v30
	v_ashrrev_i32_e32 v33, 31, v32
	v_ashrrev_i32_e32 v35, 31, v34
	v_ashrrev_i32_e32 v37, 31, v36
	v_ashrrev_i32_e32 v39, 31, v38
	v_ashrrev_i32_e32 v41, 31, v40
	v_lshl_add_u64 v[28:29], v[28:29], 2, v[18:19]
	v_lshl_add_u64 v[30:31], v[30:31], 2, v[18:19]
	v_lshl_add_u64 v[32:33], v[32:33], 2, v[18:19]
	v_lshl_add_u64 v[34:35], v[34:35], 2, v[18:19]
	v_lshl_add_u64 v[36:37], v[36:37], 2, v[18:19]
	v_lshl_add_u64 v[38:39], v[38:39], 2, v[18:19]
	v_lshl_add_u64 v[40:41], v[40:41], 2, v[18:19]
	global_load_dword v70, v[26:27], off
	global_load_dword v71, v[28:29], off
	global_load_dword v72, v[30:31], off
	global_load_dword v73, v[32:33], off
	global_load_dword v74, v[34:35], off
	global_load_dword v75, v[36:37], off
	global_load_dword v76, v[38:39], off
	global_load_dword v77, v[40:41], off
	v_add_u32_e32 v26, s48, v94
	v_ashrrev_i32_e32 v27, 31, v26
	v_add_u32_e32 v28, s55, v94
	v_add_u32_e32 v30, s56, v94
	v_add_u32_e32 v32, s46, v94
	v_add_u32_e32 v34, s47, v94
	v_add_u32_e32 v36, s57, v94
	v_add_u32_e32 v38, s59, v94
	v_add_u32_e32 v40, s60, v94
	v_lshl_add_u64 v[26:27], v[26:27], 2, v[18:19]
	v_ashrrev_i32_e32 v29, 31, v28
	v_ashrrev_i32_e32 v31, 31, v30
	;; [unrolled: 32-line block ×3, first 2 shown]
	v_ashrrev_i32_e32 v33, 31, v32
	v_ashrrev_i32_e32 v35, 31, v34
	;; [unrolled: 1-line block ×5, first 2 shown]
	v_lshl_add_u64 v[28:29], v[28:29], 2, v[18:19]
	v_lshl_add_u64 v[30:31], v[30:31], 2, v[18:19]
	;; [unrolled: 1-line block ×7, first 2 shown]
	global_load_dword v86, v[26:27], off
	global_load_dword v87, v[28:29], off
	;; [unrolled: 1-line block ×8, first 2 shown]
	v_add_u32_e32 v26, s4, v94
	v_ashrrev_i32_e32 v27, 31, v26
	v_add_u32_e32 v28, s51, v94
	v_add_u32_e32 v30, s58, v94
	v_add_u32_e32 v32, s65, v94
	v_add_u32_e32 v34, s67, v94
	v_add_u32_e32 v36, s68, v94
	v_lshl_add_u64 v[26:27], v[26:27], 2, v[18:19]
	v_ashrrev_i32_e32 v29, 31, v28
	v_ashrrev_i32_e32 v31, 31, v30
	;; [unrolled: 1-line block ×5, first 2 shown]
	v_lshl_add_u64 v[28:29], v[28:29], 2, v[18:19]
	v_lshl_add_u64 v[30:31], v[30:31], 2, v[18:19]
	;; [unrolled: 1-line block ×5, first 2 shown]
	global_load_dword v102, v[26:27], off
	global_load_dword v103, v[28:29], off
	;; [unrolled: 1-line block ×6, first 2 shown]
	s_waitcnt vmcnt(55)
	ds_write_b32 v96, v59 offset:2176
	s_waitcnt vmcnt(54)
	ds_write_b32 v96, v60 offset:2440
	s_waitcnt vmcnt(53)
	ds_write_b32 v96, v61 offset:2704
	s_waitcnt vmcnt(52)
	ds_write_b32 v96, v62 offset:2968
	s_waitcnt vmcnt(51)
	ds_write_b32 v96, v63 offset:3232
	s_waitcnt vmcnt(50)
	ds_write_b32 v96, v64 offset:3496
	s_waitcnt vmcnt(49)
	ds_write_b32 v96, v65 offset:3760
	s_waitcnt vmcnt(48)
	ds_write_b32 v96, v66 offset:4024
	ds_read_b64 v[42:43], v97 offset:64
	ds_read_b64 v[38:39], v97 offset:96
	ds_read_b64 v[36:37], v97 offset:128
	ds_read_b64 v[34:35], v97 offset:160
	ds_read_b64 v[32:33], v97 offset:192
	ds_read_b64 v[30:31], v97 offset:224
	ds_read_b64 v[28:29], v97 offset:256
	ds_read_b64 v[26:27], v97 offset:288
	s_waitcnt vmcnt(47)
	ds_write_b32 v96, v67 offset:64
	s_waitcnt vmcnt(46)
	ds_write_b32 v96, v44 offset:328
	s_waitcnt vmcnt(45)
	ds_write_b32 v96, v22 offset:592
	s_waitcnt vmcnt(44)
	ds_write_b32 v96, v45 offset:856
	s_waitcnt vmcnt(43)
	ds_write_b32 v96, v46 offset:1120
	s_waitcnt vmcnt(42)
	ds_write_b32 v96, v47 offset:1384
	s_waitcnt vmcnt(41)
	ds_write_b32 v96, v48 offset:1648
	s_waitcnt vmcnt(40)
	ds_write_b32 v96, v49 offset:1912
	s_waitcnt vmcnt(39)
	ds_write_b32 v96, v50 offset:2176
	s_waitcnt vmcnt(38)
	ds_write_b32 v96, v51 offset:2440
	s_waitcnt vmcnt(37)
	ds_write_b32 v96, v52 offset:2704
	s_waitcnt vmcnt(36)
	ds_write_b32 v96, v53 offset:2968
	s_waitcnt vmcnt(35)
	ds_write_b32 v96, v54 offset:3232
	s_waitcnt vmcnt(34)
	ds_write_b32 v96, v55 offset:3496
	s_waitcnt vmcnt(33)
	ds_write_b32 v96, v56 offset:3760
	s_waitcnt vmcnt(32)
	ds_write_b32 v96, v57 offset:4024
	ds_read_b64 v[58:59], v97 offset:64
	ds_read_b64 v[54:55], v97 offset:96
	ds_read_b64 v[52:53], v97 offset:128
	ds_read_b64 v[50:51], v97 offset:160
	ds_read_b64 v[48:49], v97 offset:192
	ds_read_b64 v[46:47], v97 offset:224
	ds_read_b64 v[44:45], v97 offset:256
	ds_read_b64 v[40:41], v97 offset:288
	s_waitcnt vmcnt(31)
	ds_write_b32 v96, v68 offset:64
	s_waitcnt vmcnt(30)
	ds_write_b32 v96, v69 offset:328
	s_waitcnt vmcnt(29)
	ds_write_b32 v96, v70 offset:592
	s_waitcnt vmcnt(28)
	ds_write_b32 v96, v71 offset:856
	s_waitcnt vmcnt(27)
	ds_write_b32 v96, v72 offset:1120
	s_waitcnt vmcnt(26)
	ds_write_b32 v96, v73 offset:1384
	s_waitcnt vmcnt(25)
	ds_write_b32 v96, v74 offset:1648
	s_waitcnt vmcnt(24)
	ds_write_b32 v96, v75 offset:1912
	;; [unrolled: 40-line block ×3, first 2 shown]
	s_waitcnt vmcnt(7)
	ds_write_b32 v96, v100 offset:2176
	s_waitcnt vmcnt(6)
	ds_write_b32 v96, v101 offset:2440
	;; [unrolled: 2-line block ×8, first 2 shown]
	ds_read_b64 v[88:89], v97 offset:64
	ds_read_b64 v[86:87], v97 offset:96
	;; [unrolled: 1-line block ×8, first 2 shown]
	s_andn2_b64 vcc, exec, s[0:1]
	v_mov_b32_e32 v22, 0
	s_cbranch_vccnz .LBB94_38
; %bb.35:                               ;   in Loop: Header=BB94_34 Depth=1
	ds_read_b32 v22, v95
	s_waitcnt lgkmcnt(0)
	v_cmp_gt_i32_e32 vcc, 0, v22
	s_cbranch_vccnz .LBB94_37
; %bb.36:                               ;   in Loop: Header=BB94_34 Depth=1
	v_mul_lo_u32 v22, v22, s49
	v_add_u32_e32 v98, v94, v22
	v_ashrrev_i32_e32 v99, 31, v98
	v_lshl_add_u64 v[98:99], v[98:99], 2, v[20:21]
	global_load_dword v22, v[98:99], off
	s_branch .LBB94_38
.LBB94_37:                              ;   in Loop: Header=BB94_34 Depth=1
	v_mov_b32_e32 v22, 0
.LBB94_38:                              ;   in Loop: Header=BB94_34 Depth=1
	s_waitcnt vmcnt(0)
	ds_write_b32 v96, v22 offset:64
	s_andn2_b64 vcc, exec, s[6:7]
	v_mov_b32_e32 v22, 0
	v_mov_b32_e32 v98, 0
	s_cbranch_vccnz .LBB94_41
; %bb.39:                               ;   in Loop: Header=BB94_34 Depth=1
	ds_read_b32 v98, v95 offset:4
	s_waitcnt lgkmcnt(0)
	v_cmp_gt_i32_e32 vcc, 0, v98
	s_cbranch_vccnz .LBB94_44
; %bb.40:                               ;   in Loop: Header=BB94_34 Depth=1
	v_mul_lo_u32 v98, v98, s49
	v_add_u32_e32 v98, s44, v98
	v_add_u32_e32 v98, v98, v94
	v_ashrrev_i32_e32 v99, 31, v98
	v_lshl_add_u64 v[98:99], v[98:99], 2, v[20:21]
	global_load_dword v98, v[98:99], off
.LBB94_41:                              ;   in Loop: Header=BB94_34 Depth=1
	s_andn2_b64 vcc, exec, s[8:9]
	s_waitcnt vmcnt(0)
	ds_write_b32 v96, v98 offset:328
	s_cbranch_vccnz .LBB94_46
.LBB94_42:                              ;   in Loop: Header=BB94_34 Depth=1
	ds_read_b32 v22, v95 offset:8
	s_waitcnt lgkmcnt(0)
	v_cmp_gt_i32_e32 vcc, 0, v22
	s_cbranch_vccnz .LBB94_45
; %bb.43:                               ;   in Loop: Header=BB94_34 Depth=1
	v_mul_lo_u32 v22, v22, s49
	v_add_u32_e32 v22, s41, v22
	v_add_u32_e32 v98, v22, v94
	v_ashrrev_i32_e32 v99, 31, v98
	v_lshl_add_u64 v[98:99], v[98:99], 2, v[20:21]
	global_load_dword v22, v[98:99], off
	s_branch .LBB94_46
.LBB94_44:                              ;   in Loop: Header=BB94_34 Depth=1
	v_mov_b32_e32 v98, 0
	s_andn2_b64 vcc, exec, s[8:9]
	ds_write_b32 v96, v98 offset:328
	s_cbranch_vccz .LBB94_42
	s_branch .LBB94_46
.LBB94_45:                              ;   in Loop: Header=BB94_34 Depth=1
	v_mov_b32_e32 v22, 0
.LBB94_46:                              ;   in Loop: Header=BB94_34 Depth=1
	s_waitcnt vmcnt(0)
	ds_write_b32 v96, v22 offset:592
	s_andn2_b64 vcc, exec, s[10:11]
	v_mov_b32_e32 v22, 0
	v_mov_b32_e32 v98, 0
	s_cbranch_vccnz .LBB94_49
; %bb.47:                               ;   in Loop: Header=BB94_34 Depth=1
	ds_read_b32 v98, v95 offset:12
	s_waitcnt lgkmcnt(0)
	v_cmp_gt_i32_e32 vcc, 0, v98
	s_cbranch_vccnz .LBB94_52
; %bb.48:                               ;   in Loop: Header=BB94_34 Depth=1
	v_mul_lo_u32 v98, v98, s49
	s_mul_i32 vcc_lo, s44, 3
	v_add_u32_e32 v98, vcc_lo, v98
	v_add_u32_e32 v98, v98, v94
	v_ashrrev_i32_e32 v99, 31, v98
	v_lshl_add_u64 v[98:99], v[98:99], 2, v[20:21]
	global_load_dword v98, v[98:99], off
.LBB94_49:                              ;   in Loop: Header=BB94_34 Depth=1
	s_andn2_b64 vcc, exec, s[12:13]
	s_waitcnt vmcnt(0)
	ds_write_b32 v96, v98 offset:856
	s_cbranch_vccnz .LBB94_54
.LBB94_50:                              ;   in Loop: Header=BB94_34 Depth=1
	ds_read_b32 v22, v95 offset:16
	s_waitcnt lgkmcnt(0)
	v_cmp_gt_i32_e32 vcc, 0, v22
	s_cbranch_vccnz .LBB94_53
; %bb.51:                               ;   in Loop: Header=BB94_34 Depth=1
	v_mul_lo_u32 v22, v22, s49
	v_readlane_b32 vcc_lo, v108, 14
	s_nop 1
	v_add_u32_e32 v22, vcc_lo, v22
	v_add_u32_e32 v98, v22, v94
	v_ashrrev_i32_e32 v99, 31, v98
	v_lshl_add_u64 v[98:99], v[98:99], 2, v[20:21]
	global_load_dword v22, v[98:99], off
	s_branch .LBB94_54
.LBB94_52:                              ;   in Loop: Header=BB94_34 Depth=1
	v_mov_b32_e32 v98, 0
	s_andn2_b64 vcc, exec, s[12:13]
	ds_write_b32 v96, v98 offset:856
	s_cbranch_vccz .LBB94_50
	s_branch .LBB94_54
.LBB94_53:                              ;   in Loop: Header=BB94_34 Depth=1
	v_mov_b32_e32 v22, 0
.LBB94_54:                              ;   in Loop: Header=BB94_34 Depth=1
	s_waitcnt vmcnt(0)
	ds_write_b32 v96, v22 offset:1120
	s_andn2_b64 vcc, exec, s[14:15]
	v_mov_b32_e32 v22, 0
	v_mov_b32_e32 v98, 0
	s_cbranch_vccnz .LBB94_57
; %bb.55:                               ;   in Loop: Header=BB94_34 Depth=1
	ds_read_b32 v98, v95 offset:20
	s_waitcnt lgkmcnt(0)
	v_cmp_gt_i32_e32 vcc, 0, v98
	s_cbranch_vccnz .LBB94_60
; %bb.56:                               ;   in Loop: Header=BB94_34 Depth=1
	v_mul_lo_u32 v98, v98, s49
	s_mul_i32 vcc_lo, s44, 5
	v_add_u32_e32 v98, vcc_lo, v98
	v_add_u32_e32 v98, v98, v94
	v_ashrrev_i32_e32 v99, 31, v98
	v_lshl_add_u64 v[98:99], v[98:99], 2, v[20:21]
	global_load_dword v98, v[98:99], off
.LBB94_57:                              ;   in Loop: Header=BB94_34 Depth=1
	s_andn2_b64 vcc, exec, s[16:17]
	s_waitcnt vmcnt(0)
	ds_write_b32 v96, v98 offset:1384
	s_cbranch_vccnz .LBB94_62
.LBB94_58:                              ;   in Loop: Header=BB94_34 Depth=1
	ds_read_b32 v22, v95 offset:24
	s_waitcnt lgkmcnt(0)
	v_cmp_gt_i32_e32 vcc, 0, v22
	s_cbranch_vccnz .LBB94_61
; %bb.59:                               ;   in Loop: Header=BB94_34 Depth=1
	v_mul_lo_u32 v22, v22, s49
	s_mul_i32 vcc_lo, s44, 6
	v_add_u32_e32 v22, vcc_lo, v22
	v_add_u32_e32 v98, v22, v94
	v_ashrrev_i32_e32 v99, 31, v98
	v_lshl_add_u64 v[98:99], v[98:99], 2, v[20:21]
	global_load_dword v22, v[98:99], off
	s_branch .LBB94_62
.LBB94_60:                              ;   in Loop: Header=BB94_34 Depth=1
	v_mov_b32_e32 v98, 0
	s_andn2_b64 vcc, exec, s[16:17]
	ds_write_b32 v96, v98 offset:1384
	s_cbranch_vccz .LBB94_58
	s_branch .LBB94_62
.LBB94_61:                              ;   in Loop: Header=BB94_34 Depth=1
	v_mov_b32_e32 v22, 0
.LBB94_62:                              ;   in Loop: Header=BB94_34 Depth=1
	s_waitcnt vmcnt(0)
	ds_write_b32 v96, v22 offset:1648
	s_andn2_b64 vcc, exec, s[18:19]
	v_mov_b32_e32 v22, 0
	v_mov_b32_e32 v98, 0
	s_cbranch_vccnz .LBB94_65
; %bb.63:                               ;   in Loop: Header=BB94_34 Depth=1
	ds_read_b32 v98, v95 offset:28
	s_waitcnt lgkmcnt(0)
	v_cmp_gt_i32_e32 vcc, 0, v98
	s_cbranch_vccnz .LBB94_68
; %bb.64:                               ;   in Loop: Header=BB94_34 Depth=1
	v_mul_lo_u32 v98, v98, s49
	s_mul_i32 vcc_lo, s44, 7
	v_add_u32_e32 v98, vcc_lo, v98
	v_add_u32_e32 v98, v98, v94
	v_ashrrev_i32_e32 v99, 31, v98
	v_lshl_add_u64 v[98:99], v[98:99], 2, v[20:21]
	global_load_dword v98, v[98:99], off
.LBB94_65:                              ;   in Loop: Header=BB94_34 Depth=1
	s_andn2_b64 vcc, exec, s[20:21]
	s_waitcnt vmcnt(0)
	ds_write_b32 v96, v98 offset:1912
	s_cbranch_vccnz .LBB94_70
.LBB94_66:                              ;   in Loop: Header=BB94_34 Depth=1
	ds_read_b32 v22, v95 offset:32
	s_waitcnt lgkmcnt(0)
	v_cmp_gt_i32_e32 vcc, 0, v22
	s_cbranch_vccnz .LBB94_69
; %bb.67:                               ;   in Loop: Header=BB94_34 Depth=1
	v_mul_lo_u32 v22, v22, s49
	v_readlane_b32 vcc_lo, v108, 15
	s_nop 1
	v_add_u32_e32 v22, vcc_lo, v22
	v_add_u32_e32 v98, v22, v94
	v_ashrrev_i32_e32 v99, 31, v98
	v_lshl_add_u64 v[98:99], v[98:99], 2, v[20:21]
	global_load_dword v22, v[98:99], off
	s_branch .LBB94_70
.LBB94_68:                              ;   in Loop: Header=BB94_34 Depth=1
	v_mov_b32_e32 v98, 0
	s_andn2_b64 vcc, exec, s[20:21]
	ds_write_b32 v96, v98 offset:1912
	s_cbranch_vccz .LBB94_66
	s_branch .LBB94_70
.LBB94_69:                              ;   in Loop: Header=BB94_34 Depth=1
	v_mov_b32_e32 v22, 0
.LBB94_70:                              ;   in Loop: Header=BB94_34 Depth=1
	s_waitcnt vmcnt(0)
	ds_write_b32 v96, v22 offset:2176
	s_andn2_b64 vcc, exec, s[22:23]
	v_mov_b32_e32 v22, 0
	v_mov_b32_e32 v98, 0
	s_cbranch_vccnz .LBB94_73
; %bb.71:                               ;   in Loop: Header=BB94_34 Depth=1
	ds_read_b32 v98, v95 offset:36
	s_waitcnt lgkmcnt(0)
	v_cmp_gt_i32_e32 vcc, 0, v98
	s_cbranch_vccnz .LBB94_76
; %bb.72:                               ;   in Loop: Header=BB94_34 Depth=1
	v_mul_lo_u32 v98, v98, s49
	s_mul_i32 vcc_lo, s44, 9
	v_add_u32_e32 v98, vcc_lo, v98
	v_add_u32_e32 v98, v98, v94
	v_ashrrev_i32_e32 v99, 31, v98
	v_lshl_add_u64 v[98:99], v[98:99], 2, v[20:21]
	global_load_dword v98, v[98:99], off
.LBB94_73:                              ;   in Loop: Header=BB94_34 Depth=1
	s_andn2_b64 vcc, exec, s[24:25]
	s_waitcnt vmcnt(0)
	ds_write_b32 v96, v98 offset:2440
	s_cbranch_vccnz .LBB94_78
.LBB94_74:                              ;   in Loop: Header=BB94_34 Depth=1
	ds_read_b32 v22, v95 offset:40
	s_waitcnt lgkmcnt(0)
	v_cmp_gt_i32_e32 vcc, 0, v22
	s_cbranch_vccnz .LBB94_77
; %bb.75:                               ;   in Loop: Header=BB94_34 Depth=1
	v_mul_lo_u32 v22, v22, s49
	s_mul_i32 vcc_lo, s44, 10
	v_add_u32_e32 v22, vcc_lo, v22
	v_add_u32_e32 v98, v22, v94
	v_ashrrev_i32_e32 v99, 31, v98
	v_lshl_add_u64 v[98:99], v[98:99], 2, v[20:21]
	global_load_dword v22, v[98:99], off
	s_branch .LBB94_78
.LBB94_76:                              ;   in Loop: Header=BB94_34 Depth=1
	v_mov_b32_e32 v98, 0
	s_andn2_b64 vcc, exec, s[24:25]
	ds_write_b32 v96, v98 offset:2440
	s_cbranch_vccz .LBB94_74
	s_branch .LBB94_78
.LBB94_77:                              ;   in Loop: Header=BB94_34 Depth=1
	v_mov_b32_e32 v22, 0
.LBB94_78:                              ;   in Loop: Header=BB94_34 Depth=1
	s_waitcnt vmcnt(0)
	ds_write_b32 v96, v22 offset:2704
	s_andn2_b64 vcc, exec, s[26:27]
	v_mov_b32_e32 v22, 0
	v_mov_b32_e32 v98, 0
	s_cbranch_vccz .LBB94_81
; %bb.79:                               ;   in Loop: Header=BB94_34 Depth=1
	s_andn2_b64 vcc, exec, s[28:29]
	ds_write_b32 v96, v98 offset:2968
	s_cbranch_vccz .LBB94_84
.LBB94_80:                              ;   in Loop: Header=BB94_34 Depth=1
	ds_write_b32 v96, v22 offset:3232
	s_andn2_b64 vcc, exec, s[30:31]
	v_mov_b32_e32 v22, 0
	s_cbranch_vccnz .LBB94_33
	s_branch .LBB94_87
.LBB94_81:                              ;   in Loop: Header=BB94_34 Depth=1
	ds_read_b32 v98, v95 offset:44
	s_waitcnt lgkmcnt(0)
	v_cmp_gt_i32_e32 vcc, 0, v98
	s_cbranch_vccnz .LBB94_83
; %bb.82:                               ;   in Loop: Header=BB94_34 Depth=1
	v_mul_lo_u32 v98, v98, s49
	s_mul_i32 vcc_lo, s44, 11
	v_add_u32_e32 v98, vcc_lo, v98
	v_add_u32_e32 v98, v98, v94
	v_ashrrev_i32_e32 v99, 31, v98
	v_lshl_add_u64 v[98:99], v[98:99], 2, v[20:21]
	global_load_dword v98, v[98:99], off
	s_andn2_b64 vcc, exec, s[28:29]
	s_waitcnt vmcnt(0)
	ds_write_b32 v96, v98 offset:2968
	s_cbranch_vccnz .LBB94_80
	s_branch .LBB94_84
.LBB94_83:                              ;   in Loop: Header=BB94_34 Depth=1
	v_mov_b32_e32 v98, 0
	s_andn2_b64 vcc, exec, s[28:29]
	ds_write_b32 v96, v98 offset:2968
	s_cbranch_vccnz .LBB94_80
.LBB94_84:                              ;   in Loop: Header=BB94_34 Depth=1
	ds_read_b32 v22, v95 offset:48
	s_waitcnt lgkmcnt(0)
	v_cmp_gt_i32_e32 vcc, 0, v22
	s_cbranch_vccnz .LBB94_86
; %bb.85:                               ;   in Loop: Header=BB94_34 Depth=1
	v_mul_lo_u32 v22, v22, s49
	s_mul_i32 vcc_lo, s44, 12
	v_add_u32_e32 v22, vcc_lo, v22
	v_add_u32_e32 v98, v22, v94
	v_ashrrev_i32_e32 v99, 31, v98
	v_lshl_add_u64 v[98:99], v[98:99], 2, v[20:21]
	global_load_dword v22, v[98:99], off
	s_waitcnt vmcnt(0)
	ds_write_b32 v96, v22 offset:3232
	s_andn2_b64 vcc, exec, s[30:31]
	v_mov_b32_e32 v22, 0
	s_cbranch_vccnz .LBB94_33
	s_branch .LBB94_87
.LBB94_86:                              ;   in Loop: Header=BB94_34 Depth=1
	v_mov_b32_e32 v22, 0
	ds_write_b32 v96, v22 offset:3232
	s_andn2_b64 vcc, exec, s[30:31]
	v_mov_b32_e32 v22, 0
	s_cbranch_vccnz .LBB94_33
.LBB94_87:                              ;   in Loop: Header=BB94_34 Depth=1
	ds_read_b32 v22, v95 offset:52
	s_waitcnt lgkmcnt(0)
	v_cmp_gt_i32_e32 vcc, 0, v22
	s_cbranch_vccz .LBB94_32
; %bb.88:                               ;   in Loop: Header=BB94_34 Depth=1
	v_mov_b32_e32 v22, 0
	s_branch .LBB94_33
.LBB94_89:
	s_or_b64 exec, exec, s[42:43]
	v_readlane_b32 s24, v108, 6
	v_readlane_b32 s28, v108, 10
	;; [unrolled: 1-line block ×8, first 2 shown]
.LBB94_90:
	s_waitcnt lgkmcnt(0)
	v_readlane_b32 s0, v108, 4
	v_readlane_b32 s1, v108, 5
	s_or_b64 exec, exec, s[0:1]
	v_mul_u32_u24_e32 v18, 0x708, v93
	s_movk_i32 s1, 0x100
	v_lshlrev_b32_e32 v19, 2, v92
	v_add3_u32 v18, s1, v18, v19
	v_and_b32_e32 v20, 0x3f0, v16
	v_add_u32_e32 v21, v18, v20
	s_barrier
	v_add_u32_e32 v19, 64, v18
	ds_write2_b32 v21, v8, v9 offset0:16 offset1:17
	v_or_b32_e32 v9, 12, v16
	v_add_u32_e32 v8, v19, v20
	v_and_b32_e32 v9, 0x3fc, v9
	ds_write_b32 v8, v10 offset:8
	v_add_u32_e32 v10, v18, v9
	ds_write_b32 v10, v11 offset:64
	ds_write2_b32 v8, v4, v5 offset0:16 offset1:17
	ds_write_b32 v8, v6 offset:72
	v_add_u32_e32 v4, v19, v9
	ds_write_b32 v4, v7 offset:64
	ds_write2_b32 v8, v0, v1 offset0:32 offset1:33
	ds_write_b32 v8, v2 offset:136
	ds_write_b32 v4, v3 offset:128
	ds_write2_b32 v8, v12, v13 offset0:48 offset1:49
	ds_write_b32 v8, v14 offset:200
	ds_write_b32 v4, v15 offset:192
	v_mov_b32_e32 v0, 0x100
	s_movk_i32 s0, 0x708
	v_lshl_add_u32 v9, v16, 2, v0
	v_mad_u32_u24 v1, v17, s0, v9
	v_add_u32_e32 v4, 64, v1
	s_waitcnt lgkmcnt(0)
	s_barrier
	ds_read2_b32 v[6:7], v1 offset0:16 offset1:80
	ds_read2_b32 v[2:3], v1 offset0:144 offset1:208
	ds_read2st64_b32 v[4:5], v4 offset0:4 offset1:5
	ds_read_b32 v10, v1 offset:1600
	v_cmp_gt_u32_e32 vcc, 14, v17
	v_mov_b32_e32 v11, -1
	s_and_saveexec_b64 s[0:1], vcc
	s_cbranch_execz .LBB94_92
; %bb.91:
	v_lshl_add_u32 v0, v17, 2, v0
	ds_read_b32 v11, v0
.LBB94_92:
	s_or_b64 exec, exec, s[0:1]
	s_mul_hi_i32 s1, s30, s4
	s_mul_i32 s0, s30, s4
	s_lshl_b64 s[0:1], s[0:1], 2
	v_readlane_b32 s2, v108, 2
	v_mul_hi_i32 v1, v90, s45
	v_mul_lo_u32 v0, v90, s45
	v_readlane_b32 s3, v108, 3
	s_add_u32 s0, s2, s0
	s_addc_u32 s1, s3, s1
	v_lshlrev_b64 v[0:1], 2, v[0:1]
	s_waitcnt lgkmcnt(0)
	v_cmp_lt_i32_e32 vcc, -1, v11
	v_mul_u32_u24_e32 v12, 0x708, v17
	v_add_u32_e32 v8, s6, v16
	v_lshl_add_u64 v[0:1], s[0:1], 0, v[0:1]
	s_and_b64 s[2:3], vcc, s[24:25]
	s_and_saveexec_b64 s[0:1], s[2:3]
	s_cbranch_execz .LBB94_94
; %bb.93:
	v_add_f32_e32 v6, 0, v6
	v_add_f32_e32 v6, v6, v7
	;; [unrolled: 1-line block ×7, first 2 shown]
	v_mul_lo_u32 v2, v11, s50
	v_mul_lo_u32 v3, v17, s45
	v_add3_u32 v2, v8, v3, v2
	v_mov_b32_e32 v3, 0
	v_lshl_add_u64 v[2:3], v[2:3], 2, v[0:1]
	global_store_dword v[2:3], v4, off
.LBB94_94:
	s_or_b64 exec, exec, s[0:1]
	v_add_u32_e32 v9, v12, v9
	v_add_u32_e32 v2, 0x78, v9
	ds_read2st64_b32 v[6:7], v2 offset0:49 offset1:50
	ds_read2st64_b32 v[4:5], v2 offset0:51 offset1:52
	;; [unrolled: 1-line block ×3, first 2 shown]
	ds_read_b32 v9, v9 offset:14200
	v_cmp_gt_u32_e32 vcc, 7, v17
	v_mov_b32_e32 v10, -1
	s_and_saveexec_b64 s[0:1], vcc
	s_cbranch_execz .LBB94_96
; %bb.95:
	v_mov_b32_e32 v10, 0x100
	v_lshl_add_u32 v10, v17, 2, v10
	ds_read_b32 v10, v10 offset:28
.LBB94_96:
	s_or_b64 exec, exec, s[0:1]
	v_readlane_b32 s0, v108, 0
	s_waitcnt lgkmcnt(0)
	v_cmp_lt_i32_e32 vcc, -1, v10
	v_readlane_b32 s1, v108, 1
	s_and_b64 s[0:1], vcc, s[0:1]
	s_and_saveexec_b64 s[2:3], s[0:1]
	s_cbranch_execz .LBB94_98
; %bb.97:
	v_add_f32_e32 v6, 0, v6
	v_add_f32_e32 v6, v6, v7
	;; [unrolled: 1-line block ×7, first 2 shown]
	v_mul_lo_u32 v2, v10, s50
	v_mul_lo_u32 v3, v91, s45
	v_add3_u32 v2, v8, v3, v2
	v_mov_b32_e32 v3, 0
	v_lshl_add_u64 v[0:1], v[2:3], 2, v[0:1]
	global_store_dword v[0:1], v4, off
.LBB94_98:
	s_endpgm
	.section	.rodata,"a",@progbits
	.p2align	6, 0x0
	.amdhsa_kernel _ZL9mul_mat_fIfLi64ELi14ELi7ELb1EEvPKT_PKfPKiPfiiiiiiiiiiiiiiii
		.amdhsa_group_segment_fixed_size 256
		.amdhsa_private_segment_fixed_size 0
		.amdhsa_kernarg_size 352
		.amdhsa_user_sgpr_count 2
		.amdhsa_user_sgpr_dispatch_ptr 0
		.amdhsa_user_sgpr_queue_ptr 0
		.amdhsa_user_sgpr_kernarg_segment_ptr 1
		.amdhsa_user_sgpr_dispatch_id 0
		.amdhsa_user_sgpr_kernarg_preload_length 0
		.amdhsa_user_sgpr_kernarg_preload_offset 0
		.amdhsa_user_sgpr_private_segment_size 0
		.amdhsa_uses_dynamic_stack 0
		.amdhsa_enable_private_segment 0
		.amdhsa_system_sgpr_workgroup_id_x 1
		.amdhsa_system_sgpr_workgroup_id_y 1
		.amdhsa_system_sgpr_workgroup_id_z 1
		.amdhsa_system_sgpr_workgroup_info 0
		.amdhsa_system_vgpr_workitem_id 2
		.amdhsa_next_free_vgpr 109
		.amdhsa_next_free_sgpr 100
		.amdhsa_accum_offset 112
		.amdhsa_reserve_vcc 1
		.amdhsa_float_round_mode_32 0
		.amdhsa_float_round_mode_16_64 0
		.amdhsa_float_denorm_mode_32 3
		.amdhsa_float_denorm_mode_16_64 3
		.amdhsa_dx10_clamp 1
		.amdhsa_ieee_mode 1
		.amdhsa_fp16_overflow 0
		.amdhsa_tg_split 0
		.amdhsa_exception_fp_ieee_invalid_op 0
		.amdhsa_exception_fp_denorm_src 0
		.amdhsa_exception_fp_ieee_div_zero 0
		.amdhsa_exception_fp_ieee_overflow 0
		.amdhsa_exception_fp_ieee_underflow 0
		.amdhsa_exception_fp_ieee_inexact 0
		.amdhsa_exception_int_div_zero 0
	.end_amdhsa_kernel
	.section	.text._ZL9mul_mat_fIfLi64ELi14ELi7ELb1EEvPKT_PKfPKiPfiiiiiiiiiiiiiiii,"axG",@progbits,_ZL9mul_mat_fIfLi64ELi14ELi7ELb1EEvPKT_PKfPKiPfiiiiiiiiiiiiiiii,comdat
.Lfunc_end94:
	.size	_ZL9mul_mat_fIfLi64ELi14ELi7ELb1EEvPKT_PKfPKiPfiiiiiiiiiiiiiiii, .Lfunc_end94-_ZL9mul_mat_fIfLi64ELi14ELi7ELb1EEvPKT_PKfPKiPfiiiiiiiiiiiiiiii
                                        ; -- End function
	.section	.AMDGPU.csdata,"",@progbits
; Kernel info:
; codeLenInByte = 7556
; NumSgprs: 106
; NumVgprs: 109
; NumAgprs: 0
; TotalNumVgprs: 109
; ScratchSize: 0
; MemoryBound: 0
; FloatMode: 240
; IeeeMode: 1
; LDSByteSize: 256 bytes/workgroup (compile time only)
; SGPRBlocks: 13
; VGPRBlocks: 13
; NumSGPRsForWavesPerEU: 106
; NumVGPRsForWavesPerEU: 109
; AccumOffset: 112
; Occupancy: 4
; WaveLimiterHint : 0
; COMPUTE_PGM_RSRC2:SCRATCH_EN: 0
; COMPUTE_PGM_RSRC2:USER_SGPR: 2
; COMPUTE_PGM_RSRC2:TRAP_HANDLER: 0
; COMPUTE_PGM_RSRC2:TGID_X_EN: 1
; COMPUTE_PGM_RSRC2:TGID_Y_EN: 1
; COMPUTE_PGM_RSRC2:TGID_Z_EN: 1
; COMPUTE_PGM_RSRC2:TIDIG_COMP_CNT: 2
; COMPUTE_PGM_RSRC3_GFX90A:ACCUM_OFFSET: 27
; COMPUTE_PGM_RSRC3_GFX90A:TG_SPLIT: 0
	.section	.text._ZL9mul_mat_fIfLi64ELi14ELi7ELb0EEvPKT_PKfPKiPfiiiiiiiiiiiiiiii,"axG",@progbits,_ZL9mul_mat_fIfLi64ELi14ELi7ELb0EEvPKT_PKfPKiPfiiiiiiiiiiiiiiii,comdat
	.globl	_ZL9mul_mat_fIfLi64ELi14ELi7ELb0EEvPKT_PKfPKiPfiiiiiiiiiiiiiiii ; -- Begin function _ZL9mul_mat_fIfLi64ELi14ELi7ELb0EEvPKT_PKfPKiPfiiiiiiiiiiiiiiii
	.p2align	8
	.type	_ZL9mul_mat_fIfLi64ELi14ELi7ELb0EEvPKT_PKfPKiPfiiiiiiiiiiiiiiii,@function
_ZL9mul_mat_fIfLi64ELi14ELi7ELb0EEvPKT_PKfPKiPfiiiiiiiiiiiiiiii: ; @_ZL9mul_mat_fIfLi64ELi14ELi7ELb0EEvPKT_PKfPKiPfiiiiiiiiiiiiiiii
; %bb.0:
	s_load_dword s5, s[0:1], 0x20
	s_load_dwordx4 s[16:19], s[0:1], 0x2c
	v_bfe_u32 v64, v0, 10, 10
	v_lshlrev_b32_e32 v66, 6, v64
	v_and_b32_e32 v65, 0x3ff, v0
	v_add_u32_e32 v68, v66, v65
	s_mov_b32 s20, 0
	s_waitcnt lgkmcnt(0)
	s_ashr_i32 s19, s4, 31
	v_cmp_le_i32_e32 vcc, s5, v68
	v_and_b32_e32 v67, 15, v65
	s_and_saveexec_b64 s[6:7], vcc
	s_xor_b64 s[6:7], exec, s[6:7]
; %bb.1:
	v_and_b32_e32 v67, 15, v65
                                        ; implicit-def: $vgpr68
; %bb.2:
	s_or_saveexec_b64 s[24:25], s[6:7]
	s_load_dwordx8 s[8:15], s[0:1], 0x40
	s_load_dwordx2 s[6:7], s[0:1], 0x18
	s_lshl_b32 s2, s2, 6
	v_mov_b32_e32 v11, s20
	v_lshlrev_b32_e32 v16, 2, v65
	v_mov_b32_e32 v10, s20
	v_mov_b32_e32 v9, s20
	;; [unrolled: 1-line block ×15, first 2 shown]
	s_xor_b64 exec, exec, s[24:25]
	s_cbranch_execz .LBB95_6
; %bb.3:
	s_waitcnt lgkmcnt(0)
	s_abs_i32 s26, s8
	v_cvt_f32_u32_e32 v0, s26
	s_abs_i32 s27, s12
	v_cvt_f32_u32_e32 v1, s27
	s_sub_i32 s20, 0, s26
	v_rcp_iflag_f32_e32 v0, v0
	s_abs_i32 s28, s3
	v_rcp_iflag_f32_e32 v1, v1
	s_sub_i32 s21, 0, s27
	v_mul_f32_e32 v0, 0x4f7ffffe, v0
	v_cvt_u32_f32_e32 v0, v0
	v_mul_f32_e32 v1, 0x4f7ffffe, v1
	v_cvt_u32_f32_e32 v1, v1
	s_abs_i32 s29, s4
	v_mul_lo_u32 v2, s20, v0
	v_mul_hi_u32 v2, v0, v2
	v_add_u32_e32 v0, v0, v2
	v_mul_hi_u32 v0, s28, v0
	v_mul_lo_u32 v3, s21, v1
	v_mul_lo_u32 v2, v0, s26
	v_mul_hi_u32 v3, v1, v3
	v_sub_u32_e32 v2, s28, v2
	v_add_u32_e32 v1, v1, v3
	v_add_u32_e32 v3, 1, v0
	v_subrev_u32_e32 v4, s26, v2
	v_cmp_le_u32_e32 vcc, s26, v2
	s_load_dwordx4 s[20:23], s[0:1], 0x0
	s_ashr_i32 s0, s3, 31
	v_cndmask_b32_e32 v0, v0, v3, vcc
	v_cndmask_b32_e32 v2, v2, v4, vcc
	s_ashr_i32 s1, s8, 31
	v_add_u32_e32 v3, 1, v0
	v_cmp_le_u32_e32 vcc, s26, v2
	s_xor_b32 s0, s0, s1
	v_mul_hi_u32 v1, s29, v1
	v_cndmask_b32_e32 v0, v0, v3, vcc
	v_xor_b32_e32 v0, s0, v0
	v_subrev_u32_e32 v2, s0, v0
	v_mul_lo_u32 v0, v1, s27
	v_sub_u32_e32 v0, s29, v0
	v_add_u32_e32 v3, 1, v1
	v_subrev_u32_e32 v4, s27, v0
	v_cmp_le_u32_e32 vcc, s27, v0
	s_ashr_i32 s8, s12, 31
	s_xor_b32 s0, s19, s8
	v_cndmask_b32_e32 v1, v1, v3, vcc
	v_cndmask_b32_e32 v0, v0, v4, vcc
	v_add_u32_e32 v3, 1, v1
	v_cmp_le_u32_e32 vcc, s27, v0
	v_mul_lo_u32 v2, v2, s9
	s_mul_i32 s12, s3, s10
	v_cndmask_b32_e32 v0, v1, v3, vcc
	v_xor_b32_e32 v0, s0, v0
	v_subrev_u32_e32 v0, s0, v0
	v_ashrrev_i32_e32 v3, 31, v2
	s_mul_i32 s0, s2, s16
	s_ashr_i32 s1, s0, 31
	v_lshlrev_b64 v[2:3], 2, v[2:3]
	v_mul_hi_i32 v1, v0, s13
	v_mul_lo_u32 v0, v0, s13
	s_mul_hi_i32 s9, s14, s4
	s_mul_i32 s8, s14, s4
	s_lshl_b64 s[0:1], s[0:1], 2
	s_waitcnt lgkmcnt(0)
	v_lshl_add_u64 v[2:3], s[20:21], 0, v[2:3]
	s_ashr_i32 s13, s12, 31
	v_lshl_add_u64 v[2:3], v[2:3], 0, s[0:1]
	s_lshl_b64 s[8:9], s[8:9], 2
	s_lshl_b64 s[0:1], s[12:13], 2
	s_add_u32 s12, s22, s0
	s_addc_u32 s13, s23, s1
	s_add_u32 s0, s12, s8
	s_movk_i32 s10, 0x1080
	v_lshrrev_b32_e32 v6, 1, v65
	s_addc_u32 s1, s13, s9
	v_mad_u32_u24 v4, v64, s10, 0
	v_mul_u32_u24_e32 v5, 0x108, v67
	v_and_b32_e32 v6, 0x1f8, v6
	s_ashr_i32 s21, s16, 31
	s_mov_b32 s20, s16
	v_mov_b32_e32 v17, 0
	v_lshlrev_b64 v[0:1], 2, v[0:1]
	v_add_u32_e32 v69, v4, v16
	v_add3_u32 v70, v4, v5, v6
	v_lshlrev_b32_e32 v4, 8, v64
	v_mov_b32_e32 v5, v17
	s_lshl_b64 s[20:21], s[20:21], 2
	v_lshl_add_u64 v[18:19], v[2:3], 0, v[0:1]
	s_ashr_i32 s23, s17, 31
	s_mov_b32 s22, s17
	v_lshl_add_u64 v[0:1], v[0:1], 0, v[4:5]
	v_lshl_add_u64 v[6:7], v[2:3], 0, s[20:21]
	;; [unrolled: 1-line block ×5, first 2 shown]
	s_lshl_b64 s[8:9], s[22:23], 2
	s_add_u32 s8, s12, s8
	s_addc_u32 s9, s13, s9
	v_lshl_add_u64 v[24:25], s[8:9], 0, v[0:1]
	v_lshl_add_u64 v[26:27], s[12:13], 0, v[0:1]
	s_lshl_b32 s10, s17, 1
	s_mul_i32 s14, s17, 3
	s_lshl_b32 s19, s17, 2
	s_mul_i32 s20, s17, 5
	s_mul_i32 s21, s17, 6
	;; [unrolled: 1-line block ×3, first 2 shown]
	s_lshl_b32 s23, s17, 3
	s_mul_i32 s26, s17, 9
	s_mul_i32 s27, s17, 10
	;; [unrolled: 1-line block ×5, first 2 shown]
	s_lshl_b32 s30, s16, 1
	s_mul_i32 s31, s16, 3
	s_lshl_b32 s33, s16, 2
	s_mul_i32 s34, s16, 5
	s_mul_i32 s35, s16, 6
	;; [unrolled: 1-line block ×3, first 2 shown]
	s_lshl_b32 s37, s16, 3
	s_mul_i32 s38, s16, 9
	s_mul_i32 s39, s16, 10
	;; [unrolled: 1-line block ×7, first 2 shown]
	s_lshl_b32 s45, s16, 4
	s_mul_i32 s46, s16, 17
	s_mul_i32 s47, s16, 18
	;; [unrolled: 1-line block ×15, first 2 shown]
	s_lshl_b32 s61, s16, 5
	s_mul_i32 s62, s16, 33
	s_mul_i32 s63, s16, 34
	s_mul_i32 s64, s16, 35
	s_mul_i32 s65, s16, 36
	s_mul_i32 s66, s16, 37
	s_mul_i32 s67, s16, 38
	s_mul_i32 s68, s16, 39
	s_mul_i32 s69, s16, 40
	s_mul_i32 s70, s16, 41
	s_mul_i32 s71, s16, 42
	s_mul_i32 s72, s16, 43
	s_mul_i32 s73, s16, 44
	s_mul_i32 s74, s16, 45
	s_mul_i32 s75, s16, 46
	s_mul_i32 s76, s16, 47
	s_mul_i32 s77, s16, 48
	s_mul_i32 s78, s16, 49
	s_mul_i32 s79, s16, 50
	s_mul_i32 s80, s16, 51
	s_mul_i32 s81, s16, 52
	s_mul_i32 s82, s16, 53
	s_mul_i32 s83, s16, 54
	s_mul_i32 s84, s16, 55
	s_mul_i32 s85, s16, 56
	s_mul_i32 s86, s16, 57
	s_mul_i32 s87, s16, 58
	s_mul_i32 s88, s16, 59
	s_mul_i32 s89, s16, 60
	s_mul_i32 s90, s16, 61
	s_mul_i32 s91, s16, 62
	s_mul_i32 s16, s16, 63
	v_mov_b32_e32 v12, v17
	v_mov_b32_e32 v13, v17
	;; [unrolled: 1-line block ×15, first 2 shown]
	s_mov_b64 s[8:9], 0
	s_mov_b64 s[12:13], 0x700
.LBB95_4:                               ; =>This Inner Loop Header: Depth=1
	v_add_u32_e32 v54, s30, v68
	v_add_u32_e32 v50, s33, v68
	;; [unrolled: 1-line block ×16, first 2 shown]
	v_ashrrev_i32_e32 v55, 31, v54
	v_ashrrev_i32_e32 v51, 31, v50
	;; [unrolled: 1-line block ×8, first 2 shown]
	v_lshl_add_u64 v[60:61], v[22:23], 0, v[16:17]
	v_lshl_add_u64 v[62:63], v[20:21], 0, v[16:17]
	;; [unrolled: 1-line block ×3, first 2 shown]
	v_add_u32_e32 v76, s47, v68
	v_add_u32_e32 v78, s48, v68
	v_ashrrev_i32_e32 v59, 31, v58
	v_lshl_add_u64 v[54:55], v[54:55], 2, v[18:19]
	v_ashrrev_i32_e32 v57, 31, v56
	v_lshl_add_u64 v[50:51], v[50:51], 2, v[18:19]
	v_ashrrev_i32_e32 v53, 31, v52
	v_lshl_add_u64 v[46:47], v[46:47], 2, v[18:19]
	v_ashrrev_i32_e32 v49, 31, v48
	v_lshl_add_u64 v[42:43], v[42:43], 2, v[18:19]
	v_ashrrev_i32_e32 v45, 31, v44
	v_lshl_add_u64 v[38:39], v[38:39], 2, v[18:19]
	v_ashrrev_i32_e32 v41, 31, v40
	v_lshl_add_u64 v[32:33], v[32:33], 2, v[18:19]
	v_lshl_add_u64 v[28:29], v[28:29], 2, v[18:19]
	v_lshl_add_u64 v[34:35], v[34:35], 2, v[18:19]
	v_ashrrev_i32_e32 v31, 31, v30
	v_ashrrev_i32_e32 v37, 31, v36
	v_lshl_add_u64 v[74:75], v[24:25], 0, v[16:17]
	v_add_u32_e32 v80, s49, v68
	v_add_u32_e32 v82, s50, v68
	global_load_dword v71, v[60:61], off
	s_nop 0
	global_load_dword v62, v[62:63], off
	s_nop 0
	global_load_dword v60, v[72:73], off
	global_load_dword v61, v[74:75], off
	v_lshl_add_u64 v[58:59], v[58:59], 2, v[18:19]
	global_load_dword v54, v[54:55], off
	s_nop 0
	global_load_dword v55, v[58:59], off
	v_lshl_add_u64 v[56:57], v[56:57], 2, v[18:19]
	global_load_dword v50, v[50:51], off
	s_nop 0
	;; [unrolled: 4-line block ×6, first 2 shown]
	global_load_dword v33, v[40:41], off
	s_nop 0
	global_load_dword v28, v[28:29], off
	s_nop 0
	global_load_dword v29, v[34:35], off
	v_lshl_add_u64 v[30:31], v[30:31], 2, v[18:19]
	v_lshl_add_u64 v[34:35], v[36:37], 2, v[18:19]
	v_ashrrev_i32_e32 v77, 31, v76
	v_ashrrev_i32_e32 v79, 31, v78
	v_add_u32_e32 v84, s51, v68
	v_add_u32_e32 v86, s52, v68
	global_load_dword v30, v[30:31], off
	s_nop 0
	global_load_dword v31, v[34:35], off
	v_lshl_add_u64 v[34:35], v[76:77], 2, v[18:19]
	v_lshl_add_u64 v[36:37], v[78:79], 2, v[18:19]
	v_ashrrev_i32_e32 v81, 31, v80
	v_ashrrev_i32_e32 v83, 31, v82
	v_add_u32_e32 v88, s53, v68
	v_add_u32_e32 v90, s54, v68
	global_load_dword v34, v[34:35], off
	s_nop 0
	global_load_dword v35, v[36:37], off
	v_lshl_add_u64 v[36:37], v[80:81], 2, v[18:19]
	v_lshl_add_u64 v[40:41], v[82:83], 2, v[18:19]
	v_ashrrev_i32_e32 v85, 31, v84
	v_ashrrev_i32_e32 v87, 31, v86
	v_add_u32_e32 v72, s55, v68
	v_add_u32_e32 v58, s56, v68
	global_load_dword v36, v[36:37], off
	s_nop 0
	global_load_dword v37, v[40:41], off
	v_lshl_add_u64 v[40:41], v[84:85], 2, v[18:19]
	v_lshl_add_u64 v[44:45], v[86:87], 2, v[18:19]
	v_ashrrev_i32_e32 v89, 31, v88
	v_ashrrev_i32_e32 v91, 31, v90
	v_add_u32_e32 v56, s57, v68
	v_add_u32_e32 v52, s58, v68
	global_load_dword v40, v[40:41], off
	s_nop 0
	global_load_dword v41, v[44:45], off
	v_lshl_add_u64 v[44:45], v[88:89], 2, v[18:19]
	v_lshl_add_u64 v[48:49], v[90:91], 2, v[18:19]
	v_ashrrev_i32_e32 v73, 31, v72
	v_ashrrev_i32_e32 v59, 31, v58
	v_add_u32_e32 v74, s59, v68
	v_add_u32_e32 v92, s60, v68
	global_load_dword v44, v[44:45], off
	s_nop 0
	global_load_dword v45, v[48:49], off
	v_lshl_add_u64 v[48:49], v[72:73], 2, v[18:19]
	v_lshl_add_u64 v[58:59], v[58:59], 2, v[18:19]
	v_ashrrev_i32_e32 v57, 31, v56
	v_ashrrev_i32_e32 v53, 31, v52
	v_add_u32_e32 v94, s61, v68
	v_add_u32_e32 v96, s62, v68
	global_load_dword v48, v[48:49], off
	s_nop 0
	global_load_dword v49, v[58:59], off
	v_lshl_add_u64 v[56:57], v[56:57], 2, v[18:19]
	v_lshl_add_u64 v[58:59], v[52:53], 2, v[18:19]
	v_ashrrev_i32_e32 v75, 31, v74
	v_ashrrev_i32_e32 v93, 31, v92
	v_add_u32_e32 v98, s63, v68
	v_add_u32_e32 v76, s64, v68
	global_load_dword v52, v[56:57], off
	global_load_dword v53, v[58:59], off
	v_lshl_add_u64 v[56:57], v[74:75], 2, v[18:19]
	v_lshl_add_u64 v[58:59], v[92:93], 2, v[18:19]
	v_ashrrev_i32_e32 v95, 31, v94
	v_ashrrev_i32_e32 v97, 31, v96
	v_add_u32_e32 v78, s65, v68
	v_add_u32_e32 v80, s66, v68
	global_load_dword v56, v[56:57], off
	s_nop 0
	global_load_dword v57, v[58:59], off
	v_lshl_add_u64 v[58:59], v[94:95], 2, v[18:19]
	v_lshl_add_u64 v[72:73], v[96:97], 2, v[18:19]
	v_ashrrev_i32_e32 v99, 31, v98
	v_ashrrev_i32_e32 v77, 31, v76
	v_add_u32_e32 v82, s67, v68
	v_add_u32_e32 v84, s68, v68
	global_load_dword v58, v[58:59], off
	s_nop 0
	;; [unrolled: 9-line block ×4, first 2 shown]
	global_load_dword v74, v[76:77], off
	v_lshl_add_u64 v[76:77], v[82:83], 2, v[18:19]
	v_lshl_add_u64 v[78:79], v[84:85], 2, v[18:19]
	v_ashrrev_i32_e32 v87, 31, v86
	v_ashrrev_i32_e32 v89, 31, v88
	global_load_dword v75, v[76:77], off
	s_nop 0
	global_load_dword v76, v[78:79], off
	v_lshl_add_u64 v[78:79], v[86:87], 2, v[18:19]
	v_lshl_add_u64 v[80:81], v[88:89], 2, v[18:19]
	v_ashrrev_i32_e32 v91, 31, v90
	v_ashrrev_i32_e32 v93, 31, v92
	v_add_u32_e32 v94, s73, v68
	v_add_u32_e32 v82, s74, v68
	global_load_dword v77, v[78:79], off
	s_nop 0
	global_load_dword v78, v[80:81], off
	v_add_u32_e32 v84, s75, v68
	v_lshl_add_u64 v[80:81], v[90:91], 2, v[18:19]
	v_lshl_add_u64 v[86:87], v[92:93], 2, v[18:19]
	global_load_dword v79, v[80:81], off
	s_nop 0
	global_load_dword v80, v[86:87], off
	v_add_u32_e32 v86, s76, v68
	v_ashrrev_i32_e32 v95, 31, v94
	v_ashrrev_i32_e32 v83, 31, v82
	v_ashrrev_i32_e32 v85, 31, v84
	v_lshl_add_u64 v[88:89], v[94:95], 2, v[18:19]
	v_lshl_add_u64 v[82:83], v[82:83], 2, v[18:19]
	v_ashrrev_i32_e32 v87, 31, v86
	v_lshl_add_u64 v[84:85], v[84:85], 2, v[18:19]
	global_load_dword v81, v[88:89], off
	s_nop 0
	global_load_dword v82, v[82:83], off
	v_add_u32_e32 v88, s77, v68
	v_lshl_add_u64 v[86:87], v[86:87], 2, v[18:19]
	global_load_dword v83, v[84:85], off
	global_load_dword v90, v[86:87], off
	v_add_u32_e32 v84, s78, v68
	v_ashrrev_i32_e32 v89, 31, v88
	v_ashrrev_i32_e32 v85, 31, v84
	v_lshl_add_u64 v[86:87], v[88:89], 2, v[18:19]
	v_lshl_add_u64 v[84:85], v[84:85], 2, v[18:19]
	global_load_dword v86, v[86:87], off
	s_nop 0
	global_load_dword v87, v[84:85], off
	v_add_u32_e32 v84, s79, v68
	v_ashrrev_i32_e32 v85, 31, v84
	v_lshl_add_u64 v[84:85], v[84:85], 2, v[18:19]
	global_load_dword v88, v[84:85], off
	v_add_u32_e32 v84, s80, v68
	v_ashrrev_i32_e32 v85, 31, v84
	v_lshl_add_u64 v[84:85], v[84:85], 2, v[18:19]
	global_load_dword v89, v[84:85], off
	v_add_u32_e32 v84, s81, v68
	v_ashrrev_i32_e32 v85, 31, v84
	v_lshl_add_u64 v[84:85], v[84:85], 2, v[18:19]
	global_load_dword v91, v[84:85], off
	v_add_u32_e32 v84, s82, v68
	v_ashrrev_i32_e32 v85, 31, v84
	v_lshl_add_u64 v[84:85], v[84:85], 2, v[18:19]
	global_load_dword v92, v[84:85], off
	v_add_u32_e32 v84, s83, v68
	v_ashrrev_i32_e32 v85, 31, v84
	v_lshl_add_u64 v[84:85], v[84:85], 2, v[18:19]
	global_load_dword v93, v[84:85], off
	v_add_u32_e32 v84, s84, v68
	v_ashrrev_i32_e32 v85, 31, v84
	v_lshl_add_u64 v[84:85], v[84:85], 2, v[18:19]
	global_load_dword v94, v[84:85], off
	v_add_u32_e32 v84, s85, v68
	v_ashrrev_i32_e32 v85, 31, v84
	v_lshl_add_u64 v[84:85], v[84:85], 2, v[18:19]
	global_load_dword v95, v[84:85], off
	v_add_u32_e32 v84, s86, v68
	v_ashrrev_i32_e32 v85, 31, v84
	v_lshl_add_u64 v[84:85], v[84:85], 2, v[18:19]
	global_load_dword v96, v[84:85], off
	v_add_u32_e32 v84, s87, v68
	v_ashrrev_i32_e32 v85, 31, v84
	v_lshl_add_u64 v[84:85], v[84:85], 2, v[18:19]
	global_load_dword v97, v[84:85], off
	v_add_u32_e32 v84, s88, v68
	v_ashrrev_i32_e32 v85, 31, v84
	v_lshl_add_u64 v[84:85], v[84:85], 2, v[18:19]
	global_load_dword v98, v[84:85], off
	v_add_u32_e32 v84, s89, v68
	v_ashrrev_i32_e32 v85, 31, v84
	v_lshl_add_u64 v[84:85], v[84:85], 2, v[18:19]
	global_load_dword v99, v[84:85], off
	v_add_u32_e32 v84, s90, v68
	v_ashrrev_i32_e32 v85, 31, v84
	v_lshl_add_u64 v[84:85], v[84:85], 2, v[18:19]
	global_load_dword v100, v[84:85], off
	v_add_u32_e32 v84, s91, v68
	v_ashrrev_i32_e32 v85, 31, v84
	v_lshl_add_u64 v[84:85], v[84:85], 2, v[18:19]
	global_load_dword v101, v[84:85], off
	v_add_u32_e32 v84, s16, v68
	v_ashrrev_i32_e32 v85, 31, v84
	v_lshl_add_u64 v[84:85], v[84:85], 2, v[18:19]
	global_load_dword v102, v[84:85], off
	v_add_u32_e32 v84, s10, v68
	v_ashrrev_i32_e32 v85, 31, v84
	v_lshl_add_u64 v[84:85], v[84:85], 2, s[0:1]
	global_load_dword v103, v[84:85], off
	v_add_u32_e32 v84, s14, v68
	v_ashrrev_i32_e32 v85, 31, v84
	v_lshl_add_u64 v[84:85], v[84:85], 2, s[0:1]
	global_load_dword v104, v[84:85], off
	v_add_u32_e32 v84, s19, v68
	v_ashrrev_i32_e32 v85, 31, v84
	v_lshl_add_u64 v[84:85], v[84:85], 2, s[0:1]
	global_load_dword v105, v[84:85], off
	v_add_u32_e32 v84, s20, v68
	v_ashrrev_i32_e32 v85, 31, v84
	v_lshl_add_u64 v[84:85], v[84:85], 2, s[0:1]
	global_load_dword v106, v[84:85], off
	v_add_u32_e32 v84, s21, v68
	v_ashrrev_i32_e32 v85, 31, v84
	v_lshl_add_u64 v[84:85], v[84:85], 2, s[0:1]
	global_load_dword v107, v[84:85], off
	v_add_u32_e32 v84, s22, v68
	v_ashrrev_i32_e32 v85, 31, v84
	v_lshl_add_u64 v[84:85], v[84:85], 2, s[0:1]
	global_load_dword v108, v[84:85], off
	v_add_u32_e32 v84, s23, v68
	v_ashrrev_i32_e32 v85, 31, v84
	v_lshl_add_u64 v[84:85], v[84:85], 2, s[0:1]
	global_load_dword v109, v[84:85], off
	v_add_u32_e32 v84, s26, v68
	v_ashrrev_i32_e32 v85, 31, v84
	v_lshl_add_u64 v[84:85], v[84:85], 2, s[0:1]
	global_load_dword v110, v[84:85], off
	v_add_u32_e32 v84, s27, v68
	v_ashrrev_i32_e32 v85, 31, v84
	v_lshl_add_u64 v[84:85], v[84:85], 2, s[0:1]
	global_load_dword v111, v[84:85], off
	v_add_u32_e32 v84, s28, v68
	v_ashrrev_i32_e32 v85, 31, v84
	v_lshl_add_u64 v[84:85], v[84:85], 2, s[0:1]
	global_load_dword v112, v[84:85], off
	v_add_u32_e32 v84, s29, v68
	v_ashrrev_i32_e32 v85, 31, v84
	v_lshl_add_u64 v[84:85], v[84:85], 2, s[0:1]
	global_load_dword v113, v[84:85], off
	v_add_u32_e32 v84, s17, v68
	v_ashrrev_i32_e32 v85, 31, v84
	v_lshl_add_u64 v[84:85], v[84:85], 2, s[0:1]
	global_load_dword v114, v[84:85], off
	s_waitcnt vmcnt(62)
	ds_write_b32 v69, v71
	ds_write_b32 v69, v62 offset:264
	ds_write_b32 v69, v54 offset:528
	ds_write_b32 v69, v55 offset:792
	ds_write_b32 v69, v50 offset:1056
	ds_write_b32 v69, v51 offset:1320
	ds_write_b32 v69, v46 offset:1584
	ds_write_b32 v69, v47 offset:1848
	ds_write_b32 v69, v42 offset:2112
	ds_write_b32 v69, v43 offset:2376
	ds_write_b32 v69, v38 offset:2640
	ds_write_b32 v69, v39 offset:2904
	ds_write_b32 v69, v32 offset:3168
	ds_write_b32 v69, v33 offset:3432
	s_waitcnt vmcnt(61)
	ds_write_b32 v69, v28 offset:3696
	s_waitcnt vmcnt(60)
	ds_write_b32 v69, v29 offset:3960
	ds_read_b64 v[28:29], v70
	ds_read_b64 v[32:33], v70 offset:32
	ds_read_b64 v[38:39], v70 offset:64
	ds_read_b64 v[42:43], v70 offset:96
	ds_read_b64 v[46:47], v70 offset:128
	ds_read_b64 v[50:51], v70 offset:160
	ds_read_b64 v[54:55], v70 offset:192
	ds_read_b64 v[84:85], v70 offset:224
	s_waitcnt vmcnt(59)
	ds_write_b32 v69, v30
	s_waitcnt vmcnt(58)
	ds_write_b32 v69, v31 offset:264
	s_waitcnt vmcnt(57)
	ds_write_b32 v69, v34 offset:528
	s_waitcnt vmcnt(56)
	ds_write_b32 v69, v35 offset:792
	s_waitcnt vmcnt(55)
	ds_write_b32 v69, v36 offset:1056
	s_waitcnt vmcnt(54)
	ds_write_b32 v69, v37 offset:1320
	s_waitcnt vmcnt(53)
	ds_write_b32 v69, v40 offset:1584
	s_waitcnt vmcnt(52)
	ds_write_b32 v69, v41 offset:1848
	s_waitcnt vmcnt(51)
	ds_write_b32 v69, v44 offset:2112
	s_waitcnt vmcnt(50)
	ds_write_b32 v69, v45 offset:2376
	s_waitcnt vmcnt(49)
	ds_write_b32 v69, v48 offset:2640
	s_waitcnt vmcnt(48)
	ds_write_b32 v69, v49 offset:2904
	s_waitcnt vmcnt(47)
	ds_write_b32 v69, v52 offset:3168
	s_waitcnt vmcnt(46)
	ds_write_b32 v69, v53 offset:3432
	s_waitcnt vmcnt(45)
	ds_write_b32 v69, v56 offset:3696
	s_waitcnt vmcnt(44)
	ds_write_b32 v69, v57 offset:3960
	ds_read_b64 v[30:31], v70
	ds_read_b64 v[34:35], v70 offset:32
	ds_read_b64 v[36:37], v70 offset:64
	ds_read_b64 v[40:41], v70 offset:96
	ds_read_b64 v[44:45], v70 offset:128
	ds_read_b64 v[48:49], v70 offset:160
	ds_read_b64 v[52:53], v70 offset:192
	ds_read_b64 v[56:57], v70 offset:224
	s_waitcnt vmcnt(43)
	ds_write_b32 v69, v58
	s_waitcnt vmcnt(42)
	ds_write_b32 v69, v59 offset:264
	s_waitcnt vmcnt(41)
	ds_write_b32 v69, v63 offset:528
	s_waitcnt vmcnt(40)
	ds_write_b32 v69, v72 offset:792
	s_waitcnt vmcnt(39)
	ds_write_b32 v69, v73 offset:1056
	s_waitcnt vmcnt(38)
	ds_write_b32 v69, v74 offset:1320
	s_waitcnt vmcnt(37)
	ds_write_b32 v69, v75 offset:1584
	s_waitcnt vmcnt(36)
	ds_write_b32 v69, v76 offset:1848
	s_waitcnt vmcnt(35)
	ds_write_b32 v69, v77 offset:2112
	s_waitcnt vmcnt(34)
	ds_write_b32 v69, v78 offset:2376
	s_waitcnt vmcnt(33)
	ds_write_b32 v69, v79 offset:2640
	s_waitcnt vmcnt(32)
	ds_write_b32 v69, v80 offset:2904
	s_waitcnt vmcnt(31)
	ds_write_b32 v69, v81 offset:3168
	s_waitcnt vmcnt(30)
	ds_write_b32 v69, v82 offset:3432
	;; [unrolled: 40-line block ×3, first 2 shown]
	s_waitcnt vmcnt(13)
	ds_write_b32 v69, v101 offset:3696
	s_waitcnt vmcnt(12)
	ds_write_b32 v69, v102 offset:3960
	ds_read_b64 v[86:87], v70
	ds_read_b64 v[88:89], v70 offset:32
	ds_read_b64 v[90:91], v70 offset:64
	;; [unrolled: 1-line block ×7, first 2 shown]
	ds_write_b32 v69, v60
	ds_write_b32 v69, v61 offset:264
	s_waitcnt vmcnt(11)
	ds_write_b32 v69, v103 offset:528
	s_waitcnt vmcnt(10)
	;; [unrolled: 2-line block ×12, first 2 shown]
	ds_write_b32 v69, v114 offset:3432
	ds_write_b32 v69, v17 offset:3696
	;; [unrolled: 1-line block ×3, first 2 shown]
	ds_read_b64 v[60:61], v70
	s_waitcnt lgkmcnt(0)
	v_mfma_f32_16x16x8_xf32 v[8:11], v[28:29], v[60:61], v[8:11]
	ds_read_b64 v[28:29], v70 offset:32
	v_add_u32_e32 v68, 0x1c0, v68
	v_cmp_le_i32_e32 vcc, s5, v68
	v_mfma_f32_16x16x8_xf32 v[4:7], v[30:31], v[60:61], v[4:7]
	v_lshl_add_u64 v[20:21], v[20:21], 0, s[12:13]
	v_lshl_add_u64 v[22:23], v[22:23], 0, s[12:13]
	;; [unrolled: 1-line block ×3, first 2 shown]
	v_mfma_f32_16x16x8_xf32 v[0:3], v[58:59], v[60:61], v[0:3]
	s_or_b64 s[8:9], vcc, s[8:9]
	v_lshl_add_u64 v[26:27], v[26:27], 0, s[12:13]
	v_mfma_f32_16x16x8_xf32 v[12:15], v[86:87], v[60:61], v[12:15]
	s_waitcnt lgkmcnt(0)
	v_mfma_f32_16x16x8_xf32 v[8:11], v[32:33], v[28:29], v[8:11]
	v_mfma_f32_16x16x8_xf32 v[4:7], v[34:35], v[28:29], v[4:7]
	v_mfma_f32_16x16x8_xf32 v[0:3], v[62:63], v[28:29], v[0:3]
	v_mfma_f32_16x16x8_xf32 v[12:15], v[88:89], v[28:29], v[12:15]
	ds_read_b64 v[28:29], v70 offset:64
	s_waitcnt lgkmcnt(0)
	v_mfma_f32_16x16x8_xf32 v[8:11], v[38:39], v[28:29], v[8:11]
	v_mfma_f32_16x16x8_xf32 v[4:7], v[36:37], v[28:29], v[4:7]
	v_mfma_f32_16x16x8_xf32 v[0:3], v[72:73], v[28:29], v[0:3]
	v_mfma_f32_16x16x8_xf32 v[12:15], v[90:91], v[28:29], v[12:15]
	ds_read_b64 v[28:29], v70 offset:96
	;; [unrolled: 6-line block ×6, first 2 shown]
	s_waitcnt lgkmcnt(0)
	v_mfma_f32_16x16x8_xf32 v[8:11], v[84:85], v[28:29], v[8:11]
	v_mfma_f32_16x16x8_xf32 v[4:7], v[56:57], v[28:29], v[4:7]
	v_mfma_f32_16x16x8_xf32 v[0:3], v[82:83], v[28:29], v[0:3]
	v_mfma_f32_16x16x8_xf32 v[12:15], v[100:101], v[28:29], v[12:15]
	s_andn2_b64 exec, exec, s[8:9]
	s_cbranch_execnz .LBB95_4
; %bb.5:
	s_or_b64 exec, exec, s[8:9]
.LBB95_6:
	s_or_b64 exec, exec, s[24:25]
	v_mul_u32_u24_e32 v17, 0x708, v67
	v_lshlrev_b32_e32 v18, 2, v66
	v_add3_u32 v17, 0, v17, v18
	v_and_b32_e32 v18, 0x3f0, v65
	v_add_u32_e32 v18, v17, v18
	s_waitcnt lgkmcnt(0)
	s_barrier
	ds_write2_b32 v18, v8, v9 offset1:1
	ds_write_b32 v18, v10 offset:8
	v_or_b32_e32 v8, 12, v65
	v_and_b32_e32 v8, 0x3fc, v8
	v_add_u32_e32 v8, v17, v8
	ds_write_b32 v8, v11
	ds_write2_b32 v18, v4, v5 offset0:16 offset1:17
	ds_write_b32 v18, v6 offset:72
	ds_write_b32 v8, v7 offset:64
	ds_write2_b32 v18, v0, v1 offset0:32 offset1:33
	ds_write_b32 v18, v2 offset:136
	ds_write_b32 v8, v3 offset:128
	;; [unrolled: 3-line block ×3, first 2 shown]
	v_mul_u32_u24_e32 v0, 0x708, v64
	v_add3_u32 v8, 0, v16, v0
	s_waitcnt lgkmcnt(0)
	s_barrier
	ds_read2st64_b32 v[0:1], v8 offset1:1
	ds_read2st64_b32 v[2:3], v8 offset0:2 offset1:3
	ds_read2st64_b32 v[4:5], v8 offset0:4 offset1:5
	ds_read_b32 v6, v8 offset:1536
	s_mul_hi_i32 s1, s15, s4
	s_mul_i32 s0, s15, s4
	s_lshl_b64 s[0:1], s[0:1], 2
	s_waitcnt lgkmcnt(3)
	v_add_f32_e32 v0, 0, v0
	v_add_f32_e32 v0, v0, v1
	s_waitcnt lgkmcnt(2)
	v_add_f32_e32 v0, v0, v2
	s_add_u32 s4, s6, s0
	s_mul_i32 s0, s3, s11
	v_add_f32_e32 v0, v0, v3
	s_addc_u32 s5, s7, s1
	s_ashr_i32 s1, s0, 31
	s_waitcnt lgkmcnt(1)
	v_add_f32_e32 v0, v0, v4
	s_lshl_b64 s[0:1], s[0:1], 2
	v_add_f32_e32 v0, v0, v5
	s_add_u32 s0, s4, s0
	s_waitcnt lgkmcnt(0)
	v_add_f32_e32 v6, v0, v6
	v_mul_lo_u32 v0, v64, s18
	v_add_u32_e32 v7, 56, v8
	s_addc_u32 s1, s5, s1
	v_add3_u32 v0, s2, v65, v0
	v_mov_b32_e32 v1, 0
	ds_read2st64_b32 v[2:3], v7 offset0:49 offset1:50
	v_lshl_add_u64 v[4:5], v[0:1], 2, s[0:1]
	global_store_dword v[4:5], v6, off
	ds_read2st64_b32 v[4:5], v7 offset0:51 offset1:52
	ds_read2st64_b32 v[6:7], v7 offset0:53 offset1:54
	s_waitcnt lgkmcnt(2)
	v_add_f32_e32 v2, 0, v2
	v_add_f32_e32 v2, v2, v3
	ds_read_b32 v3, v8 offset:14136
	s_waitcnt lgkmcnt(2)
	v_add_f32_e32 v2, v2, v4
	v_add_f32_e32 v2, v2, v5
	s_waitcnt lgkmcnt(1)
	v_add_f32_e32 v2, v2, v6
	v_add_f32_e32 v2, v2, v7
	s_waitcnt lgkmcnt(0)
	v_add_f32_e32 v4, v2, v3
	v_mad_u64_u32 v[2:3], s[2:3], s18, 7, v[0:1]
	v_mov_b32_e32 v3, v1
	v_lshl_add_u64 v[0:1], v[2:3], 2, s[0:1]
	global_store_dword v[0:1], v4, off
	s_endpgm
	.section	.rodata,"a",@progbits
	.p2align	6, 0x0
	.amdhsa_kernel _ZL9mul_mat_fIfLi64ELi14ELi7ELb0EEvPKT_PKfPKiPfiiiiiiiiiiiiiiii
		.amdhsa_group_segment_fixed_size 0
		.amdhsa_private_segment_fixed_size 0
		.amdhsa_kernarg_size 96
		.amdhsa_user_sgpr_count 2
		.amdhsa_user_sgpr_dispatch_ptr 0
		.amdhsa_user_sgpr_queue_ptr 0
		.amdhsa_user_sgpr_kernarg_segment_ptr 1
		.amdhsa_user_sgpr_dispatch_id 0
		.amdhsa_user_sgpr_kernarg_preload_length 0
		.amdhsa_user_sgpr_kernarg_preload_offset 0
		.amdhsa_user_sgpr_private_segment_size 0
		.amdhsa_uses_dynamic_stack 0
		.amdhsa_enable_private_segment 0
		.amdhsa_system_sgpr_workgroup_id_x 1
		.amdhsa_system_sgpr_workgroup_id_y 1
		.amdhsa_system_sgpr_workgroup_id_z 1
		.amdhsa_system_sgpr_workgroup_info 0
		.amdhsa_system_vgpr_workitem_id 1
		.amdhsa_next_free_vgpr 115
		.amdhsa_next_free_sgpr 92
		.amdhsa_accum_offset 116
		.amdhsa_reserve_vcc 1
		.amdhsa_float_round_mode_32 0
		.amdhsa_float_round_mode_16_64 0
		.amdhsa_float_denorm_mode_32 3
		.amdhsa_float_denorm_mode_16_64 3
		.amdhsa_dx10_clamp 1
		.amdhsa_ieee_mode 1
		.amdhsa_fp16_overflow 0
		.amdhsa_tg_split 0
		.amdhsa_exception_fp_ieee_invalid_op 0
		.amdhsa_exception_fp_denorm_src 0
		.amdhsa_exception_fp_ieee_div_zero 0
		.amdhsa_exception_fp_ieee_overflow 0
		.amdhsa_exception_fp_ieee_underflow 0
		.amdhsa_exception_fp_ieee_inexact 0
		.amdhsa_exception_int_div_zero 0
	.end_amdhsa_kernel
	.section	.text._ZL9mul_mat_fIfLi64ELi14ELi7ELb0EEvPKT_PKfPKiPfiiiiiiiiiiiiiiii,"axG",@progbits,_ZL9mul_mat_fIfLi64ELi14ELi7ELb0EEvPKT_PKfPKiPfiiiiiiiiiiiiiiii,comdat
.Lfunc_end95:
	.size	_ZL9mul_mat_fIfLi64ELi14ELi7ELb0EEvPKT_PKfPKiPfiiiiiiiiiiiiiiii, .Lfunc_end95-_ZL9mul_mat_fIfLi64ELi14ELi7ELb0EEvPKT_PKfPKiPfiiiiiiiiiiiiiiii
                                        ; -- End function
	.section	.AMDGPU.csdata,"",@progbits
; Kernel info:
; codeLenInByte = 5008
; NumSgprs: 98
; NumVgprs: 115
; NumAgprs: 0
; TotalNumVgprs: 115
; ScratchSize: 0
; MemoryBound: 0
; FloatMode: 240
; IeeeMode: 1
; LDSByteSize: 0 bytes/workgroup (compile time only)
; SGPRBlocks: 12
; VGPRBlocks: 14
; NumSGPRsForWavesPerEU: 98
; NumVGPRsForWavesPerEU: 115
; AccumOffset: 116
; Occupancy: 4
; WaveLimiterHint : 0
; COMPUTE_PGM_RSRC2:SCRATCH_EN: 0
; COMPUTE_PGM_RSRC2:USER_SGPR: 2
; COMPUTE_PGM_RSRC2:TRAP_HANDLER: 0
; COMPUTE_PGM_RSRC2:TGID_X_EN: 1
; COMPUTE_PGM_RSRC2:TGID_Y_EN: 1
; COMPUTE_PGM_RSRC2:TGID_Z_EN: 1
; COMPUTE_PGM_RSRC2:TIDIG_COMP_CNT: 1
; COMPUTE_PGM_RSRC3_GFX90A:ACCUM_OFFSET: 28
; COMPUTE_PGM_RSRC3_GFX90A:TG_SPLIT: 0
	.section	.text._ZL13mul_mat_f_idsIfLi64ELi14ELi8EEvPKT_PKfPKiS6_S6_Pfiiiiiiiiiiiiii15HIP_vector_typeIjLj3EES9_,"axG",@progbits,_ZL13mul_mat_f_idsIfLi64ELi14ELi8EEvPKT_PKfPKiS6_S6_Pfiiiiiiiiiiiiii15HIP_vector_typeIjLj3EES9_,comdat
	.globl	_ZL13mul_mat_f_idsIfLi64ELi14ELi8EEvPKT_PKfPKiS6_S6_Pfiiiiiiiiiiiiii15HIP_vector_typeIjLj3EES9_ ; -- Begin function _ZL13mul_mat_f_idsIfLi64ELi14ELi8EEvPKT_PKfPKiS6_S6_Pfiiiiiiiiiiiiii15HIP_vector_typeIjLj3EES9_
	.p2align	8
	.type	_ZL13mul_mat_f_idsIfLi64ELi14ELi8EEvPKT_PKfPKiS6_S6_Pfiiiiiiiiiiiiii15HIP_vector_typeIjLj3EES9_,@function
_ZL13mul_mat_f_idsIfLi64ELi14ELi8EEvPKT_PKfPKiS6_S6_Pfiiiiiiiiiiiiii15HIP_vector_typeIjLj3EES9_: ; @_ZL13mul_mat_f_idsIfLi64ELi14ELi8EEvPKT_PKfPKiS6_S6_Pfiiiiiiiiiiiiii15HIP_vector_typeIjLj3EES9_
; %bb.0:
	s_load_dwordx2 s[6:7], s[0:1], 0x20
	s_mov_b32 s34, s3
	s_ashr_i32 s35, s3, 31
	s_lshl_b64 s[8:9], s[34:35], 2
	s_waitcnt lgkmcnt(0)
	s_add_u32 s6, s6, s8
	s_addc_u32 s7, s7, s9
	s_load_dwordx2 s[26:27], s[6:7], 0x0
	s_waitcnt lgkmcnt(0)
	s_sub_i32 s33, s27, s26
	s_add_i32 s3, s33, 13
	s_mul_hi_i32 s5, s3, 0x92492493
	s_add_i32 s5, s5, s3
	s_lshr_b32 s3, s5, 31
	s_ashr_i32 s5, s5, 3
	s_add_i32 s5, s5, s3
	s_cmp_ge_i32 s4, s5
	s_cbranch_scc1 .LBB96_56
; %bb.1:
	v_bfe_u32 v16, v0, 10, 10
	v_lshlrev_b32_e32 v86, 6, v16
	v_and_b32_e32 v17, 0x3ff, v0
	s_load_dwordx4 s[12:15], s[0:1], 0x30
	s_load_dwordx2 s[20:21], s[0:1], 0x40
	s_load_dwordx4 s[8:11], s[0:1], 0x4c
	s_load_dwordx4 s[16:19], s[0:1], 0x68
	s_load_dwordx2 s[24:25], s[0:1], 0x78
	v_add_u32_e32 v88, v86, v17
	s_ashr_i32 s27, s26, 31
	s_waitcnt lgkmcnt(0)
	v_cmp_le_i32_e32 vcc, s12, v88
	v_and_b32_e32 v87, 15, v17
                                        ; implicit-def: $sgpr3
	s_and_saveexec_b64 s[6:7], vcc
	s_xor_b64 s[6:7], exec, s[6:7]
; %bb.2:
	v_and_b32_e32 v87, 15, v17
	s_mov_b32 s3, 0
                                        ; implicit-def: $vgpr88
; %bb.3:
	s_or_saveexec_b64 s[28:29], s[6:7]
	s_load_dwordx2 s[22:23], s[0:1], 0x18
	s_load_dwordx2 s[6:7], s[0:1], 0x28
                                        ; implicit-def: $vgpr106 : SGPR spill to VGPR lane
	s_lshl_b32 s11, s2, 6
	s_mul_i32 s2, s4, 14
	v_mov_b32_e32 v15, s3
	v_mov_b32_e32 v14, s3
	s_waitcnt lgkmcnt(0)
	v_writelane_b32 v106, s6, 0
	v_mov_b32_e32 v13, s3
	v_mov_b32_e32 v12, s3
	;; [unrolled: 1-line block ×14, first 2 shown]
	v_writelane_b32 v106, s7, 1
	s_xor_b64 exec, exec, s[28:29]
	s_cbranch_execz .LBB96_49
; %bb.4:
	v_writelane_b32 v106, s28, 2
	s_movk_i32 s3, 0x1080
	v_mad_u32_u24 v1, v16, s3, 0
	v_writelane_b32 v106, s29, 3
	v_writelane_b32 v106, s22, 4
	v_lshrrev_b32_e32 v3, 1, v17
	v_mov_b32_e32 v19, 0
	v_writelane_b32 v106, s23, 5
	v_writelane_b32 v106, s24, 6
	s_load_dwordx4 s[4:7], s[0:1], 0x0
	s_load_dwordx2 s[22:23], s[0:1], 0x10
	v_writelane_b32 v106, s25, 7
	s_mul_i32 s0, s34, s8
	s_mul_i32 s24, s11, s15
	s_ashr_i32 s1, s0, 31
	s_ashr_i32 s25, s24, 31
	s_lshl_b64 s[24:25], s[24:25], 2
	s_lshl_b64 s[0:1], s[0:1], 2
	s_add_u32 s24, s0, s24
	v_writelane_b32 v106, s11, 8
	s_addc_u32 s25, s1, s25
	s_waitcnt lgkmcnt(0)
	s_add_u32 s0, s24, s4
	v_writelane_b32 v106, s26, 9
	s_addc_u32 s1, s25, s5
	v_lshlrev_b32_e32 v0, 2, v17
	v_writelane_b32 v106, s27, 10
	s_lshl_b64 s[26:27], s[26:27], 2
	s_add_u32 s8, s22, s26
	s_addc_u32 s11, s23, s27
	s_cmp_lt_i32 s2, s33
	s_cselect_b64 s[34:35], -1, 0
	s_ashr_i32 s3, s2, 31
	s_lshl_b64 s[22:23], s[2:3], 2
	s_add_u32 s36, s8, s22
	s_addc_u32 s37, s11, s23
	s_or_b32 s3, s2, 1
	s_cmp_lt_i32 s3, s33
	s_cselect_b64 s[38:39], -1, 0
	s_add_i32 s3, s2, 2
	s_cmp_lt_i32 s3, s33
	s_cselect_b64 s[40:41], -1, 0
	s_add_i32 s3, s2, 3
	;; [unrolled: 3-line block ×3, first 2 shown]
	v_mul_u32_u24_e32 v2, 0x108, v87
	v_and_b32_e32 v3, 0x1f8, v3
	s_cmp_lt_i32 s3, s33
	v_lshlrev_b32_e32 v18, 8, v16
	v_add_u32_e32 v89, v1, v0
	v_add3_u32 v90, v1, v2, v3
	s_cselect_b64 s[44:45], -1, 0
	s_add_i32 s3, s2, 5
	v_lshl_add_u64 v[2:3], s[24:25], 0, v[18:19]
	v_mov_b32_e32 v1, v19
	s_cmp_lt_i32 s3, s33
	v_lshl_add_u64 v[0:1], v[2:3], 0, v[0:1]
	s_cselect_b64 s[46:47], -1, 0
	s_add_i32 s3, s2, 6
	v_lshl_add_u64 v[20:21], s[4:5], 0, v[0:1]
	s_mul_i32 s4, s15, 3
	s_cmp_lt_i32 s3, s33
	v_writelane_b32 v106, s4, 11
	s_mul_i32 s4, s15, 5
	s_cselect_b64 s[48:49], -1, 0
	s_add_i32 s3, s2, 7
	v_writelane_b32 v106, s4, 12
	s_mul_i32 s4, s15, 6
	s_cmp_lt_i32 s3, s33
	v_writelane_b32 v106, s4, 13
	s_mul_i32 s4, s15, 7
	s_cselect_b64 s[50:51], -1, 0
	s_add_i32 s3, s2, 8
	v_writelane_b32 v106, s4, 14
	;; [unrolled: 7-line block ×7, first 2 shown]
	s_mul_i32 s4, s15, 20
	s_cmp_lt_i32 s3, s33
	v_writelane_b32 v106, s4, 25
	s_mul_i32 s4, s15, 21
	s_cselect_b64 s[62:63], -1, 0
	s_ashr_i32 s23, s15, 31
	s_mov_b32 s22, s15
	v_writelane_b32 v106, s4, 26
	s_mul_i32 s4, s15, 22
	s_lshl_b64 s[64:65], s[22:23], 2
	s_lshl_b32 s3, s15, 1
	s_lshl_b32 s68, s15, 2
	;; [unrolled: 1-line block ×4, first 2 shown]
	v_writelane_b32 v106, s4, 27
	s_mul_i32 s87, s15, 23
	s_mul_i32 s88, s15, 24
	;; [unrolled: 1-line block ×5, first 2 shown]
	v_mov_b32_e32 v8, 0
	v_mov_b32_e32 v9, v19
	;; [unrolled: 1-line block ×16, first 2 shown]
	s_mul_i32 s92, s15, 28
	s_mul_i32 s93, s15, 29
	;; [unrolled: 1-line block ×4, first 2 shown]
	s_lshl_b32 s96, s15, 5
	s_mul_i32 s97, s15, 33
	s_mul_i32 s98, s15, 34
	;; [unrolled: 1-line block ×31, first 2 shown]
	s_mov_b64 s[4:5], 0
	s_mov_b64 s[66:67], 0x800
	s_branch .LBB96_6
.LBB96_5:                               ;   in Loop: Header=BB96_6 Depth=1
	s_waitcnt vmcnt(0)
	ds_write2_b32 v89, v18, v92 offset1:66
	ds_write2_b32 v89, v91, v94 offset0:132 offset1:198
	v_add_u32_e32 v18, 0x400, v89
	ds_write2_b32 v18, v93, v96 offset0:8 offset1:74
	ds_write2_b32 v18, v95, v98 offset0:140 offset1:206
	v_add_u32_e32 v18, 0x800, v89
	ds_write2_b32 v18, v97, v100 offset0:16 offset1:82
	;; [unrolled: 3-line block ×3, first 2 shown]
	ds_write2_b32 v18, v19, v19 offset0:156 offset1:222
	ds_read2_b64 v[92:95], v90 offset1:4
	v_add_u32_e32 v88, 0x200, v88
	s_waitcnt lgkmcnt(0)
	v_mfma_f32_16x16x8_xf32 v[0:3], v[70:71], v[92:93], v[0:3]
	v_cmp_le_i32_e32 vcc, s12, v88
	v_lshl_add_u64 v[20:21], v[20:21], 0, s[66:67]
	s_or_b64 s[4:5], vcc, s[4:5]
	v_mfma_f32_16x16x8_xf32 v[8:11], v[38:39], v[92:93], v[8:11]
	v_mfma_f32_16x16x8_xf32 v[4:7], v[54:55], v[92:93], v[4:7]
	v_mfma_f32_16x16x8_xf32 v[12:15], v[84:85], v[92:93], v[12:15]
	v_mfma_f32_16x16x8_xf32 v[0:3], v[68:69], v[94:95], v[0:3]
	ds_read2_b64 v[68:71], v90 offset0:8 offset1:12
	v_mfma_f32_16x16x8_xf32 v[8:11], v[34:35], v[94:95], v[8:11]
	v_mfma_f32_16x16x8_xf32 v[4:7], v[50:51], v[94:95], v[4:7]
	v_mfma_f32_16x16x8_xf32 v[12:15], v[82:83], v[94:95], v[12:15]
	s_waitcnt lgkmcnt(0)
	v_mfma_f32_16x16x8_xf32 v[8:11], v[32:33], v[68:69], v[8:11]
	v_mfma_f32_16x16x8_xf32 v[4:7], v[48:49], v[68:69], v[4:7]
	v_mfma_f32_16x16x8_xf32 v[0:3], v[66:67], v[68:69], v[0:3]
	v_mfma_f32_16x16x8_xf32 v[12:15], v[78:79], v[68:69], v[12:15]
	v_mfma_f32_16x16x8_xf32 v[8:11], v[30:31], v[70:71], v[8:11]
	ds_read2_b64 v[30:33], v90 offset0:16 offset1:20
	v_mfma_f32_16x16x8_xf32 v[4:7], v[46:47], v[70:71], v[4:7]
	v_mfma_f32_16x16x8_xf32 v[0:3], v[64:65], v[70:71], v[0:3]
	v_mfma_f32_16x16x8_xf32 v[12:15], v[74:75], v[70:71], v[12:15]
	s_waitcnt lgkmcnt(0)
	v_mfma_f32_16x16x8_xf32 v[8:11], v[28:29], v[30:31], v[8:11]
	;; [unrolled: 10-line block ×3, first 2 shown]
	v_mfma_f32_16x16x8_xf32 v[4:7], v[40:41], v[26:27], v[4:7]
	v_mfma_f32_16x16x8_xf32 v[0:3], v[56:57], v[26:27], v[0:3]
	v_mfma_f32_16x16x8_xf32 v[12:15], v[72:73], v[26:27], v[12:15]
	v_mfma_f32_16x16x8_xf32 v[8:11], v[22:23], v[28:29], v[8:11]
	v_mfma_f32_16x16x8_xf32 v[4:7], v[36:37], v[28:29], v[4:7]
	v_mfma_f32_16x16x8_xf32 v[0:3], v[52:53], v[28:29], v[0:3]
	v_mfma_f32_16x16x8_xf32 v[12:15], v[60:61], v[28:29], v[12:15]
	s_andn2_b64 exec, exec, s[4:5]
	s_cbranch_execz .LBB96_48
.LBB96_6:                               ; =>This Inner Loop Header: Depth=1
	v_readlane_b32 s86, v106, 11
	v_lshl_add_u64 v[22:23], v[20:21], 0, s[64:65]
	global_load_dword v18, v[20:21], off
	global_load_dword v48, v[22:23], off
	v_add_u32_e32 v24, s86, v88
	v_readlane_b32 s86, v106, 12
	v_add_u32_e32 v22, s3, v88
	v_ashrrev_i32_e32 v23, 31, v22
	v_add_u32_e32 v28, s86, v88
	v_readlane_b32 s86, v106, 13
	v_add_u32_e32 v26, s68, v88
	v_lshl_add_u64 v[22:23], v[22:23], 2, s[0:1]
	v_add_u32_e32 v30, s86, v88
	v_readlane_b32 s86, v106, 14
	v_ashrrev_i32_e32 v25, 31, v24
	v_ashrrev_i32_e32 v27, 31, v26
	v_add_u32_e32 v32, s86, v88
	v_ashrrev_i32_e32 v29, 31, v28
	v_ashrrev_i32_e32 v31, 31, v30
	;; [unrolled: 1-line block ×3, first 2 shown]
	v_lshl_add_u64 v[24:25], v[24:25], 2, s[0:1]
	v_lshl_add_u64 v[26:27], v[26:27], 2, s[0:1]
	;; [unrolled: 1-line block ×5, first 2 shown]
	global_load_dword v49, v[22:23], off
	global_load_dword v50, v[24:25], off
	;; [unrolled: 1-line block ×6, first 2 shown]
	v_readlane_b32 s86, v106, 15
	v_add_u32_e32 v22, s72, v88
	v_add_u32_e32 v38, s80, v88
	;; [unrolled: 1-line block ×3, first 2 shown]
	v_readlane_b32 s86, v106, 16
	v_ashrrev_i32_e32 v23, 31, v22
	v_ashrrev_i32_e32 v25, 31, v24
	v_add_u32_e32 v26, s86, v88
	v_readlane_b32 s86, v106, 17
	v_ashrrev_i32_e32 v27, 31, v26
	v_ashrrev_i32_e32 v39, 31, v38
	v_add_u32_e32 v28, s86, v88
	v_readlane_b32 s86, v106, 18
	v_ashrrev_i32_e32 v29, 31, v28
	v_lshl_add_u64 v[22:23], v[22:23], 2, s[0:1]
	v_add_u32_e32 v30, s86, v88
	v_readlane_b32 s86, v106, 19
	v_ashrrev_i32_e32 v31, 31, v30
	v_lshl_add_u64 v[24:25], v[24:25], 2, s[0:1]
	;; [unrolled: 4-line block ×6, first 2 shown]
	v_add_u32_e32 v42, s86, v88
	v_readlane_b32 s86, v106, 24
	v_lshl_add_u64 v[32:33], v[32:33], 2, s[0:1]
	v_lshl_add_u64 v[34:35], v[34:35], 2, s[0:1]
	v_add_u32_e32 v44, s86, v88
	v_readlane_b32 s86, v106, 25
	v_lshl_add_u64 v[36:37], v[36:37], 2, s[0:1]
	v_lshl_add_u64 v[38:39], v[38:39], 2, s[0:1]
	v_add_u32_e32 v46, s86, v88
	v_readlane_b32 s86, v106, 26
	global_load_dword v55, v[22:23], off
	global_load_dword v56, v[24:25], off
	global_load_dword v57, v[26:27], off
	global_load_dword v58, v[28:29], off
	global_load_dword v59, v[30:31], off
	global_load_dword v60, v[32:33], off
	global_load_dword v61, v[34:35], off
	global_load_dword v62, v[36:37], off
	global_load_dword v63, v[38:39], off
	s_nop 0
	global_load_dword v40, v[40:41], off
	v_add_u32_e32 v22, s86, v88
	v_readlane_b32 s86, v106, 27
	v_ashrrev_i32_e32 v43, 31, v42
	v_ashrrev_i32_e32 v45, 31, v44
	;; [unrolled: 1-line block ×4, first 2 shown]
	v_add_u32_e32 v24, s86, v88
	v_add_u32_e32 v26, s87, v88
	;; [unrolled: 1-line block ×4, first 2 shown]
	v_lshl_add_u64 v[42:43], v[42:43], 2, s[0:1]
	v_lshl_add_u64 v[44:45], v[44:45], 2, s[0:1]
	;; [unrolled: 1-line block ×4, first 2 shown]
	s_waitcnt vmcnt(17)
	ds_write_b32 v89, v18
	s_waitcnt vmcnt(16)
	ds_write_b32 v89, v48 offset:264
	s_waitcnt vmcnt(15)
	ds_write_b32 v89, v49 offset:528
	;; [unrolled: 2-line block ×7, first 2 shown]
	v_ashrrev_i32_e32 v25, 31, v24
	v_ashrrev_i32_e32 v27, 31, v26
	;; [unrolled: 1-line block ×4, first 2 shown]
	v_lshl_add_u64 v[24:25], v[24:25], 2, s[0:1]
	v_lshl_add_u64 v[26:27], v[26:27], 2, s[0:1]
	;; [unrolled: 1-line block ×4, first 2 shown]
	global_load_dword v18, v[42:43], off
	global_load_dword v41, v[44:45], off
	s_nop 0
	global_load_dword v42, v[46:47], off
	global_load_dword v43, v[22:23], off
	;; [unrolled: 1-line block ×4, first 2 shown]
	s_nop 0
	global_load_dword v46, v[28:29], off
	global_load_dword v47, v[30:31], off
	v_add_u32_e32 v22, s90, v88
	v_ashrrev_i32_e32 v23, 31, v22
	v_add_u32_e32 v24, s91, v88
	v_add_u32_e32 v26, s92, v88
	v_add_u32_e32 v28, s93, v88
	v_add_u32_e32 v30, s94, v88
	v_add_u32_e32 v32, s95, v88
	v_add_u32_e32 v34, s96, v88
	v_add_u32_e32 v36, s97, v88
	v_lshl_add_u64 v[22:23], v[22:23], 2, s[0:1]
	v_ashrrev_i32_e32 v25, 31, v24
	v_ashrrev_i32_e32 v27, 31, v26
	v_ashrrev_i32_e32 v29, 31, v28
	v_ashrrev_i32_e32 v31, 31, v30
	v_ashrrev_i32_e32 v33, 31, v32
	v_ashrrev_i32_e32 v35, 31, v34
	v_ashrrev_i32_e32 v37, 31, v36
	v_lshl_add_u64 v[24:25], v[24:25], 2, s[0:1]
	v_lshl_add_u64 v[26:27], v[26:27], 2, s[0:1]
	v_lshl_add_u64 v[28:29], v[28:29], 2, s[0:1]
	v_lshl_add_u64 v[30:31], v[30:31], 2, s[0:1]
	v_lshl_add_u64 v[32:33], v[32:33], 2, s[0:1]
	v_lshl_add_u64 v[34:35], v[34:35], 2, s[0:1]
	v_lshl_add_u64 v[36:37], v[36:37], 2, s[0:1]
	global_load_dword v48, v[22:23], off
	global_load_dword v49, v[24:25], off
	global_load_dword v50, v[26:27], off
	global_load_dword v51, v[28:29], off
	global_load_dword v52, v[30:31], off
	global_load_dword v53, v[32:33], off
	global_load_dword v64, v[34:35], off
	global_load_dword v65, v[36:37], off
	v_add_u32_e32 v22, s98, v88
	v_ashrrev_i32_e32 v23, 31, v22
	v_add_u32_e32 v24, s99, v88
	v_add_u32_e32 v26, s24, v88
	v_add_u32_e32 v28, s25, v88
	v_add_u32_e32 v30, s22, v88
	v_add_u32_e32 v32, s23, v88
	v_add_u32_e32 v34, s28, v88
	v_add_u32_e32 v36, s29, v88
	v_lshl_add_u64 v[22:23], v[22:23], 2, s[0:1]
	v_ashrrev_i32_e32 v25, 31, v24
	v_ashrrev_i32_e32 v27, 31, v26
	v_ashrrev_i32_e32 v29, 31, v28
	v_ashrrev_i32_e32 v31, 31, v30
	v_ashrrev_i32_e32 v33, 31, v32
	v_ashrrev_i32_e32 v35, 31, v34
	v_ashrrev_i32_e32 v37, 31, v36
	v_lshl_add_u64 v[24:25], v[24:25], 2, s[0:1]
	v_lshl_add_u64 v[26:27], v[26:27], 2, s[0:1]
	v_lshl_add_u64 v[28:29], v[28:29], 2, s[0:1]
	v_lshl_add_u64 v[30:31], v[30:31], 2, s[0:1]
	v_lshl_add_u64 v[32:33], v[32:33], 2, s[0:1]
	v_lshl_add_u64 v[34:35], v[34:35], 2, s[0:1]
	v_lshl_add_u64 v[36:37], v[36:37], 2, s[0:1]
	global_load_dword v66, v[22:23], off
	global_load_dword v67, v[24:25], off
	global_load_dword v68, v[26:27], off
	global_load_dword v69, v[28:29], off
	global_load_dword v70, v[30:31], off
	global_load_dword v71, v[32:33], off
	global_load_dword v72, v[34:35], off
	global_load_dword v73, v[36:37], off
	v_add_u32_e32 v22, s11, v88
	v_ashrrev_i32_e32 v23, 31, v22
	v_add_u32_e32 v24, s30, v88
	v_add_u32_e32 v26, s31, v88
	v_add_u32_e32 v28, s26, v88
	v_add_u32_e32 v30, s27, v88
	v_add_u32_e32 v32, s8, v88
	v_add_u32_e32 v34, s69, v88
	v_add_u32_e32 v36, s70, v88
	v_lshl_add_u64 v[22:23], v[22:23], 2, s[0:1]
	v_ashrrev_i32_e32 v25, 31, v24
	v_ashrrev_i32_e32 v27, 31, v26
	v_ashrrev_i32_e32 v29, 31, v28
	v_ashrrev_i32_e32 v31, 31, v30
	v_ashrrev_i32_e32 v33, 31, v32
	v_ashrrev_i32_e32 v35, 31, v34
	v_ashrrev_i32_e32 v37, 31, v36
	v_lshl_add_u64 v[24:25], v[24:25], 2, s[0:1]
	v_lshl_add_u64 v[26:27], v[26:27], 2, s[0:1]
	v_lshl_add_u64 v[28:29], v[28:29], 2, s[0:1]
	v_lshl_add_u64 v[30:31], v[30:31], 2, s[0:1]
	v_lshl_add_u64 v[32:33], v[32:33], 2, s[0:1]
	v_lshl_add_u64 v[34:35], v[34:35], 2, s[0:1]
	v_lshl_add_u64 v[36:37], v[36:37], 2, s[0:1]
	global_load_dword v74, v[22:23], off
	global_load_dword v75, v[24:25], off
	global_load_dword v76, v[26:27], off
	global_load_dword v77, v[28:29], off
	global_load_dword v78, v[30:31], off
	global_load_dword v79, v[32:33], off
	global_load_dword v80, v[34:35], off
	global_load_dword v81, v[36:37], off
	v_add_u32_e32 v22, s71, v88
	v_ashrrev_i32_e32 v23, 31, v22
	v_add_u32_e32 v24, s73, v88
	v_add_u32_e32 v26, s74, v88
	v_add_u32_e32 v28, s75, v88
	v_add_u32_e32 v30, s76, v88
	v_add_u32_e32 v32, s77, v88
	v_add_u32_e32 v34, s78, v88
	v_add_u32_e32 v36, s79, v88
	v_lshl_add_u64 v[22:23], v[22:23], 2, s[0:1]
	v_ashrrev_i32_e32 v25, 31, v24
	v_ashrrev_i32_e32 v27, 31, v26
	v_ashrrev_i32_e32 v29, 31, v28
	v_ashrrev_i32_e32 v31, 31, v30
	v_ashrrev_i32_e32 v33, 31, v32
	v_ashrrev_i32_e32 v35, 31, v34
	v_ashrrev_i32_e32 v37, 31, v36
	v_lshl_add_u64 v[24:25], v[24:25], 2, s[0:1]
	v_lshl_add_u64 v[26:27], v[26:27], 2, s[0:1]
	v_lshl_add_u64 v[28:29], v[28:29], 2, s[0:1]
	v_lshl_add_u64 v[30:31], v[30:31], 2, s[0:1]
	v_lshl_add_u64 v[32:33], v[32:33], 2, s[0:1]
	v_lshl_add_u64 v[34:35], v[34:35], 2, s[0:1]
	v_lshl_add_u64 v[36:37], v[36:37], 2, s[0:1]
	global_load_dword v82, v[22:23], off
	global_load_dword v83, v[24:25], off
	global_load_dword v84, v[26:27], off
	global_load_dword v85, v[28:29], off
	global_load_dword v91, v[30:31], off
	global_load_dword v92, v[32:33], off
	global_load_dword v93, v[34:35], off
	global_load_dword v94, v[36:37], off
	v_add_u32_e32 v22, s81, v88
	v_ashrrev_i32_e32 v23, 31, v22
	v_add_u32_e32 v24, s82, v88
	v_add_u32_e32 v26, s83, v88
	;; [unrolled: 1-line block ×5, first 2 shown]
	v_lshl_add_u64 v[22:23], v[22:23], 2, s[0:1]
	v_ashrrev_i32_e32 v25, 31, v24
	v_ashrrev_i32_e32 v27, 31, v26
	;; [unrolled: 1-line block ×5, first 2 shown]
	v_lshl_add_u64 v[24:25], v[24:25], 2, s[0:1]
	v_lshl_add_u64 v[26:27], v[26:27], 2, s[0:1]
	;; [unrolled: 1-line block ×5, first 2 shown]
	global_load_dword v95, v[22:23], off
	global_load_dword v96, v[24:25], off
	;; [unrolled: 1-line block ×6, first 2 shown]
	s_waitcnt vmcnt(55)
	ds_write_b32 v89, v55 offset:2112
	s_waitcnt vmcnt(54)
	ds_write_b32 v89, v56 offset:2376
	s_waitcnt vmcnt(53)
	ds_write_b32 v89, v57 offset:2640
	s_waitcnt vmcnt(52)
	ds_write_b32 v89, v58 offset:2904
	s_waitcnt vmcnt(51)
	ds_write_b32 v89, v59 offset:3168
	s_waitcnt vmcnt(50)
	ds_write_b32 v89, v60 offset:3432
	s_waitcnt vmcnt(49)
	ds_write_b32 v89, v61 offset:3696
	s_waitcnt vmcnt(48)
	ds_write_b32 v89, v62 offset:3960
	ds_read_b64 v[38:39], v90
	ds_read_b64 v[34:35], v90 offset:32
	ds_read_b64 v[32:33], v90 offset:64
	ds_read_b64 v[30:31], v90 offset:96
	ds_read_b64 v[28:29], v90 offset:128
	ds_read_b64 v[26:27], v90 offset:160
	ds_read_b64 v[24:25], v90 offset:192
	ds_read_b64 v[22:23], v90 offset:224
	s_waitcnt vmcnt(47)
	ds_write_b32 v89, v63
	s_waitcnt vmcnt(46)
	ds_write_b32 v89, v40 offset:264
	s_waitcnt vmcnt(45)
	ds_write_b32 v89, v18 offset:528
	s_waitcnt vmcnt(44)
	ds_write_b32 v89, v41 offset:792
	s_waitcnt vmcnt(43)
	ds_write_b32 v89, v42 offset:1056
	s_waitcnt vmcnt(42)
	ds_write_b32 v89, v43 offset:1320
	s_waitcnt vmcnt(41)
	ds_write_b32 v89, v44 offset:1584
	s_waitcnt vmcnt(40)
	ds_write_b32 v89, v45 offset:1848
	s_waitcnt vmcnt(39)
	ds_write_b32 v89, v46 offset:2112
	s_waitcnt vmcnt(38)
	ds_write_b32 v89, v47 offset:2376
	s_waitcnt vmcnt(37)
	ds_write_b32 v89, v48 offset:2640
	s_waitcnt vmcnt(36)
	ds_write_b32 v89, v49 offset:2904
	s_waitcnt vmcnt(35)
	ds_write_b32 v89, v50 offset:3168
	s_waitcnt vmcnt(34)
	ds_write_b32 v89, v51 offset:3432
	s_waitcnt vmcnt(33)
	ds_write_b32 v89, v52 offset:3696
	s_waitcnt vmcnt(32)
	ds_write_b32 v89, v53 offset:3960
	ds_read_b64 v[54:55], v90
	ds_read_b64 v[50:51], v90 offset:32
	ds_read_b64 v[48:49], v90 offset:64
	ds_read_b64 v[46:47], v90 offset:96
	ds_read_b64 v[44:45], v90 offset:128
	ds_read_b64 v[42:43], v90 offset:160
	ds_read_b64 v[40:41], v90 offset:192
	ds_read_b64 v[36:37], v90 offset:224
	s_waitcnt vmcnt(31)
	ds_write_b32 v89, v64
	s_waitcnt vmcnt(30)
	ds_write_b32 v89, v65 offset:264
	s_waitcnt vmcnt(29)
	ds_write_b32 v89, v66 offset:528
	s_waitcnt vmcnt(28)
	ds_write_b32 v89, v67 offset:792
	s_waitcnt vmcnt(27)
	ds_write_b32 v89, v68 offset:1056
	s_waitcnt vmcnt(26)
	ds_write_b32 v89, v69 offset:1320
	s_waitcnt vmcnt(25)
	ds_write_b32 v89, v70 offset:1584
	s_waitcnt vmcnt(24)
	ds_write_b32 v89, v71 offset:1848
	;; [unrolled: 40-line block ×3, first 2 shown]
	s_waitcnt vmcnt(7)
	ds_write_b32 v89, v93 offset:2112
	s_waitcnt vmcnt(6)
	ds_write_b32 v89, v94 offset:2376
	;; [unrolled: 2-line block ×8, first 2 shown]
	ds_read_b64 v[84:85], v90
	ds_read_b64 v[82:83], v90 offset:32
	ds_read_b64 v[78:79], v90 offset:64
	;; [unrolled: 1-line block ×7, first 2 shown]
	s_andn2_b64 vcc, exec, s[34:35]
	v_mov_b32_e32 v18, 0
	s_cbranch_vccnz .LBB96_9
; %bb.7:                                ;   in Loop: Header=BB96_6 Depth=1
	s_load_dword vcc_lo, s[36:37], 0x0
	v_mov_b32_e32 v18, 0
	s_waitcnt lgkmcnt(0)
	s_mul_hi_u32 vcc_hi, vcc_lo, s16
	s_add_i32 vcc_hi, vcc_lo, vcc_hi
	s_lshr_b32 s86, vcc_hi, s17
	s_cmp_ge_i32 s86, s13
	s_cbranch_scc1 .LBB96_9
; %bb.8:                                ;   in Loop: Header=BB96_6 Depth=1
	s_mul_i32 vcc_hi, s86, s18
	s_sub_i32 vcc_lo, vcc_lo, vcc_hi
	s_mul_i32 vcc_lo, vcc_lo, s9
	s_mul_i32 s86, s86, s20
	s_add_i32 s86, s86, vcc_lo
	v_add_u32_e32 v92, s86, v88
	v_ashrrev_i32_e32 v93, 31, v92
	v_lshl_add_u64 v[92:93], v[92:93], 2, s[6:7]
	global_load_dword v18, v[92:93], off
.LBB96_9:                               ;   in Loop: Header=BB96_6 Depth=1
	s_andn2_b64 vcc, exec, s[38:39]
	v_mov_b32_e32 v91, 0
	v_mov_b32_e32 v92, 0
	s_cbranch_vccnz .LBB96_12
; %bb.10:                               ;   in Loop: Header=BB96_6 Depth=1
	s_load_dword vcc_lo, s[36:37], 0x4
	v_mov_b32_e32 v92, 0
	s_waitcnt lgkmcnt(0)
	s_mul_hi_u32 s86, vcc_lo, s16
	s_add_i32 s86, vcc_lo, s86
	s_lshr_b32 vcc_hi, s86, s17
	s_cmp_ge_i32 vcc_hi, s13
	s_cbranch_scc1 .LBB96_12
; %bb.11:                               ;   in Loop: Header=BB96_6 Depth=1
	s_mul_i32 s86, vcc_hi, s18
	s_sub_i32 s86, vcc_lo, s86
	s_mul_i32 s86, s86, s9
	s_mul_i32 vcc_lo, vcc_hi, s20
	s_add_i32 vcc_lo, vcc_lo, s86
	v_add_u32_e32 v92, vcc_lo, v88
	v_ashrrev_i32_e32 v93, 31, v92
	v_lshl_add_u64 v[92:93], v[92:93], 2, s[6:7]
	global_load_dword v92, v[92:93], off
.LBB96_12:                              ;   in Loop: Header=BB96_6 Depth=1
	s_andn2_b64 vcc, exec, s[40:41]
	s_cbranch_vccnz .LBB96_15
; %bb.13:                               ;   in Loop: Header=BB96_6 Depth=1
	s_load_dword vcc_lo, s[36:37], 0x8
	v_mov_b32_e32 v91, 0
	s_waitcnt lgkmcnt(0)
	s_mul_hi_u32 s86, vcc_lo, s16
	s_add_i32 s86, vcc_lo, s86
	s_lshr_b32 vcc_hi, s86, s17
	s_cmp_ge_i32 vcc_hi, s13
	s_cbranch_scc1 .LBB96_15
; %bb.14:                               ;   in Loop: Header=BB96_6 Depth=1
	s_mul_i32 s86, vcc_hi, s18
	s_sub_i32 s86, vcc_lo, s86
	s_mul_i32 s86, s86, s9
	s_mul_i32 vcc_lo, vcc_hi, s20
	s_add_i32 vcc_lo, vcc_lo, s86
	v_add_u32_e32 v94, vcc_lo, v88
	v_ashrrev_i32_e32 v95, 31, v94
	v_lshl_add_u64 v[94:95], v[94:95], 2, s[6:7]
	global_load_dword v91, v[94:95], off
.LBB96_15:                              ;   in Loop: Header=BB96_6 Depth=1
	s_andn2_b64 vcc, exec, s[42:43]
	v_mov_b32_e32 v93, 0
	v_mov_b32_e32 v94, 0
	s_cbranch_vccnz .LBB96_18
; %bb.16:                               ;   in Loop: Header=BB96_6 Depth=1
	s_load_dword vcc_lo, s[36:37], 0xc
	v_mov_b32_e32 v94, 0
	s_waitcnt lgkmcnt(0)
	s_mul_hi_u32 s86, vcc_lo, s16
	s_add_i32 s86, vcc_lo, s86
	s_lshr_b32 vcc_hi, s86, s17
	s_cmp_ge_i32 vcc_hi, s13
	s_cbranch_scc1 .LBB96_18
; %bb.17:                               ;   in Loop: Header=BB96_6 Depth=1
	s_mul_i32 s86, vcc_hi, s18
	s_sub_i32 s86, vcc_lo, s86
	s_mul_i32 s86, s86, s9
	s_mul_i32 vcc_lo, vcc_hi, s20
	s_add_i32 vcc_lo, vcc_lo, s86
	v_add_u32_e32 v94, vcc_lo, v88
	v_ashrrev_i32_e32 v95, 31, v94
	v_lshl_add_u64 v[94:95], v[94:95], 2, s[6:7]
	global_load_dword v94, v[94:95], off
.LBB96_18:                              ;   in Loop: Header=BB96_6 Depth=1
	s_andn2_b64 vcc, exec, s[44:45]
	s_cbranch_vccnz .LBB96_21
; %bb.19:                               ;   in Loop: Header=BB96_6 Depth=1
	s_load_dword vcc_lo, s[36:37], 0x10
	v_mov_b32_e32 v93, 0
	s_waitcnt lgkmcnt(0)
	s_mul_hi_u32 s86, vcc_lo, s16
	s_add_i32 s86, vcc_lo, s86
	s_lshr_b32 vcc_hi, s86, s17
	s_cmp_ge_i32 vcc_hi, s13
	s_cbranch_scc1 .LBB96_21
; %bb.20:                               ;   in Loop: Header=BB96_6 Depth=1
	s_mul_i32 s86, vcc_hi, s18
	s_sub_i32 s86, vcc_lo, s86
	s_mul_i32 s86, s86, s9
	s_mul_i32 vcc_lo, vcc_hi, s20
	s_add_i32 vcc_lo, vcc_lo, s86
	v_add_u32_e32 v96, vcc_lo, v88
	v_ashrrev_i32_e32 v97, 31, v96
	v_lshl_add_u64 v[96:97], v[96:97], 2, s[6:7]
	global_load_dword v93, v[96:97], off
.LBB96_21:                              ;   in Loop: Header=BB96_6 Depth=1
	;; [unrolled: 46-line block ×6, first 2 shown]
	s_andn2_b64 vcc, exec, s[62:63]
	v_mov_b32_e32 v103, 0
	s_cbranch_vccnz .LBB96_5
; %bb.46:                               ;   in Loop: Header=BB96_6 Depth=1
	s_load_dword vcc_lo, s[36:37], 0x34
	v_mov_b32_e32 v103, 0
	s_waitcnt lgkmcnt(0)
	s_mul_hi_u32 s86, vcc_lo, s16
	s_add_i32 s86, vcc_lo, s86
	s_lshr_b32 vcc_hi, s86, s17
	s_cmp_ge_i32 vcc_hi, s13
	s_cbranch_scc1 .LBB96_5
; %bb.47:                               ;   in Loop: Header=BB96_6 Depth=1
	s_mul_i32 s86, vcc_hi, s18
	s_sub_i32 s86, vcc_lo, s86
	s_mul_i32 s86, s86, s9
	s_mul_i32 vcc_lo, vcc_hi, s20
	s_add_i32 vcc_lo, vcc_lo, s86
	v_add_u32_e32 v104, vcc_lo, v88
	v_ashrrev_i32_e32 v105, 31, v104
	v_lshl_add_u64 v[104:105], v[104:105], 2, s[6:7]
	global_load_dword v103, v[104:105], off
	s_branch .LBB96_5
.LBB96_48:
	s_or_b64 exec, exec, s[4:5]
	v_readlane_b32 s24, v106, 6
	v_readlane_b32 s26, v106, 9
	;; [unrolled: 1-line block ×9, first 2 shown]
.LBB96_49:
	s_or_b64 exec, exec, s[28:29]
	v_mul_u32_u24_e32 v18, 0x808, v87
	v_lshlrev_b32_e32 v19, 2, v86
	v_add3_u32 v18, 0, v18, v19
	v_and_b32_e32 v19, 0x3f0, v17
	v_add_u32_e32 v19, v18, v19
	s_lshl_b64 s[0:1], s[26:27], 2
	s_barrier
	ds_write2_b32 v19, v8, v9 offset1:1
	ds_write_b32 v19, v10 offset:8
	v_or_b32_e32 v8, 12, v17
	s_add_u32 s4, s22, s0
	v_and_b32_e32 v8, 0x3fc, v8
	s_addc_u32 s5, s23, s1
	v_add_u32_e32 v8, v18, v8
	ds_write_b32 v8, v11
	ds_write2_b32 v19, v4, v5 offset0:16 offset1:17
	ds_write_b32 v19, v6 offset:72
	ds_write_b32 v8, v7 offset:64
	ds_write2_b32 v19, v0, v1 offset0:32 offset1:33
	ds_write_b32 v19, v2 offset:136
	ds_write_b32 v8, v3 offset:128
	;; [unrolled: 3-line block ×3, first 2 shown]
	s_cmp_gt_i32 s14, 0
	v_add_u32_e32 v0, s2, v16
	s_cselect_b64 s[6:7], -1, 0
	v_cmp_gt_i32_e64 s[0:1], s33, v0
	v_cmp_gt_u32_e32 vcc, 14, v16
	s_and_b64 s[0:1], s[6:7], s[0:1]
	v_lshl_add_u32 v3, v17, 2, 0
	v_add_u32_e32 v2, s11, v17
	s_and_b64 s[8:9], vcc, s[0:1]
	s_waitcnt lgkmcnt(0)
	s_barrier
	s_and_saveexec_b64 s[0:1], s[8:9]
	s_cbranch_execz .LBB96_52
; %bb.50:
	v_ashrrev_i32_e32 v1, 31, v0
	v_lshl_add_u64 v[0:1], v[0:1], 2, s[4:5]
	global_load_dword v0, v[0:1], off
	s_waitcnt vmcnt(0)
	v_mul_hi_u32 v1, v0, s19
	v_add_u32_e32 v1, v0, v1
	v_lshrrev_b32_e32 v1, s24, v1
	v_cmp_gt_i32_e32 vcc, s13, v1
	s_and_b64 exec, exec, vcc
	s_cbranch_execz .LBB96_52
; %bb.51:
	s_movk_i32 s3, 0x808
	v_mad_u32_u24 v10, v16, s3, v3
	ds_read2st64_b32 v[4:5], v10 offset1:1
	ds_read2st64_b32 v[6:7], v10 offset0:2 offset1:3
	ds_read2st64_b32 v[8:9], v10 offset0:4 offset1:5
	;; [unrolled: 1-line block ×3, first 2 shown]
	v_mul_lo_u32 v12, v1, s25
	v_sub_u32_e32 v0, v0, v12
	v_mul_lo_u32 v0, v0, s10
	s_waitcnt lgkmcnt(3)
	v_add_f32_e32 v4, 0, v4
	v_add_f32_e32 v4, v4, v5
	s_waitcnt lgkmcnt(2)
	v_add_f32_e32 v4, v4, v6
	v_add_f32_e32 v4, v4, v7
	;; [unrolled: 3-line block ×3, first 2 shown]
	v_mul_lo_u32 v1, v1, s21
	v_readlane_b32 s8, v106, 0
	s_waitcnt lgkmcnt(0)
	v_add_f32_e32 v4, v4, v10
	v_add3_u32 v0, v2, v1, v0
	v_mov_b32_e32 v1, 0
	v_readlane_b32 s9, v106, 1
	v_add_f32_e32 v4, v4, v11
	s_nop 0
	v_lshl_add_u64 v[0:1], v[0:1], 2, s[8:9]
	global_store_dword v[0:1], v4, off
.LBB96_52:
	s_or_b64 exec, exec, s[0:1]
	v_cmp_gt_u32_e32 vcc, 6, v16
	s_and_saveexec_b64 s[0:1], vcc
	s_cbranch_execz .LBB96_56
; %bb.53:
	v_or_b32_e32 v4, 8, v16
	v_add_u32_e32 v0, s2, v4
	v_cmp_gt_i32_e32 vcc, s33, v0
	s_and_b64 s[0:1], s[6:7], vcc
	s_and_b64 exec, exec, s[0:1]
	s_cbranch_execz .LBB96_56
; %bb.54:
	s_ashr_i32 s3, s2, 31
	v_mov_b32_e32 v17, 0
	v_lshl_add_u64 v[0:1], v[16:17], 0, s[2:3]
	v_lshl_add_u64 v[0:1], v[0:1], 2, s[4:5]
	global_load_dword v0, v[0:1], off offset:32
	s_waitcnt vmcnt(0)
	v_mul_hi_u32 v1, v0, s19
	v_add_u32_e32 v1, v0, v1
	v_lshrrev_b32_e32 v1, s24, v1
	v_cmp_gt_i32_e32 vcc, s13, v1
	s_and_b64 exec, exec, vcc
	s_cbranch_execz .LBB96_56
; %bb.55:
	s_movk_i32 s0, 0x808
	v_mad_u32_u24 v3, v4, s0, v3
	ds_read2st64_b32 v[4:5], v3 offset1:1
	ds_read2st64_b32 v[6:7], v3 offset0:2 offset1:3
	ds_read2st64_b32 v[8:9], v3 offset0:4 offset1:5
	;; [unrolled: 1-line block ×3, first 2 shown]
	v_mul_lo_u32 v12, v1, s25
	v_sub_u32_e32 v0, v0, v12
	v_mul_lo_u32 v0, v0, s10
	s_waitcnt lgkmcnt(3)
	v_add_f32_e32 v3, 0, v4
	v_add_f32_e32 v3, v3, v5
	s_waitcnt lgkmcnt(2)
	v_add_f32_e32 v3, v3, v6
	v_add_f32_e32 v3, v3, v7
	;; [unrolled: 3-line block ×3, first 2 shown]
	v_mul_lo_u32 v1, v1, s21
	v_readlane_b32 s0, v106, 0
	s_waitcnt lgkmcnt(0)
	v_add_f32_e32 v3, v3, v10
	v_add3_u32 v16, v2, v1, v0
	v_readlane_b32 s1, v106, 1
	v_add_f32_e32 v3, v3, v11
	s_nop 0
	v_lshl_add_u64 v[0:1], v[16:17], 2, s[0:1]
	global_store_dword v[0:1], v3, off
.LBB96_56:
	s_endpgm
	.section	.rodata,"a",@progbits
	.p2align	6, 0x0
	.amdhsa_kernel _ZL13mul_mat_f_idsIfLi64ELi14ELi8EEvPKT_PKfPKiS6_S6_Pfiiiiiiiiiiiiii15HIP_vector_typeIjLj3EES9_
		.amdhsa_group_segment_fixed_size 0
		.amdhsa_private_segment_fixed_size 0
		.amdhsa_kernarg_size 128
		.amdhsa_user_sgpr_count 2
		.amdhsa_user_sgpr_dispatch_ptr 0
		.amdhsa_user_sgpr_queue_ptr 0
		.amdhsa_user_sgpr_kernarg_segment_ptr 1
		.amdhsa_user_sgpr_dispatch_id 0
		.amdhsa_user_sgpr_kernarg_preload_length 0
		.amdhsa_user_sgpr_kernarg_preload_offset 0
		.amdhsa_user_sgpr_private_segment_size 0
		.amdhsa_uses_dynamic_stack 0
		.amdhsa_enable_private_segment 0
		.amdhsa_system_sgpr_workgroup_id_x 1
		.amdhsa_system_sgpr_workgroup_id_y 1
		.amdhsa_system_sgpr_workgroup_id_z 1
		.amdhsa_system_sgpr_workgroup_info 0
		.amdhsa_system_vgpr_workitem_id 1
		.amdhsa_next_free_vgpr 107
		.amdhsa_next_free_sgpr 100
		.amdhsa_accum_offset 108
		.amdhsa_reserve_vcc 1
		.amdhsa_float_round_mode_32 0
		.amdhsa_float_round_mode_16_64 0
		.amdhsa_float_denorm_mode_32 3
		.amdhsa_float_denorm_mode_16_64 3
		.amdhsa_dx10_clamp 1
		.amdhsa_ieee_mode 1
		.amdhsa_fp16_overflow 0
		.amdhsa_tg_split 0
		.amdhsa_exception_fp_ieee_invalid_op 0
		.amdhsa_exception_fp_denorm_src 0
		.amdhsa_exception_fp_ieee_div_zero 0
		.amdhsa_exception_fp_ieee_overflow 0
		.amdhsa_exception_fp_ieee_underflow 0
		.amdhsa_exception_fp_ieee_inexact 0
		.amdhsa_exception_int_div_zero 0
	.end_amdhsa_kernel
	.section	.text._ZL13mul_mat_f_idsIfLi64ELi14ELi8EEvPKT_PKfPKiS6_S6_Pfiiiiiiiiiiiiii15HIP_vector_typeIjLj3EES9_,"axG",@progbits,_ZL13mul_mat_f_idsIfLi64ELi14ELi8EEvPKT_PKfPKiS6_S6_Pfiiiiiiiiiiiiii15HIP_vector_typeIjLj3EES9_,comdat
.Lfunc_end96:
	.size	_ZL13mul_mat_f_idsIfLi64ELi14ELi8EEvPKT_PKfPKiS6_S6_Pfiiiiiiiiiiiiii15HIP_vector_typeIjLj3EES9_, .Lfunc_end96-_ZL13mul_mat_f_idsIfLi64ELi14ELi8EEvPKT_PKfPKiS6_S6_Pfiiiiiiiiiiiiii15HIP_vector_typeIjLj3EES9_
                                        ; -- End function
	.section	.AMDGPU.csdata,"",@progbits
; Kernel info:
; codeLenInByte = 6380
; NumSgprs: 106
; NumVgprs: 107
; NumAgprs: 0
; TotalNumVgprs: 107
; ScratchSize: 0
; MemoryBound: 0
; FloatMode: 240
; IeeeMode: 1
; LDSByteSize: 0 bytes/workgroup (compile time only)
; SGPRBlocks: 13
; VGPRBlocks: 13
; NumSGPRsForWavesPerEU: 106
; NumVGPRsForWavesPerEU: 107
; AccumOffset: 108
; Occupancy: 4
; WaveLimiterHint : 1
; COMPUTE_PGM_RSRC2:SCRATCH_EN: 0
; COMPUTE_PGM_RSRC2:USER_SGPR: 2
; COMPUTE_PGM_RSRC2:TRAP_HANDLER: 0
; COMPUTE_PGM_RSRC2:TGID_X_EN: 1
; COMPUTE_PGM_RSRC2:TGID_Y_EN: 1
; COMPUTE_PGM_RSRC2:TGID_Z_EN: 1
; COMPUTE_PGM_RSRC2:TIDIG_COMP_CNT: 1
; COMPUTE_PGM_RSRC3_GFX90A:ACCUM_OFFSET: 26
; COMPUTE_PGM_RSRC3_GFX90A:TG_SPLIT: 0
	.section	.text._ZL9mul_mat_fIfLi64ELi14ELi8ELb1EEvPKT_PKfPKiPfiiiiiiiiiiiiiiii,"axG",@progbits,_ZL9mul_mat_fIfLi64ELi14ELi8ELb1EEvPKT_PKfPKiPfiiiiiiiiiiiiiiii,comdat
	.globl	_ZL9mul_mat_fIfLi64ELi14ELi8ELb1EEvPKT_PKfPKiPfiiiiiiiiiiiiiiii ; -- Begin function _ZL9mul_mat_fIfLi64ELi14ELi8ELb1EEvPKT_PKfPKiPfiiiiiiiiiiiiiiii
	.p2align	8
	.type	_ZL9mul_mat_fIfLi64ELi14ELi8ELb1EEvPKT_PKfPKiPfiiiiiiiiiiiiiiii,@function
_ZL9mul_mat_fIfLi64ELi14ELi8ELb1EEvPKT_PKfPKiPfiiiiiiiiiiiiiiii: ; @_ZL9mul_mat_fIfLi64ELi14ELi8ELb1EEvPKT_PKfPKiPfiiiiiiiiiiiiiiii
; %bb.0:
	s_load_dwordx8 s[40:47], s[0:1], 0x20
	s_load_dwordx4 s[48:51], s[0:1], 0x44
	s_load_dword s7, s[0:1], 0x64
	s_load_dwordx2 s[8:9], s[0:1], 0x10
	v_and_b32_e32 v16, 0x3ff, v0
	v_bfe_u32 v17, v0, 10, 10
	s_waitcnt lgkmcnt(0)
	s_add_i32 s6, s41, 13
	s_mul_hi_i32 s5, s6, 0x92492493
	s_add_i32 s5, s5, s6
	s_lshr_b32 s6, s5, 31
	s_ashr_i32 s5, s5, 3
	s_add_i32 s5, s5, s6
	v_cvt_f32_u32_e32 v1, s5
	s_add_u32 s12, s0, 0x60
	s_addc_u32 s13, s1, 0
	s_sub_i32 s6, 0, s5
	v_rcp_iflag_f32_e32 v1, v1
	s_abs_i32 s22, s51
	v_mul_f32_e32 v1, 0x4f7ffffe, v1
	v_cvt_u32_f32_e32 v1, v1
	v_mul_lo_u32 v2, s6, v1
	v_mul_hi_u32 v2, v1, v2
	v_add_u32_e32 v1, v1, v2
	v_mul_hi_u32 v1, s7, v1
	v_mul_lo_u32 v2, v1, s5
	v_sub_u32_e32 v2, s7, v2
	v_add_u32_e32 v3, 1, v1
	v_subrev_u32_e32 v4, s5, v2
	v_cmp_le_u32_e32 vcc, s5, v2
	s_nop 1
	v_cndmask_b32_e32 v1, v1, v3, vcc
	v_cndmask_b32_e32 v2, v2, v4, vcc
	v_add_u32_e32 v3, 1, v1
	v_cmp_le_u32_e32 vcc, s5, v2
	s_sub_i32 s5, 0, s22
	s_nop 0
	v_cndmask_b32_e32 v1, v1, v3, vcc
	v_cvt_f32_u32_e32 v2, v1
	v_cvt_f32_u32_e32 v3, s22
	v_cmp_eq_u32_e32 vcc, 0, v16
	v_rcp_iflag_f32_e32 v2, v2
	v_rcp_iflag_f32_e32 v3, v3
	v_mul_f32_e32 v2, 0x4f7ffffe, v2
	v_cvt_u32_f32_e32 v2, v2
	v_mul_f32_e32 v3, 0x4f7ffffe, v3
	v_cvt_u32_f32_e32 v8, v3
	v_sub_u32_e32 v3, 0, v1
	v_mul_lo_u32 v3, v3, v2
	v_mul_hi_u32 v3, v2, v3
	v_add_u32_e32 v2, v2, v3
	v_mul_hi_u32 v2, s3, v2
	s_and_saveexec_b64 s[6:7], vcc
	s_cbranch_execz .LBB97_2
; %bb.1:
	v_mov_b32_e32 v3, 0x100
	v_lshl_add_u32 v3, v17, 2, v3
	v_mov_b32_e32 v4, -1
	ds_write_b32 v3, v4
.LBB97_2:
	s_or_b64 exec, exec, s[6:7]
	v_mul_lo_u32 v3, v2, v1
	v_sub_u32_e32 v3, s3, v3
	v_add_u32_e32 v4, 1, v2
	v_sub_u32_e32 v5, v3, v1
	v_cmp_ge_u32_e64 s[6:7], v3, v1
	v_mul_lo_u32 v9, s5, v8
	s_nop 0
	v_cndmask_b32_e64 v2, v2, v4, s[6:7]
	v_cndmask_b32_e64 v3, v3, v5, s[6:7]
	v_add_u32_e32 v4, 1, v2
	v_cmp_ge_u32_e64 s[6:7], v3, v1
	s_nop 1
	v_cndmask_b32_e64 v2, v2, v4, s[6:7]
	v_mul_lo_u32 v90, v2, 14
	v_mul_lo_u32 v1, v2, v1
	v_mul_hi_i32 v3, v90, s47
	v_mul_lo_u32 v2, v90, s47
	v_sub_u32_e32 v18, s3, v1
	v_lshlrev_b64 v[2:3], 2, v[2:3]
	v_add_u32_e32 v1, v17, v90
	v_lshl_add_u64 v[2:3], s[8:9], 0, v[2:3]
	v_cmp_gt_i32_e64 s[6:7], s42, v16
	v_cmp_gt_i32_e64 s[24:25], s41, v1
	v_mov_b32_e32 v1, 0
	s_and_saveexec_b64 s[14:15], s[24:25]
	s_cbranch_execz .LBB97_10
; %bb.3:
	v_mov_b32_e32 v1, 0
	s_and_saveexec_b64 s[16:17], s[6:7]
	s_cbranch_execz .LBB97_9
; %bb.4:
	v_mul_lo_u32 v4, v17, s47
	v_ashrrev_i32_e32 v5, 31, v4
	v_mov_b32_e32 v1, 0x100
	v_lshl_add_u64 v[4:5], v[4:5], 2, v[2:3]
	v_lshl_add_u32 v10, v17, 2, v1
	v_mul_lo_u32 v6, v16, s46
	s_lshl_b32 s3, s46, 6
	s_mov_b64 s[18:19], 0
	v_mov_b32_e32 v1, 0
	v_mov_b32_e32 v11, v16
	s_branch .LBB97_6
.LBB97_5:                               ;   in Loop: Header=BB97_6 Depth=1
	s_or_b64 exec, exec, s[20:21]
	v_add_u32_e32 v11, 64, v11
	v_cmp_le_i32_e64 s[10:11], s42, v11
	s_xor_b64 s[8:9], s[8:9], -1
	s_or_b64 s[8:9], s[8:9], s[10:11]
	s_and_b64 s[8:9], exec, s[8:9]
	s_or_b64 s[18:19], s[8:9], s[18:19]
	v_add_u32_e32 v6, s3, v6
	s_andn2_b64 exec, exec, s[18:19]
	s_cbranch_execz .LBB97_8
.LBB97_6:                               ; =>This Inner Loop Header: Depth=1
	v_ashrrev_i32_e32 v7, 31, v6
	v_lshl_add_u64 v[12:13], v[6:7], 2, v[4:5]
	global_load_dword v7, v[12:13], off
	s_waitcnt vmcnt(0)
	v_cmp_ne_u32_e64 s[8:9], v7, v18
	v_cmp_eq_u32_e64 s[10:11], v7, v18
	s_and_saveexec_b64 s[20:21], s[10:11]
	s_cbranch_execz .LBB97_5
; %bb.7:                                ;   in Loop: Header=BB97_6 Depth=1
	v_mov_b32_e32 v1, 1
	ds_write_b32 v10, v11
	s_branch .LBB97_5
.LBB97_8:
	s_or_b64 exec, exec, s[18:19]
.LBB97_9:
	s_or_b64 exec, exec, s[16:17]
.LBB97_10:
	s_or_b64 exec, exec, s[14:15]
	v_mul_hi_u32 v4, v8, v9
	s_and_saveexec_b64 s[8:9], vcc
	s_cbranch_execz .LBB97_12
; %bb.11:
	v_mov_b32_e32 v5, 0x100
	v_lshl_add_u32 v5, v17, 2, v5
	v_mov_b32_e32 v6, -1
	ds_write_b32 v5, v6 offset:32
.LBB97_12:
	s_or_b64 exec, exec, s[8:9]
	s_load_dwordx4 s[28:31], s[0:1], 0x54
	v_add_u32_e32 v91, 8, v17
	s_abs_i32 s3, s4
	v_add_u32_e32 v6, v8, v4
	v_add_u32_e32 v4, v91, v90
	v_cmp_gt_i32_e64 s[10:11], s41, v4
	s_mov_b64 s[8:9], exec
                                        ; implicit-def: $vgpr108 : SGPR spill to VGPR lane
	s_nop 0
	v_writelane_b32 v108, s10, 0
	s_nop 1
	v_writelane_b32 v108, s11, 1
	s_and_b64 s[10:11], s[8:9], s[10:11]
	s_mov_b64 exec, s[10:11]
	s_cbranch_execz .LBB97_20
; %bb.13:
	s_and_saveexec_b64 s[10:11], s[6:7]
	s_cbranch_execz .LBB97_19
; %bb.14:
	v_mul_lo_u32 v4, v91, s47
	v_ashrrev_i32_e32 v5, 31, v4
	v_lshl_add_u64 v[2:3], v[4:5], 2, v[2:3]
	v_mov_b32_e32 v4, 0x100
	v_lshl_add_u32 v7, v17, 2, v4
	v_mul_lo_u32 v4, v16, s46
	s_lshl_b32 s5, s46, 6
	s_mov_b64 s[14:15], 0
	v_mov_b32_e32 v8, v16
	s_branch .LBB97_16
.LBB97_15:                              ;   in Loop: Header=BB97_16 Depth=1
	s_or_b64 exec, exec, s[16:17]
	v_add_u32_e32 v8, 64, v8
	v_cmp_le_i32_e64 s[6:7], s42, v8
	s_xor_b64 s[16:17], vcc, -1
	s_or_b64 s[6:7], s[16:17], s[6:7]
	s_and_b64 s[6:7], exec, s[6:7]
	s_or_b64 s[14:15], s[6:7], s[14:15]
	v_add_u32_e32 v4, s5, v4
	s_andn2_b64 exec, exec, s[14:15]
	s_cbranch_execz .LBB97_18
.LBB97_16:                              ; =>This Inner Loop Header: Depth=1
	v_ashrrev_i32_e32 v5, 31, v4
	v_lshl_add_u64 v[10:11], v[4:5], 2, v[2:3]
	global_load_dword v5, v[10:11], off
	s_waitcnt vmcnt(0)
	v_cmp_ne_u32_e32 vcc, v5, v18
	v_cmp_eq_u32_e64 s[6:7], v5, v18
	s_and_saveexec_b64 s[16:17], s[6:7]
	s_cbranch_execz .LBB97_15
; %bb.17:                               ;   in Loop: Header=BB97_16 Depth=1
	v_mov_b32_e32 v1, 1
	ds_write_b32 v7, v8 offset:32
	s_branch .LBB97_15
.LBB97_18:
	s_or_b64 exec, exec, s[14:15]
.LBB97_19:
	s_or_b64 exec, exec, s[10:11]
.LBB97_20:
	s_or_b64 exec, exec, s[8:9]
	s_load_dwordx2 s[6:7], s[12:13], 0xc
	s_load_dwordx2 s[8:9], s[0:1], 0x8
	;; [unrolled: 1-line block ×3, first 2 shown]
	v_cmp_ne_u32_e32 vcc, 0, v1
	v_mul_hi_u32 v19, s3, v6
	s_waitcnt lgkmcnt(0)
	s_and_b32 s5, s7, 0xffff
	v_cndmask_b32_e64 v1, 0, 1, vcc
	v_writelane_b32 v108, s10, 2
	s_lshr_b32 s7, s6, 16
	v_or_b32_dpp v1, v1, v1 row_shl:1 row_mask:0xf bank_mask:0xf bound_ctrl:1
	s_and_b32 s6, s6, 0xffff
	v_writelane_b32 v108, s11, 3
	v_or_b32_dpp v1, v1, v1 row_shl:2 row_mask:0xf bank_mask:0xf bound_ctrl:1
	s_mul_i32 s10, s7, s6
	s_bfe_i32 s10, s10, 0x180000
	v_or_b32_dpp v1, v1, v1 row_shl:4 row_mask:0xf bank_mask:0xf bound_ctrl:1
	s_mul_i32 s5, s10, s5
	s_add_i32 s10, s5, 63
	v_or_b32_dpp v1, v1, v1 row_shl:8 row_mask:0xf bank_mask:0xf bound_ctrl:1
	s_bitcmp1_b32 exec_hi, 0
                                        ; kill: killed $sgpr12 killed $sgpr13
	s_nop 0
	v_mov_b32_dpp v2, v1 wave_shl:1 row_mask:0xf bank_mask:0xf bound_ctrl:1
	s_nop 1
	v_or_b32_dpp v1, v2, v1 row_mirror row_mask:0xf bank_mask:0xf bound_ctrl:1
	s_nop 0
	v_readlane_b32 s5, v1, 32
	s_cselect_b32 s5, s5, 0
	v_readlane_b32 s11, v1, 0
	s_or_b32 s5, s5, s11
	s_andn2_b32 s10, s10, 63
	s_cmp_lg_u32 s10, 64
	v_mov_b32_e32 v1, s5
	s_cbranch_scc0 .LBB97_27
; %bb.21:
	v_bfe_u32 v0, v0, 20, 10
	v_mbcnt_lo_u32_b32 v1, -1, 0
	v_mad_u32_u24 v0, v0, s7, v17
	v_mbcnt_hi_u32_b32 v2, -1, v1
	v_mad_u64_u32 v[0:1], s[6:7], v0, s6, v[16:17]
	v_lshrrev_b32_e32 v1, 6, v0
	v_or_b32_e32 v1, v2, v1
	v_cmp_eq_u32_e32 vcc, 0, v1
	s_and_saveexec_b64 s[6:7], vcc
	s_cbranch_execz .LBB97_23
; %bb.22:
	v_mov_b32_e32 v1, 0
	v_mov_b32_e32 v3, s5
	ds_write_b32 v1, v3
.LBB97_23:
	s_or_b64 exec, exec, s[6:7]
	v_cmp_eq_u32_e32 vcc, 0, v2
	v_cmp_lt_u32_e64 s[6:7], 63, v0
	s_and_b64 s[10:11], s[6:7], vcc
	s_waitcnt lgkmcnt(0)
	s_barrier
	s_and_saveexec_b64 s[6:7], s[10:11]
	s_cbranch_execz .LBB97_26
; %bb.24:
	v_mbcnt_lo_u32_b32 v0, exec_lo, 0
	v_mbcnt_hi_u32_b32 v0, exec_hi, v0
	v_cmp_eq_u32_e32 vcc, 0, v0
	s_and_b64 exec, exec, vcc
	s_cbranch_execz .LBB97_26
; %bb.25:
	v_mov_b32_e32 v0, 0
	v_mov_b32_e32 v1, s5
	ds_or_b32 v0, v1
.LBB97_26:
	s_or_b64 exec, exec, s[6:7]
	v_mov_b32_e32 v0, 0
	s_waitcnt lgkmcnt(0)
	s_barrier
	ds_read_b32 v1, v0
	s_waitcnt lgkmcnt(0)
	s_barrier
.LBB97_27:
	s_load_dwordx2 s[0:1], s[0:1], 0x0
	v_cmp_ne_u32_e32 vcc, 0, v1
	s_ashr_i32 s5, s4, 31
	s_ashr_i32 s10, s51, 31
	s_cbranch_vccz .LBB97_97
; %bb.28:
	v_lshlrev_b32_e32 v92, 6, v17
	v_add_u32_e32 v94, v92, v16
	v_cmp_le_i32_e32 vcc, s40, v94
	v_and_b32_e32 v93, 15, v16
                                        ; implicit-def: $sgpr11
	s_and_saveexec_b64 s[6:7], vcc
	s_xor_b64 s[6:7], exec, s[6:7]
; %bb.29:
	v_and_b32_e32 v93, 15, v16
	s_mov_b32 s11, 0
                                        ; implicit-def: $vgpr94
                                        ; implicit-def: $vgpr19
                                        ; implicit-def: $vgpr18
; %bb.30:
	s_or_saveexec_b64 s[12:13], s[6:7]
	s_lshl_b32 s6, s2, 6
	v_mov_b32_e32 v11, s11
	v_mov_b32_e32 v10, s11
	;; [unrolled: 1-line block ×16, first 2 shown]
	v_writelane_b32 v108, s12, 4
	s_nop 1
	v_writelane_b32 v108, s13, 5
	s_xor_b64 exec, exec, s[12:13]
	s_cbranch_execz .LBB97_90
; %bb.31:
	v_mul_lo_u32 v0, v19, s22
	v_sub_u32_e32 v0, s3, v0
	v_add_u32_e32 v1, 1, v19
	v_subrev_u32_e32 v2, s22, v0
	v_cmp_le_u32_e32 vcc, s22, v0
	s_xor_b32 s2, s5, s10
	v_writelane_b32 v108, s24, 6
	v_cndmask_b32_e32 v1, v19, v1, vcc
	v_cndmask_b32_e32 v0, v0, v2, vcc
	v_add_u32_e32 v2, 1, v1
	v_cmp_le_u32_e32 vcc, s22, v0
	v_writelane_b32 v108, s25, 7
	v_writelane_b32 v108, s6, 8
	v_cndmask_b32_e32 v0, v1, v2, vcc
	v_xor_b32_e32 v0, s2, v0
	v_subrev_u32_e32 v0, s2, v0
	s_mul_i32 s2, s6, s43
	v_mul_hi_i32 v1, v0, s28
	v_mul_lo_u32 v0, v0, s28
	v_mul_lo_u32 v2, v18, s48
	s_ashr_i32 s3, s2, 31
	v_ashrrev_i32_e32 v3, 31, v2
	v_lshlrev_b64 v[0:1], 2, v[0:1]
	s_lshl_b64 s[6:7], s[2:3], 2
	s_movk_i32 s2, 0x1080
	v_mov_b32_e32 v95, 0x100
	v_writelane_b32 v108, s4, 9
	s_waitcnt lgkmcnt(0)
	v_lshl_add_u64 v[4:5], s[0:1], 0, v[0:1]
	v_lshlrev_b64 v[2:3], 2, v[2:3]
	v_mad_u32_u24 v6, v17, s2, v95
	s_mul_hi_i32 s3, s29, s4
	v_writelane_b32 v108, s28, 10
	s_mul_i32 s2, s29, s4
	v_lshl_add_u64 v[4:5], v[4:5], 0, v[2:3]
	s_lshl_b64 s[2:3], s[2:3], 2
	v_lshl_add_u64 v[18:19], v[4:5], 0, s[6:7]
	v_writelane_b32 v108, s29, 11
	v_mul_hi_i32 v5, v90, s44
	v_mul_lo_u32 v4, v90, s44
	s_add_u32 s2, s8, s2
	v_writelane_b32 v108, s30, 12
	s_addc_u32 s3, s9, s3
	v_lshlrev_b64 v[4:5], 2, v[4:5]
	v_writelane_b32 v108, s31, 13
	v_lshl_add_u64 v[20:21], s[2:3], 0, v[4:5]
	s_lshl_b32 s2, s44, 2
	v_lshl_add_u64 v[0:1], v[0:1], 0, s[6:7]
	v_writelane_b32 v108, s2, 14
	s_lshl_b32 s2, s44, 3
	v_lshl_add_u64 v[0:1], v[0:1], 0, v[2:3]
	v_writelane_b32 v108, s2, 15
	v_lshl_add_u64 v[0:1], s[0:1], 0, v[0:1]
	s_mul_i32 s0, s43, 3
	v_lshrrev_b32_e32 v5, 1, v16
	v_writelane_b32 v108, s0, 16
	s_mul_i32 s0, s43, 5
	v_mul_u32_u24_e32 v4, 0x108, v93
	v_and_b32_e32 v5, 0x1f8, v5
	v_or_b32_e32 v26, 1, v90
	v_add_u32_e32 v27, 2, v90
	s_lshl_b32 s42, s44, 1
	v_add_u32_e32 v28, 3, v90
	v_add_u32_e32 v29, 4, v90
	;; [unrolled: 1-line block ×11, first 2 shown]
	s_ashr_i32 s3, s43, 31
	s_mov_b32 s2, s43
	v_lshlrev_b32_e32 v22, 2, v94
	v_mov_b32_e32 v23, 0
	v_writelane_b32 v108, s0, 17
	s_mul_i32 s0, s43, 6
	v_lshl_add_u32 v96, v16, 2, v6
	v_add3_u32 v97, v6, v4, v5
	s_lshl_b64 s[2:3], s[2:3], 2
	v_lshl_add_u64 v[24:25], v[0:1], 0, v[22:23]
	s_lshl_b32 s64, s43, 1
	s_lshl_b32 s66, s43, 2
	v_writelane_b32 v108, s0, 18
	s_mul_i32 s69, s43, 7
	s_lshl_b32 s70, s43, 3
	s_mul_i32 s71, s43, 9
	s_mul_i32 s72, s43, 10
	;; [unrolled: 1-line block ×7, first 2 shown]
	s_lshl_b32 s78, s43, 4
	s_mul_i32 s79, s43, 17
	s_mul_i32 s80, s43, 18
	;; [unrolled: 1-line block ×15, first 2 shown]
	s_lshl_b32 s94, s43, 5
	s_mul_i32 s95, s43, 33
	s_mul_i32 s96, s43, 34
	;; [unrolled: 1-line block ×11, first 2 shown]
	v_cmp_gt_i32_e64 s[0:1], s41, v90
	s_mul_i32 s56, s43, 44
	s_mul_i32 s46, s43, 45
	v_mov_b32_e32 v12, 0
	v_mov_b32_e32 v13, v23
	;; [unrolled: 1-line block ×16, first 2 shown]
	s_mul_i32 s47, s43, 46
	s_mul_i32 s57, s43, 47
	;; [unrolled: 1-line block ×18, first 2 shown]
	v_cmp_gt_i32_e64 s[6:7], s41, v26
	v_cmp_gt_i32_e64 s[8:9], s41, v27
	;; [unrolled: 1-line block ×13, first 2 shown]
	s_mov_b32 s41, s42
	s_mov_b64 s[42:43], 0
	s_mov_b64 s[52:53], 0x800
	s_branch .LBB97_34
.LBB97_32:                              ;   in Loop: Header=BB97_34 Depth=1
	v_mul_lo_u32 v22, v22, s49
	s_mul_i32 vcc_lo, s44, 13
	v_add_u32_e32 v22, vcc_lo, v22
	v_add_u32_e32 v98, v22, v94
	v_ashrrev_i32_e32 v99, 31, v98
	v_lshl_add_u64 v[98:99], v[98:99], 2, v[20:21]
	global_load_dword v22, v[98:99], off
.LBB97_33:                              ;   in Loop: Header=BB97_34 Depth=1
	v_add_u32_e32 v98, 0xc00, v96
	s_waitcnt vmcnt(0)
	ds_write2_b32 v98, v22, v23 offset0:106 offset1:172
	ds_write_b32 v96, v23 offset:4024
	ds_read2_b64 v[98:101], v97 offset0:8 offset1:12
	v_add_u32_e32 v94, 0x200, v94
	v_cmp_le_i32_e32 vcc, s40, v94
	v_lshl_add_u64 v[24:25], v[24:25], 0, s[52:53]
	s_or_b64 s[42:43], vcc, s[42:43]
	s_waitcnt lgkmcnt(0)
	v_mfma_f32_16x16x8_xf32 v[0:3], v[74:75], v[98:99], v[0:3]
	v_mfma_f32_16x16x8_xf32 v[8:11], v[42:43], v[98:99], v[8:11]
	v_mfma_f32_16x16x8_xf32 v[4:7], v[58:59], v[98:99], v[4:7]
	v_mfma_f32_16x16x8_xf32 v[12:15], v[88:89], v[98:99], v[12:15]
	v_mfma_f32_16x16x8_xf32 v[0:3], v[72:73], v[100:101], v[0:3]
	ds_read2_b64 v[72:75], v97 offset0:16 offset1:20
	v_mfma_f32_16x16x8_xf32 v[8:11], v[38:39], v[100:101], v[8:11]
	v_mfma_f32_16x16x8_xf32 v[4:7], v[54:55], v[100:101], v[4:7]
	v_mfma_f32_16x16x8_xf32 v[12:15], v[86:87], v[100:101], v[12:15]
	s_waitcnt lgkmcnt(0)
	v_mfma_f32_16x16x8_xf32 v[8:11], v[36:37], v[72:73], v[8:11]
	v_mfma_f32_16x16x8_xf32 v[4:7], v[52:53], v[72:73], v[4:7]
	v_mfma_f32_16x16x8_xf32 v[0:3], v[70:71], v[72:73], v[0:3]
	v_mfma_f32_16x16x8_xf32 v[12:15], v[82:83], v[72:73], v[12:15]
	v_mfma_f32_16x16x8_xf32 v[8:11], v[34:35], v[74:75], v[8:11]
	ds_read2_b64 v[34:37], v97 offset0:24 offset1:28
	v_mfma_f32_16x16x8_xf32 v[4:7], v[50:51], v[74:75], v[4:7]
	v_mfma_f32_16x16x8_xf32 v[0:3], v[68:69], v[74:75], v[0:3]
	v_mfma_f32_16x16x8_xf32 v[12:15], v[78:79], v[74:75], v[12:15]
	;; [unrolled: 10-line block ×3, first 2 shown]
	s_waitcnt lgkmcnt(0)
	v_mfma_f32_16x16x8_xf32 v[8:11], v[28:29], v[30:31], v[8:11]
	v_mfma_f32_16x16x8_xf32 v[4:7], v[44:45], v[30:31], v[4:7]
	;; [unrolled: 1-line block ×8, first 2 shown]
	s_andn2_b64 exec, exec, s[42:43]
	s_cbranch_execz .LBB97_89
.LBB97_34:                              ; =>This Inner Loop Header: Depth=1
	v_readlane_b32 vcc_lo, v108, 16
	v_lshl_add_u64 v[26:27], v[24:25], 0, s[2:3]
	global_load_dword v22, v[24:25], off
	global_load_dword v52, v[26:27], off
	v_add_u32_e32 v28, vcc_lo, v94
	v_readlane_b32 vcc_lo, v108, 17
	v_add_u32_e32 v26, s64, v94
	v_ashrrev_i32_e32 v27, 31, v26
	v_add_u32_e32 v32, vcc_lo, v94
	v_readlane_b32 vcc_lo, v108, 18
	v_add_u32_e32 v30, s66, v94
	v_add_u32_e32 v36, s69, v94
	v_add_u32_e32 v34, vcc_lo, v94
	v_lshl_add_u64 v[26:27], v[26:27], 2, v[18:19]
	v_ashrrev_i32_e32 v29, 31, v28
	v_ashrrev_i32_e32 v31, 31, v30
	;; [unrolled: 1-line block ×5, first 2 shown]
	v_lshl_add_u64 v[28:29], v[28:29], 2, v[18:19]
	v_lshl_add_u64 v[30:31], v[30:31], 2, v[18:19]
	v_lshl_add_u64 v[32:33], v[32:33], 2, v[18:19]
	v_lshl_add_u64 v[34:35], v[34:35], 2, v[18:19]
	v_lshl_add_u64 v[36:37], v[36:37], 2, v[18:19]
	global_load_dword v53, v[26:27], off
	global_load_dword v54, v[28:29], off
	;; [unrolled: 1-line block ×6, first 2 shown]
	v_add_u32_e32 v26, s70, v94
	v_add_u32_e32 v44, s79, v94
	;; [unrolled: 1-line block ×10, first 2 shown]
	v_ashrrev_i32_e32 v27, 31, v26
	v_ashrrev_i32_e32 v45, 31, v44
	;; [unrolled: 1-line block ×10, first 2 shown]
	v_lshl_add_u64 v[26:27], v[26:27], 2, v[18:19]
	v_lshl_add_u64 v[44:45], v[44:45], 2, v[18:19]
	v_add_u32_e32 v46, s80, v94
	v_add_u32_e32 v48, s81, v94
	;; [unrolled: 1-line block ×3, first 2 shown]
	v_lshl_add_u64 v[28:29], v[28:29], 2, v[18:19]
	v_lshl_add_u64 v[30:31], v[30:31], 2, v[18:19]
	;; [unrolled: 1-line block ×8, first 2 shown]
	global_load_dword v59, v[26:27], off
	global_load_dword v60, v[28:29], off
	;; [unrolled: 1-line block ×9, first 2 shown]
	s_nop 0
	global_load_dword v44, v[44:45], off
	v_add_u32_e32 v26, s83, v94
	v_ashrrev_i32_e32 v47, 31, v46
	v_ashrrev_i32_e32 v49, 31, v48
	;; [unrolled: 1-line block ×4, first 2 shown]
	v_add_u32_e32 v28, s84, v94
	v_add_u32_e32 v30, s85, v94
	;; [unrolled: 1-line block ×4, first 2 shown]
	v_lshl_add_u64 v[46:47], v[46:47], 2, v[18:19]
	v_lshl_add_u64 v[48:49], v[48:49], 2, v[18:19]
	;; [unrolled: 1-line block ×4, first 2 shown]
	v_ashrrev_i32_e32 v29, 31, v28
	v_ashrrev_i32_e32 v31, 31, v30
	;; [unrolled: 1-line block ×4, first 2 shown]
	v_lshl_add_u64 v[28:29], v[28:29], 2, v[18:19]
	v_lshl_add_u64 v[30:31], v[30:31], 2, v[18:19]
	;; [unrolled: 1-line block ×4, first 2 shown]
	v_add_u32_e32 v36, s93, v94
	v_add_u32_e32 v38, s94, v94
	;; [unrolled: 1-line block ×3, first 2 shown]
	v_ashrrev_i32_e32 v37, 31, v36
	v_ashrrev_i32_e32 v39, 31, v38
	s_waitcnt vmcnt(17)
	ds_write_b32 v96, v22 offset:64
	s_waitcnt vmcnt(16)
	ds_write_b32 v96, v52 offset:328
	;; [unrolled: 2-line block ×8, first 2 shown]
	global_load_dword v22, v[46:47], off
	global_load_dword v45, v[48:49], off
	s_nop 0
	global_load_dword v46, v[50:51], off
	global_load_dword v47, v[26:27], off
	;; [unrolled: 1-line block ×4, first 2 shown]
	s_nop 0
	global_load_dword v50, v[32:33], off
	global_load_dword v51, v[34:35], off
	v_add_u32_e32 v26, s88, v94
	v_ashrrev_i32_e32 v27, 31, v26
	v_add_u32_e32 v28, s89, v94
	v_add_u32_e32 v30, s90, v94
	;; [unrolled: 1-line block ×4, first 2 shown]
	v_lshl_add_u64 v[26:27], v[26:27], 2, v[18:19]
	v_ashrrev_i32_e32 v29, 31, v28
	v_ashrrev_i32_e32 v31, 31, v30
	v_ashrrev_i32_e32 v33, 31, v32
	v_ashrrev_i32_e32 v35, 31, v34
	v_ashrrev_i32_e32 v41, 31, v40
	v_lshl_add_u64 v[28:29], v[28:29], 2, v[18:19]
	v_lshl_add_u64 v[30:31], v[30:31], 2, v[18:19]
	v_lshl_add_u64 v[32:33], v[32:33], 2, v[18:19]
	v_lshl_add_u64 v[34:35], v[34:35], 2, v[18:19]
	v_lshl_add_u64 v[36:37], v[36:37], 2, v[18:19]
	v_lshl_add_u64 v[38:39], v[38:39], 2, v[18:19]
	v_lshl_add_u64 v[40:41], v[40:41], 2, v[18:19]
	global_load_dword v52, v[26:27], off
	global_load_dword v53, v[28:29], off
	global_load_dword v54, v[30:31], off
	global_load_dword v55, v[32:33], off
	global_load_dword v56, v[34:35], off
	global_load_dword v57, v[36:37], off
	global_load_dword v68, v[38:39], off
	global_load_dword v69, v[40:41], off
	v_add_u32_e32 v26, s96, v94
	v_ashrrev_i32_e32 v27, 31, v26
	v_add_u32_e32 v28, s97, v94
	v_add_u32_e32 v30, s98, v94
	v_add_u32_e32 v32, s99, v94
	v_add_u32_e32 v34, s38, v94
	v_add_u32_e32 v36, s39, v94
	v_add_u32_e32 v38, s54, v94
	v_add_u32_e32 v40, s5, v94
	v_lshl_add_u64 v[26:27], v[26:27], 2, v[18:19]
	v_ashrrev_i32_e32 v29, 31, v28
	v_ashrrev_i32_e32 v31, 31, v30
	v_ashrrev_i32_e32 v33, 31, v32
	v_ashrrev_i32_e32 v35, 31, v34
	v_ashrrev_i32_e32 v37, 31, v36
	v_ashrrev_i32_e32 v39, 31, v38
	v_ashrrev_i32_e32 v41, 31, v40
	v_lshl_add_u64 v[28:29], v[28:29], 2, v[18:19]
	v_lshl_add_u64 v[30:31], v[30:31], 2, v[18:19]
	v_lshl_add_u64 v[32:33], v[32:33], 2, v[18:19]
	v_lshl_add_u64 v[34:35], v[34:35], 2, v[18:19]
	v_lshl_add_u64 v[36:37], v[36:37], 2, v[18:19]
	v_lshl_add_u64 v[38:39], v[38:39], 2, v[18:19]
	v_lshl_add_u64 v[40:41], v[40:41], 2, v[18:19]
	global_load_dword v70, v[26:27], off
	global_load_dword v71, v[28:29], off
	global_load_dword v72, v[30:31], off
	global_load_dword v73, v[32:33], off
	global_load_dword v74, v[34:35], off
	global_load_dword v75, v[36:37], off
	global_load_dword v76, v[38:39], off
	global_load_dword v77, v[40:41], off
	v_add_u32_e32 v26, s48, v94
	v_ashrrev_i32_e32 v27, 31, v26
	v_add_u32_e32 v28, s55, v94
	v_add_u32_e32 v30, s56, v94
	v_add_u32_e32 v32, s46, v94
	v_add_u32_e32 v34, s47, v94
	v_add_u32_e32 v36, s57, v94
	v_add_u32_e32 v38, s36, v94
	v_add_u32_e32 v40, s37, v94
	v_lshl_add_u64 v[26:27], v[26:27], 2, v[18:19]
	v_ashrrev_i32_e32 v29, 31, v28
	v_ashrrev_i32_e32 v31, 31, v30
	;; [unrolled: 32-line block ×3, first 2 shown]
	v_ashrrev_i32_e32 v33, 31, v32
	v_ashrrev_i32_e32 v35, 31, v34
	;; [unrolled: 1-line block ×5, first 2 shown]
	v_lshl_add_u64 v[28:29], v[28:29], 2, v[18:19]
	v_lshl_add_u64 v[30:31], v[30:31], 2, v[18:19]
	;; [unrolled: 1-line block ×7, first 2 shown]
	global_load_dword v86, v[26:27], off
	global_load_dword v87, v[28:29], off
	;; [unrolled: 1-line block ×8, first 2 shown]
	v_add_u32_e32 v26, s4, v94
	v_ashrrev_i32_e32 v27, 31, v26
	v_add_u32_e32 v28, s51, v94
	v_add_u32_e32 v30, s58, v94
	;; [unrolled: 1-line block ×5, first 2 shown]
	v_lshl_add_u64 v[26:27], v[26:27], 2, v[18:19]
	v_ashrrev_i32_e32 v29, 31, v28
	v_ashrrev_i32_e32 v31, 31, v30
	;; [unrolled: 1-line block ×5, first 2 shown]
	v_lshl_add_u64 v[28:29], v[28:29], 2, v[18:19]
	v_lshl_add_u64 v[30:31], v[30:31], 2, v[18:19]
	v_lshl_add_u64 v[32:33], v[32:33], 2, v[18:19]
	v_lshl_add_u64 v[34:35], v[34:35], 2, v[18:19]
	v_lshl_add_u64 v[36:37], v[36:37], 2, v[18:19]
	global_load_dword v102, v[26:27], off
	global_load_dword v103, v[28:29], off
	;; [unrolled: 1-line block ×6, first 2 shown]
	s_waitcnt vmcnt(55)
	ds_write_b32 v96, v59 offset:2176
	s_waitcnt vmcnt(54)
	ds_write_b32 v96, v60 offset:2440
	s_waitcnt vmcnt(53)
	ds_write_b32 v96, v61 offset:2704
	s_waitcnt vmcnt(52)
	ds_write_b32 v96, v62 offset:2968
	s_waitcnt vmcnt(51)
	ds_write_b32 v96, v63 offset:3232
	s_waitcnt vmcnt(50)
	ds_write_b32 v96, v64 offset:3496
	s_waitcnt vmcnt(49)
	ds_write_b32 v96, v65 offset:3760
	s_waitcnt vmcnt(48)
	ds_write_b32 v96, v66 offset:4024
	ds_read_b64 v[42:43], v97 offset:64
	ds_read_b64 v[38:39], v97 offset:96
	ds_read_b64 v[36:37], v97 offset:128
	ds_read_b64 v[34:35], v97 offset:160
	ds_read_b64 v[32:33], v97 offset:192
	ds_read_b64 v[30:31], v97 offset:224
	ds_read_b64 v[28:29], v97 offset:256
	ds_read_b64 v[26:27], v97 offset:288
	s_waitcnt vmcnt(47)
	ds_write_b32 v96, v67 offset:64
	s_waitcnt vmcnt(46)
	ds_write_b32 v96, v44 offset:328
	s_waitcnt vmcnt(45)
	ds_write_b32 v96, v22 offset:592
	s_waitcnt vmcnt(44)
	ds_write_b32 v96, v45 offset:856
	s_waitcnt vmcnt(43)
	ds_write_b32 v96, v46 offset:1120
	s_waitcnt vmcnt(42)
	ds_write_b32 v96, v47 offset:1384
	s_waitcnt vmcnt(41)
	ds_write_b32 v96, v48 offset:1648
	s_waitcnt vmcnt(40)
	ds_write_b32 v96, v49 offset:1912
	s_waitcnt vmcnt(39)
	ds_write_b32 v96, v50 offset:2176
	s_waitcnt vmcnt(38)
	ds_write_b32 v96, v51 offset:2440
	s_waitcnt vmcnt(37)
	ds_write_b32 v96, v52 offset:2704
	s_waitcnt vmcnt(36)
	ds_write_b32 v96, v53 offset:2968
	s_waitcnt vmcnt(35)
	ds_write_b32 v96, v54 offset:3232
	s_waitcnt vmcnt(34)
	ds_write_b32 v96, v55 offset:3496
	s_waitcnt vmcnt(33)
	ds_write_b32 v96, v56 offset:3760
	s_waitcnt vmcnt(32)
	ds_write_b32 v96, v57 offset:4024
	ds_read_b64 v[58:59], v97 offset:64
	ds_read_b64 v[54:55], v97 offset:96
	ds_read_b64 v[52:53], v97 offset:128
	ds_read_b64 v[50:51], v97 offset:160
	ds_read_b64 v[48:49], v97 offset:192
	ds_read_b64 v[46:47], v97 offset:224
	ds_read_b64 v[44:45], v97 offset:256
	ds_read_b64 v[40:41], v97 offset:288
	s_waitcnt vmcnt(31)
	ds_write_b32 v96, v68 offset:64
	s_waitcnt vmcnt(30)
	ds_write_b32 v96, v69 offset:328
	s_waitcnt vmcnt(29)
	ds_write_b32 v96, v70 offset:592
	s_waitcnt vmcnt(28)
	ds_write_b32 v96, v71 offset:856
	s_waitcnt vmcnt(27)
	ds_write_b32 v96, v72 offset:1120
	s_waitcnt vmcnt(26)
	ds_write_b32 v96, v73 offset:1384
	s_waitcnt vmcnt(25)
	ds_write_b32 v96, v74 offset:1648
	s_waitcnt vmcnt(24)
	ds_write_b32 v96, v75 offset:1912
	;; [unrolled: 40-line block ×3, first 2 shown]
	s_waitcnt vmcnt(7)
	ds_write_b32 v96, v100 offset:2176
	s_waitcnt vmcnt(6)
	ds_write_b32 v96, v101 offset:2440
	s_waitcnt vmcnt(5)
	ds_write_b32 v96, v102 offset:2704
	s_waitcnt vmcnt(4)
	ds_write_b32 v96, v103 offset:2968
	s_waitcnt vmcnt(3)
	ds_write_b32 v96, v104 offset:3232
	s_waitcnt vmcnt(2)
	ds_write_b32 v96, v105 offset:3496
	s_waitcnt vmcnt(1)
	ds_write_b32 v96, v106 offset:3760
	s_waitcnt vmcnt(0)
	ds_write_b32 v96, v107 offset:4024
	ds_read_b64 v[88:89], v97 offset:64
	ds_read_b64 v[86:87], v97 offset:96
	;; [unrolled: 1-line block ×8, first 2 shown]
	s_andn2_b64 vcc, exec, s[0:1]
	v_mov_b32_e32 v22, 0
	s_cbranch_vccnz .LBB97_38
; %bb.35:                               ;   in Loop: Header=BB97_34 Depth=1
	ds_read_b32 v22, v95
	s_waitcnt lgkmcnt(0)
	v_cmp_gt_i32_e32 vcc, 0, v22
	s_cbranch_vccnz .LBB97_37
; %bb.36:                               ;   in Loop: Header=BB97_34 Depth=1
	v_mul_lo_u32 v22, v22, s49
	v_add_u32_e32 v98, v94, v22
	v_ashrrev_i32_e32 v99, 31, v98
	v_lshl_add_u64 v[98:99], v[98:99], 2, v[20:21]
	global_load_dword v22, v[98:99], off
	s_branch .LBB97_38
.LBB97_37:                              ;   in Loop: Header=BB97_34 Depth=1
	v_mov_b32_e32 v22, 0
.LBB97_38:                              ;   in Loop: Header=BB97_34 Depth=1
	s_waitcnt vmcnt(0)
	ds_write_b32 v96, v22 offset:64
	s_andn2_b64 vcc, exec, s[6:7]
	v_mov_b32_e32 v22, 0
	v_mov_b32_e32 v98, 0
	s_cbranch_vccnz .LBB97_41
; %bb.39:                               ;   in Loop: Header=BB97_34 Depth=1
	ds_read_b32 v98, v95 offset:4
	s_waitcnt lgkmcnt(0)
	v_cmp_gt_i32_e32 vcc, 0, v98
	s_cbranch_vccnz .LBB97_44
; %bb.40:                               ;   in Loop: Header=BB97_34 Depth=1
	v_mul_lo_u32 v98, v98, s49
	v_add_u32_e32 v98, s44, v98
	v_add_u32_e32 v98, v98, v94
	v_ashrrev_i32_e32 v99, 31, v98
	v_lshl_add_u64 v[98:99], v[98:99], 2, v[20:21]
	global_load_dword v98, v[98:99], off
.LBB97_41:                              ;   in Loop: Header=BB97_34 Depth=1
	s_andn2_b64 vcc, exec, s[8:9]
	s_waitcnt vmcnt(0)
	ds_write_b32 v96, v98 offset:328
	s_cbranch_vccnz .LBB97_46
.LBB97_42:                              ;   in Loop: Header=BB97_34 Depth=1
	ds_read_b32 v22, v95 offset:8
	s_waitcnt lgkmcnt(0)
	v_cmp_gt_i32_e32 vcc, 0, v22
	s_cbranch_vccnz .LBB97_45
; %bb.43:                               ;   in Loop: Header=BB97_34 Depth=1
	v_mul_lo_u32 v22, v22, s49
	v_add_u32_e32 v22, s41, v22
	v_add_u32_e32 v98, v22, v94
	v_ashrrev_i32_e32 v99, 31, v98
	v_lshl_add_u64 v[98:99], v[98:99], 2, v[20:21]
	global_load_dword v22, v[98:99], off
	s_branch .LBB97_46
.LBB97_44:                              ;   in Loop: Header=BB97_34 Depth=1
	v_mov_b32_e32 v98, 0
	s_andn2_b64 vcc, exec, s[8:9]
	ds_write_b32 v96, v98 offset:328
	s_cbranch_vccz .LBB97_42
	s_branch .LBB97_46
.LBB97_45:                              ;   in Loop: Header=BB97_34 Depth=1
	v_mov_b32_e32 v22, 0
.LBB97_46:                              ;   in Loop: Header=BB97_34 Depth=1
	s_waitcnt vmcnt(0)
	ds_write_b32 v96, v22 offset:592
	s_andn2_b64 vcc, exec, s[10:11]
	v_mov_b32_e32 v22, 0
	v_mov_b32_e32 v98, 0
	s_cbranch_vccnz .LBB97_49
; %bb.47:                               ;   in Loop: Header=BB97_34 Depth=1
	ds_read_b32 v98, v95 offset:12
	s_waitcnt lgkmcnt(0)
	v_cmp_gt_i32_e32 vcc, 0, v98
	s_cbranch_vccnz .LBB97_52
; %bb.48:                               ;   in Loop: Header=BB97_34 Depth=1
	v_mul_lo_u32 v98, v98, s49
	s_mul_i32 vcc_lo, s44, 3
	v_add_u32_e32 v98, vcc_lo, v98
	v_add_u32_e32 v98, v98, v94
	v_ashrrev_i32_e32 v99, 31, v98
	v_lshl_add_u64 v[98:99], v[98:99], 2, v[20:21]
	global_load_dword v98, v[98:99], off
.LBB97_49:                              ;   in Loop: Header=BB97_34 Depth=1
	s_andn2_b64 vcc, exec, s[12:13]
	s_waitcnt vmcnt(0)
	ds_write_b32 v96, v98 offset:856
	s_cbranch_vccnz .LBB97_54
.LBB97_50:                              ;   in Loop: Header=BB97_34 Depth=1
	ds_read_b32 v22, v95 offset:16
	s_waitcnt lgkmcnt(0)
	v_cmp_gt_i32_e32 vcc, 0, v22
	s_cbranch_vccnz .LBB97_53
; %bb.51:                               ;   in Loop: Header=BB97_34 Depth=1
	v_mul_lo_u32 v22, v22, s49
	v_readlane_b32 vcc_lo, v108, 14
	s_nop 1
	v_add_u32_e32 v22, vcc_lo, v22
	v_add_u32_e32 v98, v22, v94
	v_ashrrev_i32_e32 v99, 31, v98
	v_lshl_add_u64 v[98:99], v[98:99], 2, v[20:21]
	global_load_dword v22, v[98:99], off
	s_branch .LBB97_54
.LBB97_52:                              ;   in Loop: Header=BB97_34 Depth=1
	v_mov_b32_e32 v98, 0
	s_andn2_b64 vcc, exec, s[12:13]
	ds_write_b32 v96, v98 offset:856
	s_cbranch_vccz .LBB97_50
	s_branch .LBB97_54
.LBB97_53:                              ;   in Loop: Header=BB97_34 Depth=1
	v_mov_b32_e32 v22, 0
.LBB97_54:                              ;   in Loop: Header=BB97_34 Depth=1
	s_waitcnt vmcnt(0)
	ds_write_b32 v96, v22 offset:1120
	s_andn2_b64 vcc, exec, s[14:15]
	v_mov_b32_e32 v22, 0
	v_mov_b32_e32 v98, 0
	s_cbranch_vccnz .LBB97_57
; %bb.55:                               ;   in Loop: Header=BB97_34 Depth=1
	ds_read_b32 v98, v95 offset:20
	s_waitcnt lgkmcnt(0)
	v_cmp_gt_i32_e32 vcc, 0, v98
	s_cbranch_vccnz .LBB97_60
; %bb.56:                               ;   in Loop: Header=BB97_34 Depth=1
	v_mul_lo_u32 v98, v98, s49
	s_mul_i32 vcc_lo, s44, 5
	v_add_u32_e32 v98, vcc_lo, v98
	v_add_u32_e32 v98, v98, v94
	v_ashrrev_i32_e32 v99, 31, v98
	v_lshl_add_u64 v[98:99], v[98:99], 2, v[20:21]
	global_load_dword v98, v[98:99], off
.LBB97_57:                              ;   in Loop: Header=BB97_34 Depth=1
	s_andn2_b64 vcc, exec, s[16:17]
	s_waitcnt vmcnt(0)
	ds_write_b32 v96, v98 offset:1384
	s_cbranch_vccnz .LBB97_62
.LBB97_58:                              ;   in Loop: Header=BB97_34 Depth=1
	ds_read_b32 v22, v95 offset:24
	s_waitcnt lgkmcnt(0)
	v_cmp_gt_i32_e32 vcc, 0, v22
	s_cbranch_vccnz .LBB97_61
; %bb.59:                               ;   in Loop: Header=BB97_34 Depth=1
	v_mul_lo_u32 v22, v22, s49
	s_mul_i32 vcc_lo, s44, 6
	v_add_u32_e32 v22, vcc_lo, v22
	v_add_u32_e32 v98, v22, v94
	v_ashrrev_i32_e32 v99, 31, v98
	v_lshl_add_u64 v[98:99], v[98:99], 2, v[20:21]
	global_load_dword v22, v[98:99], off
	s_branch .LBB97_62
.LBB97_60:                              ;   in Loop: Header=BB97_34 Depth=1
	v_mov_b32_e32 v98, 0
	s_andn2_b64 vcc, exec, s[16:17]
	ds_write_b32 v96, v98 offset:1384
	s_cbranch_vccz .LBB97_58
	s_branch .LBB97_62
.LBB97_61:                              ;   in Loop: Header=BB97_34 Depth=1
	v_mov_b32_e32 v22, 0
.LBB97_62:                              ;   in Loop: Header=BB97_34 Depth=1
	s_waitcnt vmcnt(0)
	ds_write_b32 v96, v22 offset:1648
	s_andn2_b64 vcc, exec, s[18:19]
	v_mov_b32_e32 v22, 0
	v_mov_b32_e32 v98, 0
	s_cbranch_vccnz .LBB97_65
; %bb.63:                               ;   in Loop: Header=BB97_34 Depth=1
	ds_read_b32 v98, v95 offset:28
	s_waitcnt lgkmcnt(0)
	v_cmp_gt_i32_e32 vcc, 0, v98
	s_cbranch_vccnz .LBB97_68
; %bb.64:                               ;   in Loop: Header=BB97_34 Depth=1
	v_mul_lo_u32 v98, v98, s49
	s_mul_i32 vcc_lo, s44, 7
	v_add_u32_e32 v98, vcc_lo, v98
	v_add_u32_e32 v98, v98, v94
	v_ashrrev_i32_e32 v99, 31, v98
	v_lshl_add_u64 v[98:99], v[98:99], 2, v[20:21]
	global_load_dword v98, v[98:99], off
.LBB97_65:                              ;   in Loop: Header=BB97_34 Depth=1
	s_andn2_b64 vcc, exec, s[20:21]
	s_waitcnt vmcnt(0)
	ds_write_b32 v96, v98 offset:1912
	s_cbranch_vccnz .LBB97_70
.LBB97_66:                              ;   in Loop: Header=BB97_34 Depth=1
	ds_read_b32 v22, v95 offset:32
	s_waitcnt lgkmcnt(0)
	v_cmp_gt_i32_e32 vcc, 0, v22
	s_cbranch_vccnz .LBB97_69
; %bb.67:                               ;   in Loop: Header=BB97_34 Depth=1
	v_mul_lo_u32 v22, v22, s49
	v_readlane_b32 vcc_lo, v108, 15
	s_nop 1
	v_add_u32_e32 v22, vcc_lo, v22
	v_add_u32_e32 v98, v22, v94
	v_ashrrev_i32_e32 v99, 31, v98
	v_lshl_add_u64 v[98:99], v[98:99], 2, v[20:21]
	global_load_dword v22, v[98:99], off
	s_branch .LBB97_70
.LBB97_68:                              ;   in Loop: Header=BB97_34 Depth=1
	v_mov_b32_e32 v98, 0
	s_andn2_b64 vcc, exec, s[20:21]
	ds_write_b32 v96, v98 offset:1912
	s_cbranch_vccz .LBB97_66
	s_branch .LBB97_70
.LBB97_69:                              ;   in Loop: Header=BB97_34 Depth=1
	v_mov_b32_e32 v22, 0
.LBB97_70:                              ;   in Loop: Header=BB97_34 Depth=1
	s_waitcnt vmcnt(0)
	ds_write_b32 v96, v22 offset:2176
	s_andn2_b64 vcc, exec, s[22:23]
	v_mov_b32_e32 v22, 0
	v_mov_b32_e32 v98, 0
	s_cbranch_vccnz .LBB97_73
; %bb.71:                               ;   in Loop: Header=BB97_34 Depth=1
	ds_read_b32 v98, v95 offset:36
	s_waitcnt lgkmcnt(0)
	v_cmp_gt_i32_e32 vcc, 0, v98
	s_cbranch_vccnz .LBB97_76
; %bb.72:                               ;   in Loop: Header=BB97_34 Depth=1
	v_mul_lo_u32 v98, v98, s49
	s_mul_i32 vcc_lo, s44, 9
	v_add_u32_e32 v98, vcc_lo, v98
	v_add_u32_e32 v98, v98, v94
	v_ashrrev_i32_e32 v99, 31, v98
	v_lshl_add_u64 v[98:99], v[98:99], 2, v[20:21]
	global_load_dword v98, v[98:99], off
.LBB97_73:                              ;   in Loop: Header=BB97_34 Depth=1
	s_andn2_b64 vcc, exec, s[24:25]
	s_waitcnt vmcnt(0)
	ds_write_b32 v96, v98 offset:2440
	s_cbranch_vccnz .LBB97_78
.LBB97_74:                              ;   in Loop: Header=BB97_34 Depth=1
	ds_read_b32 v22, v95 offset:40
	s_waitcnt lgkmcnt(0)
	v_cmp_gt_i32_e32 vcc, 0, v22
	s_cbranch_vccnz .LBB97_77
; %bb.75:                               ;   in Loop: Header=BB97_34 Depth=1
	v_mul_lo_u32 v22, v22, s49
	s_mul_i32 vcc_lo, s44, 10
	v_add_u32_e32 v22, vcc_lo, v22
	v_add_u32_e32 v98, v22, v94
	v_ashrrev_i32_e32 v99, 31, v98
	v_lshl_add_u64 v[98:99], v[98:99], 2, v[20:21]
	global_load_dword v22, v[98:99], off
	s_branch .LBB97_78
.LBB97_76:                              ;   in Loop: Header=BB97_34 Depth=1
	v_mov_b32_e32 v98, 0
	s_andn2_b64 vcc, exec, s[24:25]
	ds_write_b32 v96, v98 offset:2440
	s_cbranch_vccz .LBB97_74
	s_branch .LBB97_78
.LBB97_77:                              ;   in Loop: Header=BB97_34 Depth=1
	v_mov_b32_e32 v22, 0
.LBB97_78:                              ;   in Loop: Header=BB97_34 Depth=1
	s_waitcnt vmcnt(0)
	ds_write_b32 v96, v22 offset:2704
	s_andn2_b64 vcc, exec, s[26:27]
	v_mov_b32_e32 v22, 0
	v_mov_b32_e32 v98, 0
	s_cbranch_vccz .LBB97_81
; %bb.79:                               ;   in Loop: Header=BB97_34 Depth=1
	s_andn2_b64 vcc, exec, s[28:29]
	ds_write_b32 v96, v98 offset:2968
	s_cbranch_vccz .LBB97_84
.LBB97_80:                              ;   in Loop: Header=BB97_34 Depth=1
	ds_write_b32 v96, v22 offset:3232
	s_andn2_b64 vcc, exec, s[30:31]
	v_mov_b32_e32 v22, 0
	s_cbranch_vccnz .LBB97_33
	s_branch .LBB97_87
.LBB97_81:                              ;   in Loop: Header=BB97_34 Depth=1
	ds_read_b32 v98, v95 offset:44
	s_waitcnt lgkmcnt(0)
	v_cmp_gt_i32_e32 vcc, 0, v98
	s_cbranch_vccnz .LBB97_83
; %bb.82:                               ;   in Loop: Header=BB97_34 Depth=1
	v_mul_lo_u32 v98, v98, s49
	s_mul_i32 vcc_lo, s44, 11
	v_add_u32_e32 v98, vcc_lo, v98
	v_add_u32_e32 v98, v98, v94
	v_ashrrev_i32_e32 v99, 31, v98
	v_lshl_add_u64 v[98:99], v[98:99], 2, v[20:21]
	global_load_dword v98, v[98:99], off
	s_andn2_b64 vcc, exec, s[28:29]
	s_waitcnt vmcnt(0)
	ds_write_b32 v96, v98 offset:2968
	s_cbranch_vccnz .LBB97_80
	s_branch .LBB97_84
.LBB97_83:                              ;   in Loop: Header=BB97_34 Depth=1
	v_mov_b32_e32 v98, 0
	s_andn2_b64 vcc, exec, s[28:29]
	ds_write_b32 v96, v98 offset:2968
	s_cbranch_vccnz .LBB97_80
.LBB97_84:                              ;   in Loop: Header=BB97_34 Depth=1
	ds_read_b32 v22, v95 offset:48
	s_waitcnt lgkmcnt(0)
	v_cmp_gt_i32_e32 vcc, 0, v22
	s_cbranch_vccnz .LBB97_86
; %bb.85:                               ;   in Loop: Header=BB97_34 Depth=1
	v_mul_lo_u32 v22, v22, s49
	s_mul_i32 vcc_lo, s44, 12
	v_add_u32_e32 v22, vcc_lo, v22
	v_add_u32_e32 v98, v22, v94
	v_ashrrev_i32_e32 v99, 31, v98
	v_lshl_add_u64 v[98:99], v[98:99], 2, v[20:21]
	global_load_dword v22, v[98:99], off
	s_waitcnt vmcnt(0)
	ds_write_b32 v96, v22 offset:3232
	s_andn2_b64 vcc, exec, s[30:31]
	v_mov_b32_e32 v22, 0
	s_cbranch_vccnz .LBB97_33
	s_branch .LBB97_87
.LBB97_86:                              ;   in Loop: Header=BB97_34 Depth=1
	v_mov_b32_e32 v22, 0
	ds_write_b32 v96, v22 offset:3232
	s_andn2_b64 vcc, exec, s[30:31]
	v_mov_b32_e32 v22, 0
	s_cbranch_vccnz .LBB97_33
.LBB97_87:                              ;   in Loop: Header=BB97_34 Depth=1
	ds_read_b32 v22, v95 offset:52
	s_waitcnt lgkmcnt(0)
	v_cmp_gt_i32_e32 vcc, 0, v22
	s_cbranch_vccz .LBB97_32
; %bb.88:                               ;   in Loop: Header=BB97_34 Depth=1
	v_mov_b32_e32 v22, 0
	s_branch .LBB97_33
.LBB97_89:
	s_or_b64 exec, exec, s[42:43]
	v_readlane_b32 s24, v108, 6
	v_readlane_b32 s28, v108, 10
	;; [unrolled: 1-line block ×8, first 2 shown]
.LBB97_90:
	s_waitcnt lgkmcnt(0)
	v_readlane_b32 s0, v108, 4
	v_readlane_b32 s1, v108, 5
	s_or_b64 exec, exec, s[0:1]
	v_mul_u32_u24_e32 v18, 0x808, v93
	s_movk_i32 s1, 0x100
	v_lshlrev_b32_e32 v19, 2, v92
	v_add3_u32 v18, s1, v18, v19
	v_and_b32_e32 v20, 0x3f0, v16
	v_add_u32_e32 v21, v18, v20
	s_barrier
	v_add_u32_e32 v19, 64, v18
	ds_write2_b32 v21, v8, v9 offset0:16 offset1:17
	v_or_b32_e32 v9, 12, v16
	v_add_u32_e32 v8, v19, v20
	v_and_b32_e32 v9, 0x3fc, v9
	ds_write_b32 v8, v10 offset:8
	v_add_u32_e32 v10, v18, v9
	ds_write_b32 v10, v11 offset:64
	ds_write2_b32 v8, v4, v5 offset0:16 offset1:17
	ds_write_b32 v8, v6 offset:72
	v_add_u32_e32 v4, v19, v9
	ds_write_b32 v4, v7 offset:64
	ds_write2_b32 v8, v0, v1 offset0:32 offset1:33
	ds_write_b32 v8, v2 offset:136
	ds_write_b32 v4, v3 offset:128
	ds_write2_b32 v8, v12, v13 offset0:48 offset1:49
	ds_write_b32 v8, v14 offset:200
	ds_write_b32 v4, v15 offset:192
	v_mov_b32_e32 v0, 0x100
	s_movk_i32 s0, 0x808
	v_lshl_add_u32 v11, v16, 2, v0
	v_mad_u32_u24 v1, v17, s0, v11
	s_waitcnt lgkmcnt(0)
	s_barrier
	ds_read2_b32 v[8:9], v1 offset0:16 offset1:80
	ds_read2_b32 v[4:5], v1 offset0:144 offset1:208
	v_add_u32_e32 v1, 64, v1
	ds_read2st64_b32 v[6:7], v1 offset0:4 offset1:5
	ds_read2st64_b32 v[2:3], v1 offset0:6 offset1:7
	v_cmp_gt_u32_e32 vcc, 14, v17
	v_mov_b32_e32 v12, -1
	s_and_saveexec_b64 s[0:1], vcc
	s_cbranch_execz .LBB97_92
; %bb.91:
	v_lshl_add_u32 v0, v17, 2, v0
	ds_read_b32 v12, v0
.LBB97_92:
	s_or_b64 exec, exec, s[0:1]
	s_mul_hi_i32 s1, s30, s4
	s_mul_i32 s0, s30, s4
	s_lshl_b64 s[0:1], s[0:1], 2
	v_readlane_b32 s2, v108, 2
	v_mul_hi_i32 v1, v90, s45
	v_mul_lo_u32 v0, v90, s45
	v_readlane_b32 s3, v108, 3
	s_add_u32 s0, s2, s0
	s_addc_u32 s1, s3, s1
	v_lshlrev_b64 v[0:1], 2, v[0:1]
	s_waitcnt lgkmcnt(0)
	v_cmp_lt_i32_e32 vcc, -1, v12
	v_add_u32_e32 v10, s6, v16
	v_lshl_add_u64 v[0:1], s[0:1], 0, v[0:1]
	s_and_b64 s[2:3], vcc, s[24:25]
	s_and_saveexec_b64 s[0:1], s[2:3]
	s_cbranch_execz .LBB97_94
; %bb.93:
	v_add_f32_e32 v8, 0, v8
	v_add_f32_e32 v8, v8, v9
	;; [unrolled: 1-line block ×8, first 2 shown]
	v_mul_lo_u32 v2, v12, s50
	v_mul_lo_u32 v3, v17, s45
	v_add3_u32 v2, v10, v3, v2
	v_mov_b32_e32 v3, 0
	v_lshl_add_u64 v[2:3], v[2:3], 2, v[0:1]
	global_store_dword v[2:3], v4, off
.LBB97_94:
	s_or_b64 exec, exec, s[0:1]
	v_cmp_gt_u32_e32 vcc, 6, v17
	s_and_saveexec_b64 s[0:1], vcc
	s_cbranch_execz .LBB97_97
; %bb.95:
	v_mov_b32_e32 v2, 0x100
	v_lshl_add_u32 v2, v17, 2, v2
	ds_read_b32 v2, v2 offset:32
	v_readlane_b32 s0, v108, 0
	v_readlane_b32 s1, v108, 1
	s_waitcnt lgkmcnt(0)
	v_cmp_lt_i32_e32 vcc, -1, v2
	s_and_b64 s[0:1], vcc, s[0:1]
	s_and_b64 exec, exec, s[0:1]
	s_cbranch_execz .LBB97_97
; %bb.96:
	v_mul_u32_u24_e32 v3, 0x808, v17
	v_add_u32_e32 v3, v3, v11
	v_add_u32_e32 v8, 0x80, v3
	ds_read2st64_b32 v[4:5], v8 offset0:64 offset1:65
	v_mul_lo_u32 v11, v2, s50
	ds_read2st64_b32 v[2:3], v8 offset0:66 offset1:67
	ds_read2st64_b32 v[6:7], v8 offset0:68 offset1:69
	;; [unrolled: 1-line block ×3, first 2 shown]
	s_waitcnt lgkmcnt(3)
	v_add_f32_e32 v4, 0, v4
	v_add_f32_e32 v4, v4, v5
	s_waitcnt lgkmcnt(2)
	v_add_f32_e32 v2, v4, v2
	v_add_f32_e32 v2, v2, v3
	;; [unrolled: 3-line block ×4, first 2 shown]
	v_mul_lo_u32 v2, v91, s45
	v_add3_u32 v2, v10, v2, v11
	v_mov_b32_e32 v3, 0
	v_lshl_add_u64 v[0:1], v[2:3], 2, v[0:1]
	global_store_dword v[0:1], v4, off
.LBB97_97:
	s_endpgm
	.section	.rodata,"a",@progbits
	.p2align	6, 0x0
	.amdhsa_kernel _ZL9mul_mat_fIfLi64ELi14ELi8ELb1EEvPKT_PKfPKiPfiiiiiiiiiiiiiiii
		.amdhsa_group_segment_fixed_size 256
		.amdhsa_private_segment_fixed_size 0
		.amdhsa_kernarg_size 352
		.amdhsa_user_sgpr_count 2
		.amdhsa_user_sgpr_dispatch_ptr 0
		.amdhsa_user_sgpr_queue_ptr 0
		.amdhsa_user_sgpr_kernarg_segment_ptr 1
		.amdhsa_user_sgpr_dispatch_id 0
		.amdhsa_user_sgpr_kernarg_preload_length 0
		.amdhsa_user_sgpr_kernarg_preload_offset 0
		.amdhsa_user_sgpr_private_segment_size 0
		.amdhsa_uses_dynamic_stack 0
		.amdhsa_enable_private_segment 0
		.amdhsa_system_sgpr_workgroup_id_x 1
		.amdhsa_system_sgpr_workgroup_id_y 1
		.amdhsa_system_sgpr_workgroup_id_z 1
		.amdhsa_system_sgpr_workgroup_info 0
		.amdhsa_system_vgpr_workitem_id 2
		.amdhsa_next_free_vgpr 109
		.amdhsa_next_free_sgpr 100
		.amdhsa_accum_offset 112
		.amdhsa_reserve_vcc 1
		.amdhsa_float_round_mode_32 0
		.amdhsa_float_round_mode_16_64 0
		.amdhsa_float_denorm_mode_32 3
		.amdhsa_float_denorm_mode_16_64 3
		.amdhsa_dx10_clamp 1
		.amdhsa_ieee_mode 1
		.amdhsa_fp16_overflow 0
		.amdhsa_tg_split 0
		.amdhsa_exception_fp_ieee_invalid_op 0
		.amdhsa_exception_fp_denorm_src 0
		.amdhsa_exception_fp_ieee_div_zero 0
		.amdhsa_exception_fp_ieee_overflow 0
		.amdhsa_exception_fp_ieee_underflow 0
		.amdhsa_exception_fp_ieee_inexact 0
		.amdhsa_exception_int_div_zero 0
	.end_amdhsa_kernel
	.section	.text._ZL9mul_mat_fIfLi64ELi14ELi8ELb1EEvPKT_PKfPKiPfiiiiiiiiiiiiiiii,"axG",@progbits,_ZL9mul_mat_fIfLi64ELi14ELi8ELb1EEvPKT_PKfPKiPfiiiiiiiiiiiiiiii,comdat
.Lfunc_end97:
	.size	_ZL9mul_mat_fIfLi64ELi14ELi8ELb1EEvPKT_PKfPKiPfiiiiiiiiiiiiiiii, .Lfunc_end97-_ZL9mul_mat_fIfLi64ELi14ELi8ELb1EEvPKT_PKfPKiPfiiiiiiiiiiiiiiii
                                        ; -- End function
	.section	.AMDGPU.csdata,"",@progbits
; Kernel info:
; codeLenInByte = 7572
; NumSgprs: 106
; NumVgprs: 109
; NumAgprs: 0
; TotalNumVgprs: 109
; ScratchSize: 0
; MemoryBound: 0
; FloatMode: 240
; IeeeMode: 1
; LDSByteSize: 256 bytes/workgroup (compile time only)
; SGPRBlocks: 13
; VGPRBlocks: 13
; NumSGPRsForWavesPerEU: 106
; NumVGPRsForWavesPerEU: 109
; AccumOffset: 112
; Occupancy: 4
; WaveLimiterHint : 0
; COMPUTE_PGM_RSRC2:SCRATCH_EN: 0
; COMPUTE_PGM_RSRC2:USER_SGPR: 2
; COMPUTE_PGM_RSRC2:TRAP_HANDLER: 0
; COMPUTE_PGM_RSRC2:TGID_X_EN: 1
; COMPUTE_PGM_RSRC2:TGID_Y_EN: 1
; COMPUTE_PGM_RSRC2:TGID_Z_EN: 1
; COMPUTE_PGM_RSRC2:TIDIG_COMP_CNT: 2
; COMPUTE_PGM_RSRC3_GFX90A:ACCUM_OFFSET: 27
; COMPUTE_PGM_RSRC3_GFX90A:TG_SPLIT: 0
	.section	.text._ZL9mul_mat_fIfLi64ELi14ELi8ELb0EEvPKT_PKfPKiPfiiiiiiiiiiiiiiii,"axG",@progbits,_ZL9mul_mat_fIfLi64ELi14ELi8ELb0EEvPKT_PKfPKiPfiiiiiiiiiiiiiiii,comdat
	.globl	_ZL9mul_mat_fIfLi64ELi14ELi8ELb0EEvPKT_PKfPKiPfiiiiiiiiiiiiiiii ; -- Begin function _ZL9mul_mat_fIfLi64ELi14ELi8ELb0EEvPKT_PKfPKiPfiiiiiiiiiiiiiiii
	.p2align	8
	.type	_ZL9mul_mat_fIfLi64ELi14ELi8ELb0EEvPKT_PKfPKiPfiiiiiiiiiiiiiiii,@function
_ZL9mul_mat_fIfLi64ELi14ELi8ELb0EEvPKT_PKfPKiPfiiiiiiiiiiiiiiii: ; @_ZL9mul_mat_fIfLi64ELi14ELi8ELb0EEvPKT_PKfPKiPfiiiiiiiiiiiiiiii
; %bb.0:
	s_load_dword s5, s[0:1], 0x20
	s_load_dwordx4 s[16:19], s[0:1], 0x2c
	v_bfe_u32 v62, v0, 10, 10
	v_lshlrev_b32_e32 v64, 6, v62
	v_and_b32_e32 v63, 0x3ff, v0
	v_add_u32_e32 v66, v64, v63
	s_mov_b32 s20, 0
	s_waitcnt lgkmcnt(0)
	s_ashr_i32 s19, s4, 31
	v_cmp_le_i32_e32 vcc, s5, v66
	v_and_b32_e32 v65, 15, v63
	s_and_saveexec_b64 s[6:7], vcc
	s_xor_b64 s[6:7], exec, s[6:7]
; %bb.1:
	v_and_b32_e32 v65, 15, v63
                                        ; implicit-def: $vgpr66
; %bb.2:
	s_or_saveexec_b64 s[24:25], s[6:7]
	s_load_dwordx8 s[8:15], s[0:1], 0x40
	s_load_dwordx2 s[6:7], s[0:1], 0x18
	s_lshl_b32 s2, s2, 6
	v_mov_b32_e32 v11, s20
	v_mov_b32_e32 v10, s20
	;; [unrolled: 1-line block ×16, first 2 shown]
	s_xor_b64 exec, exec, s[24:25]
	s_cbranch_execz .LBB98_6
; %bb.3:
	s_waitcnt lgkmcnt(0)
	s_abs_i32 s26, s8
	v_cvt_f32_u32_e32 v0, s26
	s_abs_i32 s27, s12
	v_cvt_f32_u32_e32 v1, s27
	s_sub_i32 s20, 0, s26
	v_rcp_iflag_f32_e32 v0, v0
	s_abs_i32 s28, s3
	v_rcp_iflag_f32_e32 v1, v1
	s_sub_i32 s21, 0, s27
	v_mul_f32_e32 v0, 0x4f7ffffe, v0
	v_cvt_u32_f32_e32 v0, v0
	v_mul_f32_e32 v1, 0x4f7ffffe, v1
	v_cvt_u32_f32_e32 v1, v1
	s_abs_i32 s29, s4
	v_mul_lo_u32 v2, s20, v0
	v_mul_hi_u32 v2, v0, v2
	v_add_u32_e32 v0, v0, v2
	v_mul_hi_u32 v0, s28, v0
	v_mul_lo_u32 v3, s21, v1
	v_mul_lo_u32 v2, v0, s26
	v_mul_hi_u32 v3, v1, v3
	v_sub_u32_e32 v2, s28, v2
	v_add_u32_e32 v1, v1, v3
	v_add_u32_e32 v3, 1, v0
	v_subrev_u32_e32 v4, s26, v2
	v_cmp_le_u32_e32 vcc, s26, v2
	s_load_dwordx4 s[20:23], s[0:1], 0x0
	s_ashr_i32 s0, s3, 31
	v_cndmask_b32_e32 v0, v0, v3, vcc
	v_cndmask_b32_e32 v2, v2, v4, vcc
	s_ashr_i32 s1, s8, 31
	v_add_u32_e32 v3, 1, v0
	v_cmp_le_u32_e32 vcc, s26, v2
	s_xor_b32 s0, s0, s1
	v_mul_hi_u32 v1, s29, v1
	v_cndmask_b32_e32 v0, v0, v3, vcc
	v_xor_b32_e32 v0, s0, v0
	v_subrev_u32_e32 v2, s0, v0
	v_mul_lo_u32 v0, v1, s27
	v_sub_u32_e32 v0, s29, v0
	v_add_u32_e32 v3, 1, v1
	v_subrev_u32_e32 v4, s27, v0
	v_cmp_le_u32_e32 vcc, s27, v0
	s_ashr_i32 s8, s12, 31
	s_xor_b32 s0, s19, s8
	v_cndmask_b32_e32 v1, v1, v3, vcc
	v_cndmask_b32_e32 v0, v0, v4, vcc
	v_add_u32_e32 v3, 1, v1
	v_cmp_le_u32_e32 vcc, s27, v0
	v_mul_lo_u32 v2, v2, s9
	s_mul_i32 s12, s3, s10
	v_cndmask_b32_e32 v0, v1, v3, vcc
	v_xor_b32_e32 v0, s0, v0
	v_subrev_u32_e32 v0, s0, v0
	v_ashrrev_i32_e32 v3, 31, v2
	s_mul_i32 s0, s2, s16
	s_ashr_i32 s1, s0, 31
	v_lshlrev_b64 v[2:3], 2, v[2:3]
	v_mul_hi_i32 v1, v0, s13
	v_mul_lo_u32 v0, v0, s13
	s_mul_hi_i32 s9, s14, s4
	s_mul_i32 s8, s14, s4
	s_lshl_b64 s[0:1], s[0:1], 2
	s_waitcnt lgkmcnt(0)
	v_lshl_add_u64 v[2:3], s[20:21], 0, v[2:3]
	s_ashr_i32 s13, s12, 31
	v_lshl_add_u64 v[2:3], v[2:3], 0, s[0:1]
	s_lshl_b64 s[8:9], s[8:9], 2
	s_lshl_b64 s[0:1], s[12:13], 2
	s_add_u32 s12, s22, s0
	s_addc_u32 s13, s23, s1
	s_add_u32 s0, s12, s8
	s_movk_i32 s10, 0x1080
	v_lshrrev_b32_e32 v6, 1, v63
	s_addc_u32 s1, s13, s9
	v_mad_u32_u24 v4, v62, s10, 0
	v_lshlrev_b32_e32 v18, 2, v63
	v_mul_u32_u24_e32 v5, 0x108, v65
	v_and_b32_e32 v6, 0x1f8, v6
	s_ashr_i32 s21, s16, 31
	s_mov_b32 s20, s16
	v_mov_b32_e32 v19, 0
	v_lshlrev_b64 v[0:1], 2, v[0:1]
	v_add_u32_e32 v67, v4, v18
	v_add3_u32 v68, v4, v5, v6
	v_lshlrev_b32_e32 v4, 8, v62
	v_mov_b32_e32 v5, v19
	s_lshl_b64 s[20:21], s[20:21], 2
	v_lshl_add_u64 v[16:17], v[2:3], 0, v[0:1]
	s_ashr_i32 s23, s17, 31
	s_mov_b32 s22, s17
	v_lshl_add_u64 v[0:1], v[0:1], 0, v[4:5]
	v_lshl_add_u64 v[6:7], v[2:3], 0, s[20:21]
	;; [unrolled: 1-line block ×5, first 2 shown]
	s_lshl_b64 s[8:9], s[22:23], 2
	s_add_u32 s8, s12, s8
	s_addc_u32 s9, s13, s9
	v_lshl_add_u64 v[24:25], s[8:9], 0, v[0:1]
	v_lshl_add_u64 v[26:27], s[12:13], 0, v[0:1]
	s_lshl_b32 s10, s17, 1
	s_mul_i32 s14, s17, 3
	s_lshl_b32 s19, s17, 2
	s_mul_i32 s20, s17, 5
	s_mul_i32 s21, s17, 6
	;; [unrolled: 1-line block ×3, first 2 shown]
	s_lshl_b32 s23, s17, 3
	s_mul_i32 s26, s17, 9
	s_mul_i32 s27, s17, 10
	;; [unrolled: 1-line block ×5, first 2 shown]
	s_lshl_b32 s30, s16, 1
	s_mul_i32 s31, s16, 3
	s_lshl_b32 s33, s16, 2
	s_mul_i32 s34, s16, 5
	s_mul_i32 s35, s16, 6
	;; [unrolled: 1-line block ×3, first 2 shown]
	s_lshl_b32 s37, s16, 3
	s_mul_i32 s38, s16, 9
	s_mul_i32 s39, s16, 10
	;; [unrolled: 1-line block ×7, first 2 shown]
	s_lshl_b32 s45, s16, 4
	s_mul_i32 s46, s16, 17
	s_mul_i32 s47, s16, 18
	;; [unrolled: 1-line block ×15, first 2 shown]
	s_lshl_b32 s61, s16, 5
	s_mul_i32 s62, s16, 33
	s_mul_i32 s63, s16, 34
	;; [unrolled: 1-line block ×16, first 2 shown]
	v_mov_b32_e32 v12, v19
	v_mov_b32_e32 v13, v19
	;; [unrolled: 1-line block ×15, first 2 shown]
	s_mul_i32 s78, s16, 49
	s_mul_i32 s79, s16, 50
	;; [unrolled: 1-line block ×15, first 2 shown]
	s_mov_b64 s[8:9], 0
	s_mov_b64 s[12:13], 0x800
.LBB98_4:                               ; =>This Inner Loop Header: Depth=1
	v_add_u32_e32 v52, s30, v66
	v_add_u32_e32 v48, s33, v66
	;; [unrolled: 1-line block ×16, first 2 shown]
	v_ashrrev_i32_e32 v53, 31, v52
	v_ashrrev_i32_e32 v49, 31, v48
	;; [unrolled: 1-line block ×8, first 2 shown]
	v_lshl_add_u64 v[58:59], v[22:23], 0, v[18:19]
	v_lshl_add_u64 v[60:61], v[20:21], 0, v[18:19]
	;; [unrolled: 1-line block ×3, first 2 shown]
	v_add_u32_e32 v76, s47, v66
	v_add_u32_e32 v78, s48, v66
	v_ashrrev_i32_e32 v57, 31, v56
	v_lshl_add_u64 v[52:53], v[52:53], 2, v[16:17]
	v_ashrrev_i32_e32 v55, 31, v54
	v_lshl_add_u64 v[48:49], v[48:49], 2, v[16:17]
	;; [unrolled: 2-line block ×6, first 2 shown]
	v_lshl_add_u64 v[28:29], v[28:29], 2, v[16:17]
	v_lshl_add_u64 v[32:33], v[32:33], 2, v[16:17]
	v_ashrrev_i32_e32 v35, 31, v34
	v_ashrrev_i32_e32 v75, 31, v74
	v_lshl_add_u64 v[72:73], v[24:25], 0, v[18:19]
	v_add_u32_e32 v80, s49, v66
	v_add_u32_e32 v82, s50, v66
	global_load_dword v69, v[58:59], off
	s_nop 0
	global_load_dword v60, v[60:61], off
	s_nop 0
	global_load_dword v58, v[70:71], off
	global_load_dword v59, v[72:73], off
	v_lshl_add_u64 v[56:57], v[56:57], 2, v[16:17]
	global_load_dword v52, v[52:53], off
	s_nop 0
	global_load_dword v53, v[56:57], off
	v_lshl_add_u64 v[54:55], v[54:55], 2, v[16:17]
	global_load_dword v48, v[48:49], off
	s_nop 0
	;; [unrolled: 4-line block ×6, first 2 shown]
	global_load_dword v31, v[38:39], off
	s_nop 0
	global_load_dword v28, v[28:29], off
	s_nop 0
	global_load_dword v29, v[32:33], off
	v_lshl_add_u64 v[32:33], v[34:35], 2, v[16:17]
	v_lshl_add_u64 v[34:35], v[74:75], 2, v[16:17]
	v_ashrrev_i32_e32 v77, 31, v76
	v_ashrrev_i32_e32 v79, 31, v78
	v_add_u32_e32 v84, s51, v66
	v_add_u32_e32 v86, s52, v66
	global_load_dword v32, v[32:33], off
	s_nop 0
	global_load_dword v33, v[34:35], off
	v_lshl_add_u64 v[34:35], v[76:77], 2, v[16:17]
	v_lshl_add_u64 v[38:39], v[78:79], 2, v[16:17]
	v_ashrrev_i32_e32 v81, 31, v80
	v_ashrrev_i32_e32 v83, 31, v82
	v_add_u32_e32 v88, s53, v66
	v_add_u32_e32 v90, s54, v66
	;; [unrolled: 9-line block ×11, first 2 shown]
	global_load_dword v73, v[74:75], off
	s_nop 0
	global_load_dword v74, v[76:77], off
	v_lshl_add_u64 v[76:77], v[82:83], 2, v[16:17]
	v_lshl_add_u64 v[78:79], v[84:85], 2, v[16:17]
	v_ashrrev_i32_e32 v87, 31, v86
	v_ashrrev_i32_e32 v89, 31, v88
	global_load_dword v75, v[76:77], off
	s_nop 0
	global_load_dword v76, v[78:79], off
	v_lshl_add_u64 v[78:79], v[86:87], 2, v[16:17]
	v_lshl_add_u64 v[80:81], v[88:89], 2, v[16:17]
	v_ashrrev_i32_e32 v91, 31, v90
	v_ashrrev_i32_e32 v93, 31, v92
	v_add_u32_e32 v94, s73, v66
	v_add_u32_e32 v82, s74, v66
	global_load_dword v77, v[78:79], off
	s_nop 0
	global_load_dword v78, v[80:81], off
	v_add_u32_e32 v84, s75, v66
	v_lshl_add_u64 v[80:81], v[90:91], 2, v[16:17]
	v_lshl_add_u64 v[86:87], v[92:93], 2, v[16:17]
	global_load_dword v79, v[80:81], off
	s_nop 0
	global_load_dword v80, v[86:87], off
	v_add_u32_e32 v86, s76, v66
	v_ashrrev_i32_e32 v95, 31, v94
	v_ashrrev_i32_e32 v83, 31, v82
	;; [unrolled: 1-line block ×3, first 2 shown]
	v_lshl_add_u64 v[88:89], v[94:95], 2, v[16:17]
	v_lshl_add_u64 v[82:83], v[82:83], 2, v[16:17]
	v_ashrrev_i32_e32 v87, 31, v86
	v_lshl_add_u64 v[84:85], v[84:85], 2, v[16:17]
	global_load_dword v81, v[88:89], off
	s_nop 0
	global_load_dword v82, v[82:83], off
	v_add_u32_e32 v88, s77, v66
	v_lshl_add_u64 v[86:87], v[86:87], 2, v[16:17]
	global_load_dword v83, v[84:85], off
	global_load_dword v90, v[86:87], off
	v_add_u32_e32 v84, s78, v66
	v_ashrrev_i32_e32 v89, 31, v88
	v_ashrrev_i32_e32 v85, 31, v84
	v_lshl_add_u64 v[86:87], v[88:89], 2, v[16:17]
	v_lshl_add_u64 v[84:85], v[84:85], 2, v[16:17]
	global_load_dword v86, v[86:87], off
	s_nop 0
	global_load_dword v87, v[84:85], off
	v_add_u32_e32 v84, s79, v66
	v_ashrrev_i32_e32 v85, 31, v84
	v_lshl_add_u64 v[84:85], v[84:85], 2, v[16:17]
	global_load_dword v88, v[84:85], off
	v_add_u32_e32 v84, s80, v66
	v_ashrrev_i32_e32 v85, 31, v84
	v_lshl_add_u64 v[84:85], v[84:85], 2, v[16:17]
	;; [unrolled: 4-line block ×26, first 2 shown]
	global_load_dword v114, v[84:85], off
	s_waitcnt vmcnt(62)
	ds_write_b32 v67, v69
	ds_write_b32 v67, v60 offset:264
	ds_write_b32 v67, v52 offset:528
	;; [unrolled: 1-line block ×13, first 2 shown]
	s_waitcnt vmcnt(61)
	ds_write_b32 v67, v28 offset:3696
	s_waitcnt vmcnt(60)
	ds_write_b32 v67, v29 offset:3960
	ds_read_b64 v[28:29], v68
	ds_read_b64 v[30:31], v68 offset:32
	ds_read_b64 v[36:37], v68 offset:64
	ds_read_b64 v[40:41], v68 offset:96
	ds_read_b64 v[44:45], v68 offset:128
	ds_read_b64 v[48:49], v68 offset:160
	ds_read_b64 v[52:53], v68 offset:192
	ds_read_b64 v[84:85], v68 offset:224
	s_waitcnt vmcnt(59)
	ds_write_b32 v67, v32
	s_waitcnt vmcnt(58)
	ds_write_b32 v67, v33 offset:264
	s_waitcnt vmcnt(57)
	ds_write_b32 v67, v34 offset:528
	s_waitcnt vmcnt(56)
	ds_write_b32 v67, v35 offset:792
	s_waitcnt vmcnt(55)
	ds_write_b32 v67, v38 offset:1056
	s_waitcnt vmcnt(54)
	ds_write_b32 v67, v39 offset:1320
	s_waitcnt vmcnt(53)
	ds_write_b32 v67, v42 offset:1584
	s_waitcnt vmcnt(52)
	ds_write_b32 v67, v43 offset:1848
	s_waitcnt vmcnt(51)
	ds_write_b32 v67, v46 offset:2112
	s_waitcnt vmcnt(50)
	ds_write_b32 v67, v47 offset:2376
	s_waitcnt vmcnt(49)
	ds_write_b32 v67, v50 offset:2640
	s_waitcnt vmcnt(48)
	ds_write_b32 v67, v51 offset:2904
	s_waitcnt vmcnt(47)
	ds_write_b32 v67, v54 offset:3168
	s_waitcnt vmcnt(46)
	ds_write_b32 v67, v55 offset:3432
	s_waitcnt vmcnt(45)
	ds_write_b32 v67, v56 offset:3696
	s_waitcnt vmcnt(44)
	ds_write_b32 v67, v57 offset:3960
	ds_read_b64 v[32:33], v68
	ds_read_b64 v[34:35], v68 offset:32
	ds_read_b64 v[38:39], v68 offset:64
	ds_read_b64 v[42:43], v68 offset:96
	ds_read_b64 v[46:47], v68 offset:128
	ds_read_b64 v[50:51], v68 offset:160
	ds_read_b64 v[54:55], v68 offset:192
	ds_read_b64 v[56:57], v68 offset:224
	s_waitcnt vmcnt(43)
	ds_write_b32 v67, v61
	s_waitcnt vmcnt(42)
	ds_write_b32 v67, v70 offset:264
	s_waitcnt vmcnt(41)
	ds_write_b32 v67, v71 offset:528
	s_waitcnt vmcnt(40)
	ds_write_b32 v67, v72 offset:792
	s_waitcnt vmcnt(39)
	ds_write_b32 v67, v73 offset:1056
	s_waitcnt vmcnt(38)
	ds_write_b32 v67, v74 offset:1320
	s_waitcnt vmcnt(37)
	ds_write_b32 v67, v75 offset:1584
	s_waitcnt vmcnt(36)
	ds_write_b32 v67, v76 offset:1848
	s_waitcnt vmcnt(35)
	ds_write_b32 v67, v77 offset:2112
	s_waitcnt vmcnt(34)
	ds_write_b32 v67, v78 offset:2376
	s_waitcnt vmcnt(33)
	ds_write_b32 v67, v79 offset:2640
	s_waitcnt vmcnt(32)
	ds_write_b32 v67, v80 offset:2904
	s_waitcnt vmcnt(31)
	ds_write_b32 v67, v81 offset:3168
	s_waitcnt vmcnt(30)
	ds_write_b32 v67, v82 offset:3432
	;; [unrolled: 40-line block ×3, first 2 shown]
	s_waitcnt vmcnt(13)
	ds_write_b32 v67, v101 offset:3696
	s_waitcnt vmcnt(12)
	ds_write_b32 v67, v102 offset:3960
	ds_read_b64 v[86:87], v68
	ds_read_b64 v[88:89], v68 offset:32
	ds_read_b64 v[90:91], v68 offset:64
	;; [unrolled: 1-line block ×7, first 2 shown]
	ds_write_b32 v67, v58
	ds_write_b32 v67, v59 offset:264
	s_waitcnt vmcnt(11)
	ds_write_b32 v67, v103 offset:528
	s_waitcnt vmcnt(10)
	;; [unrolled: 2-line block ×12, first 2 shown]
	ds_write_b32 v67, v114 offset:3432
	ds_write_b32 v67, v19 offset:3696
	;; [unrolled: 1-line block ×3, first 2 shown]
	ds_read_b64 v[58:59], v68
	s_waitcnt lgkmcnt(0)
	v_mfma_f32_16x16x8_xf32 v[8:11], v[28:29], v[58:59], v[8:11]
	ds_read_b64 v[28:29], v68 offset:32
	v_add_u32_e32 v66, 0x200, v66
	v_cmp_le_i32_e32 vcc, s5, v66
	v_mfma_f32_16x16x8_xf32 v[4:7], v[32:33], v[58:59], v[4:7]
	v_lshl_add_u64 v[20:21], v[20:21], 0, s[12:13]
	v_lshl_add_u64 v[22:23], v[22:23], 0, s[12:13]
	;; [unrolled: 1-line block ×3, first 2 shown]
	v_mfma_f32_16x16x8_xf32 v[0:3], v[60:61], v[58:59], v[0:3]
	s_or_b64 s[8:9], vcc, s[8:9]
	v_lshl_add_u64 v[26:27], v[26:27], 0, s[12:13]
	v_mfma_f32_16x16x8_xf32 v[12:15], v[86:87], v[58:59], v[12:15]
	s_waitcnt lgkmcnt(0)
	v_mfma_f32_16x16x8_xf32 v[8:11], v[30:31], v[28:29], v[8:11]
	v_mfma_f32_16x16x8_xf32 v[4:7], v[34:35], v[28:29], v[4:7]
	v_mfma_f32_16x16x8_xf32 v[0:3], v[70:71], v[28:29], v[0:3]
	v_mfma_f32_16x16x8_xf32 v[12:15], v[88:89], v[28:29], v[12:15]
	ds_read_b64 v[28:29], v68 offset:64
	s_waitcnt lgkmcnt(0)
	v_mfma_f32_16x16x8_xf32 v[8:11], v[36:37], v[28:29], v[8:11]
	v_mfma_f32_16x16x8_xf32 v[4:7], v[38:39], v[28:29], v[4:7]
	v_mfma_f32_16x16x8_xf32 v[0:3], v[72:73], v[28:29], v[0:3]
	v_mfma_f32_16x16x8_xf32 v[12:15], v[90:91], v[28:29], v[12:15]
	ds_read_b64 v[28:29], v68 offset:96
	;; [unrolled: 6-line block ×6, first 2 shown]
	s_waitcnt lgkmcnt(0)
	v_mfma_f32_16x16x8_xf32 v[8:11], v[84:85], v[28:29], v[8:11]
	v_mfma_f32_16x16x8_xf32 v[4:7], v[56:57], v[28:29], v[4:7]
	;; [unrolled: 1-line block ×4, first 2 shown]
	s_andn2_b64 exec, exec, s[8:9]
	s_cbranch_execnz .LBB98_4
; %bb.5:
	s_or_b64 exec, exec, s[8:9]
.LBB98_6:
	s_or_b64 exec, exec, s[24:25]
	v_mul_u32_u24_e32 v16, 0x808, v65
	v_lshlrev_b32_e32 v17, 2, v64
	s_waitcnt lgkmcnt(0)
	s_mul_hi_i32 s1, s15, s4
	s_mul_i32 s0, s15, s4
	v_add3_u32 v16, 0, v16, v17
	v_and_b32_e32 v17, 0x3f0, v63
	s_lshl_b64 s[0:1], s[0:1], 2
	v_add_u32_e32 v17, v16, v17
	s_mul_i32 s4, s3, s11
	s_add_u32 s3, s6, s0
	s_barrier
	ds_write2_b32 v17, v8, v9 offset1:1
	ds_write_b32 v17, v10 offset:8
	v_or_b32_e32 v8, 12, v63
	s_addc_u32 s6, s7, s1
	s_ashr_i32 s5, s4, 31
	v_and_b32_e32 v8, 0x3fc, v8
	s_lshl_b64 s[0:1], s[4:5], 2
	v_add_u32_e32 v8, v16, v8
	s_add_u32 s0, s3, s0
	s_movk_i32 s3, 0x808
	ds_write_b32 v8, v11
	ds_write2_b32 v17, v4, v5 offset0:16 offset1:17
	ds_write_b32 v17, v6 offset:72
	ds_write_b32 v8, v7 offset:64
	ds_write2_b32 v17, v0, v1 offset0:32 offset1:33
	ds_write_b32 v17, v2 offset:136
	ds_write_b32 v8, v3 offset:128
	;; [unrolled: 3-line block ×3, first 2 shown]
	v_lshl_add_u32 v1, v63, 2, 0
	v_mad_u32_u24 v8, v62, s3, v1
	s_waitcnt lgkmcnt(0)
	s_barrier
	ds_read2st64_b32 v[2:3], v8 offset1:1
	ds_read2st64_b32 v[4:5], v8 offset0:2 offset1:3
	ds_read2st64_b32 v[6:7], v8 offset0:4 offset1:5
	;; [unrolled: 1-line block ×3, first 2 shown]
	v_add_u32_e32 v0, s2, v63
	s_addc_u32 s1, s6, s1
	v_cmp_gt_u32_e32 vcc, 6, v62
	s_waitcnt lgkmcnt(3)
	v_add_f32_e32 v2, 0, v2
	v_add_f32_e32 v2, v2, v3
	s_waitcnt lgkmcnt(2)
	v_add_f32_e32 v2, v2, v4
	v_add_f32_e32 v2, v2, v5
	;; [unrolled: 3-line block ×4, first 2 shown]
	v_mad_u64_u32 v[2:3], s[4:5], v62, s18, v[0:1]
	v_mov_b32_e32 v3, 0
	v_lshl_add_u64 v[4:5], v[2:3], 2, s[0:1]
	global_store_dword v[4:5], v6, off
	s_and_saveexec_b64 s[4:5], vcc
	s_cbranch_execz .LBB98_8
; %bb.7:
	v_or_b32_e32 v2, 8, v62
	v_mad_u32_u24 v1, v2, s3, v1
	ds_read2st64_b32 v[4:5], v1 offset1:1
	ds_read2st64_b32 v[6:7], v1 offset0:2 offset1:3
	ds_read2st64_b32 v[8:9], v1 offset0:4 offset1:5
	;; [unrolled: 1-line block ×3, first 2 shown]
	s_waitcnt lgkmcnt(3)
	v_add_f32_e32 v1, 0, v4
	v_add_f32_e32 v1, v1, v5
	s_waitcnt lgkmcnt(2)
	v_add_f32_e32 v1, v1, v6
	v_add_f32_e32 v1, v1, v7
	;; [unrolled: 3-line block ×4, first 2 shown]
	v_mad_u64_u32 v[0:1], s[2:3], v2, s18, v[0:1]
	v_mov_b32_e32 v1, v3
	v_lshl_add_u64 v[0:1], v[0:1], 2, s[0:1]
	global_store_dword v[0:1], v4, off
.LBB98_8:
	s_endpgm
	.section	.rodata,"a",@progbits
	.p2align	6, 0x0
	.amdhsa_kernel _ZL9mul_mat_fIfLi64ELi14ELi8ELb0EEvPKT_PKfPKiPfiiiiiiiiiiiiiiii
		.amdhsa_group_segment_fixed_size 0
		.amdhsa_private_segment_fixed_size 0
		.amdhsa_kernarg_size 96
		.amdhsa_user_sgpr_count 2
		.amdhsa_user_sgpr_dispatch_ptr 0
		.amdhsa_user_sgpr_queue_ptr 0
		.amdhsa_user_sgpr_kernarg_segment_ptr 1
		.amdhsa_user_sgpr_dispatch_id 0
		.amdhsa_user_sgpr_kernarg_preload_length 0
		.amdhsa_user_sgpr_kernarg_preload_offset 0
		.amdhsa_user_sgpr_private_segment_size 0
		.amdhsa_uses_dynamic_stack 0
		.amdhsa_enable_private_segment 0
		.amdhsa_system_sgpr_workgroup_id_x 1
		.amdhsa_system_sgpr_workgroup_id_y 1
		.amdhsa_system_sgpr_workgroup_id_z 1
		.amdhsa_system_sgpr_workgroup_info 0
		.amdhsa_system_vgpr_workitem_id 1
		.amdhsa_next_free_vgpr 115
		.amdhsa_next_free_sgpr 92
		.amdhsa_accum_offset 116
		.amdhsa_reserve_vcc 1
		.amdhsa_float_round_mode_32 0
		.amdhsa_float_round_mode_16_64 0
		.amdhsa_float_denorm_mode_32 3
		.amdhsa_float_denorm_mode_16_64 3
		.amdhsa_dx10_clamp 1
		.amdhsa_ieee_mode 1
		.amdhsa_fp16_overflow 0
		.amdhsa_tg_split 0
		.amdhsa_exception_fp_ieee_invalid_op 0
		.amdhsa_exception_fp_denorm_src 0
		.amdhsa_exception_fp_ieee_div_zero 0
		.amdhsa_exception_fp_ieee_overflow 0
		.amdhsa_exception_fp_ieee_underflow 0
		.amdhsa_exception_fp_ieee_inexact 0
		.amdhsa_exception_int_div_zero 0
	.end_amdhsa_kernel
	.section	.text._ZL9mul_mat_fIfLi64ELi14ELi8ELb0EEvPKT_PKfPKiPfiiiiiiiiiiiiiiii,"axG",@progbits,_ZL9mul_mat_fIfLi64ELi14ELi8ELb0EEvPKT_PKfPKiPfiiiiiiiiiiiiiiii,comdat
.Lfunc_end98:
	.size	_ZL9mul_mat_fIfLi64ELi14ELi8ELb0EEvPKT_PKfPKiPfiiiiiiiiiiiiiiii, .Lfunc_end98-_ZL9mul_mat_fIfLi64ELi14ELi8ELb0EEvPKT_PKfPKiPfiiiiiiiiiiiiiiii
                                        ; -- End function
	.section	.AMDGPU.csdata,"",@progbits
; Kernel info:
; codeLenInByte = 5040
; NumSgprs: 98
; NumVgprs: 115
; NumAgprs: 0
; TotalNumVgprs: 115
; ScratchSize: 0
; MemoryBound: 0
; FloatMode: 240
; IeeeMode: 1
; LDSByteSize: 0 bytes/workgroup (compile time only)
; SGPRBlocks: 12
; VGPRBlocks: 14
; NumSGPRsForWavesPerEU: 98
; NumVGPRsForWavesPerEU: 115
; AccumOffset: 116
; Occupancy: 4
; WaveLimiterHint : 0
; COMPUTE_PGM_RSRC2:SCRATCH_EN: 0
; COMPUTE_PGM_RSRC2:USER_SGPR: 2
; COMPUTE_PGM_RSRC2:TRAP_HANDLER: 0
; COMPUTE_PGM_RSRC2:TGID_X_EN: 1
; COMPUTE_PGM_RSRC2:TGID_Y_EN: 1
; COMPUTE_PGM_RSRC2:TGID_Z_EN: 1
; COMPUTE_PGM_RSRC2:TIDIG_COMP_CNT: 1
; COMPUTE_PGM_RSRC3_GFX90A:ACCUM_OFFSET: 28
; COMPUTE_PGM_RSRC3_GFX90A:TG_SPLIT: 0
	.section	.text._ZL13mul_mat_f_idsI7__half2Li64ELi14ELi1EEvPKT_PKfPKiS7_S7_Pfiiiiiiiiiiiiii15HIP_vector_typeIjLj3EESA_,"axG",@progbits,_ZL13mul_mat_f_idsI7__half2Li64ELi14ELi1EEvPKT_PKfPKiS7_S7_Pfiiiiiiiiiiiiii15HIP_vector_typeIjLj3EESA_,comdat
	.globl	_ZL13mul_mat_f_idsI7__half2Li64ELi14ELi1EEvPKT_PKfPKiS7_S7_Pfiiiiiiiiiiiiii15HIP_vector_typeIjLj3EESA_ ; -- Begin function _ZL13mul_mat_f_idsI7__half2Li64ELi14ELi1EEvPKT_PKfPKiS7_S7_Pfiiiiiiiiiiiiii15HIP_vector_typeIjLj3EESA_
	.p2align	8
	.type	_ZL13mul_mat_f_idsI7__half2Li64ELi14ELi1EEvPKT_PKfPKiS7_S7_Pfiiiiiiiiiiiiii15HIP_vector_typeIjLj3EESA_,@function
_ZL13mul_mat_f_idsI7__half2Li64ELi14ELi1EEvPKT_PKfPKiS7_S7_Pfiiiiiiiiiiiiii15HIP_vector_typeIjLj3EESA_: ; @_ZL13mul_mat_f_idsI7__half2Li64ELi14ELi1EEvPKT_PKfPKiS7_S7_Pfiiiiiiiiiiiiii15HIP_vector_typeIjLj3EESA_
; %bb.0:
	s_load_dwordx2 s[6:7], s[0:1], 0x20
	s_mov_b32 s34, s3
	s_ashr_i32 s35, s3, 31
	s_lshl_b64 s[8:9], s[34:35], 2
	s_waitcnt lgkmcnt(0)
	s_add_u32 s6, s6, s8
	s_addc_u32 s7, s7, s9
	s_load_dwordx2 s[26:27], s[6:7], 0x0
	s_waitcnt lgkmcnt(0)
	s_sub_i32 s33, s27, s26
	s_add_i32 s3, s33, 13
	s_mul_hi_i32 s5, s3, 0x92492493
	s_add_i32 s5, s5, s3
	s_lshr_b32 s3, s5, 31
	s_ashr_i32 s5, s5, 3
	s_add_i32 s5, s5, s3
	s_cmp_ge_i32 s4, s5
	s_cbranch_scc1 .LBB99_91
; %bb.1:
	v_bfe_u32 v2, v0, 10, 10
	v_lshlrev_b32_e32 v98, 6, v2
	v_and_b32_e32 v3, 0x3ff, v0
	s_load_dwordx4 s[12:15], s[0:1], 0x30
	s_load_dwordx2 s[20:21], s[0:1], 0x40
	s_load_dwordx4 s[8:11], s[0:1], 0x4c
	s_load_dwordx4 s[16:19], s[0:1], 0x68
	s_load_dwordx2 s[24:25], s[0:1], 0x78
	v_or_b32_e32 v100, v98, v3
	s_ashr_i32 s27, s26, 31
	s_waitcnt lgkmcnt(0)
	v_cmp_le_i32_e32 vcc, s12, v100
	v_and_b32_e32 v0, 15, v3
                                        ; implicit-def: $sgpr3
                                        ; implicit-def: $vgpr99
	s_and_saveexec_b64 s[6:7], vcc
	s_xor_b64 s[6:7], exec, s[6:7]
; %bb.2:
	v_mul_u32_u24_e32 v99, 0x108, v0
	s_mov_b32 s3, 0
                                        ; implicit-def: $vgpr100
                                        ; implicit-def: $vgpr0
; %bb.3:
	s_or_saveexec_b64 s[28:29], s[6:7]
	s_load_dwordx2 s[22:23], s[0:1], 0x18
	s_load_dwordx2 s[6:7], s[0:1], 0x28
                                        ; implicit-def: $vgpr103 : SGPR spill to VGPR lane
	s_lshl_b32 s11, s2, 6
	s_mul_i32 s2, s4, 14
	v_accvgpr_write_b32 a0, s3
	v_accvgpr_write_b32 a1, s3
	s_waitcnt lgkmcnt(0)
	v_writelane_b32 v103, s6, 0
	v_accvgpr_write_b32 a2, s3
	v_accvgpr_write_b32 a3, s3
	;; [unrolled: 1-line block ×14, first 2 shown]
	v_writelane_b32 v103, s7, 1
	s_xor_b64 exec, exec, s[28:29]
	s_cbranch_execz .LBB99_49
; %bb.4:
	v_writelane_b32 v103, s28, 2
	s_movk_i32 s3, 0x1080
	v_mad_u32_u24 v5, v2, s3, 0
	v_writelane_b32 v103, s29, 3
	v_writelane_b32 v103, s22, 4
	v_mul_u32_u24_e32 v99, 0x108, v0
	v_lshrrev_b32_e32 v0, 1, v3
	v_writelane_b32 v103, s23, 5
	v_writelane_b32 v103, s24, 6
	s_load_dwordx4 s[4:7], s[0:1], 0x0
	s_load_dwordx2 s[22:23], s[0:1], 0x10
	v_writelane_b32 v103, s25, 7
	s_mul_i32 s0, s34, s8
	s_mul_i32 s24, s11, s15
	s_ashr_i32 s1, s0, 31
	s_ashr_i32 s25, s24, 31
	s_lshl_b64 s[24:25], s[24:25], 2
	s_lshl_b64 s[0:1], s[0:1], 2
	s_add_u32 s24, s0, s24
	v_writelane_b32 v103, s11, 8
	s_addc_u32 s25, s1, s25
	s_waitcnt lgkmcnt(0)
	s_add_u32 s0, s24, s4
	v_writelane_b32 v103, s26, 9
	s_addc_u32 s1, s25, s5
	v_and_b32_e32 v0, 0x1f8, v0
	v_writelane_b32 v103, s27, 10
	s_lshl_b64 s[26:27], s[26:27], 2
	s_add_u32 s8, s22, s26
	s_addc_u32 s11, s23, s27
	s_cmp_lt_i32 s2, s33
	s_cselect_b64 s[34:35], -1, 0
	s_ashr_i32 s3, s2, 31
	s_lshl_b64 s[22:23], s[2:3], 2
	s_add_u32 s36, s8, s22
	s_addc_u32 s37, s11, s23
	s_or_b32 s3, s2, 1
	s_cmp_lt_i32 s3, s33
	s_cselect_b64 s[38:39], -1, 0
	s_add_i32 s3, s2, 2
	s_cmp_lt_i32 s3, s33
	s_cselect_b64 s[40:41], -1, 0
	s_add_i32 s3, s2, 3
	;; [unrolled: 3-line block ×3, first 2 shown]
	v_mov_b32_e32 v1, 0
	v_lshlrev_b32_e32 v4, 2, v3
	v_add3_u32 v102, v5, v99, v0
	s_cmp_lt_i32 s3, s33
	v_lshlrev_b32_e32 v0, 8, v2
	v_add_u32_e32 v101, v5, v4
	s_cselect_b64 s[44:45], -1, 0
	s_add_i32 s3, s2, 5
	v_lshl_add_u64 v[6:7], s[24:25], 0, v[0:1]
	v_mov_b32_e32 v5, v1
	s_cmp_lt_i32 s3, s33
	v_lshl_add_u64 v[4:5], v[6:7], 0, v[4:5]
	s_cselect_b64 s[46:47], -1, 0
	s_add_i32 s3, s2, 6
	v_lshl_add_u64 v[4:5], s[4:5], 0, v[4:5]
	s_mul_i32 s4, s15, 3
	s_cmp_lt_i32 s3, s33
	v_writelane_b32 v103, s4, 11
	s_mul_i32 s4, s15, 5
	s_cselect_b64 s[48:49], -1, 0
	s_add_i32 s3, s2, 7
	v_writelane_b32 v103, s4, 12
	s_mul_i32 s4, s15, 6
	s_cmp_lt_i32 s3, s33
	v_writelane_b32 v103, s4, 13
	s_mul_i32 s4, s15, 7
	s_cselect_b64 s[50:51], -1, 0
	s_add_i32 s3, s2, 8
	v_writelane_b32 v103, s4, 14
	;; [unrolled: 7-line block ×7, first 2 shown]
	s_mul_i32 s4, s15, 20
	s_cmp_lt_i32 s3, s33
	v_writelane_b32 v103, s4, 25
	s_mul_i32 s4, s15, 21
	s_cselect_b64 s[62:63], -1, 0
	s_ashr_i32 s23, s15, 31
	s_mov_b32 s22, s15
	v_writelane_b32 v103, s4, 26
	s_mul_i32 s4, s15, 22
	s_lshl_b64 s[64:65], s[22:23], 2
	s_lshl_b32 s3, s15, 1
	s_lshl_b32 s68, s15, 2
	;; [unrolled: 1-line block ×4, first 2 shown]
	v_writelane_b32 v103, s4, 27
	s_mul_i32 s87, s15, 23
	s_mul_i32 s88, s15, 24
	;; [unrolled: 1-line block ×5, first 2 shown]
	v_accvgpr_write_b32 a15, 0
	v_accvgpr_write_b32 a14, 0
	;; [unrolled: 1-line block ×16, first 2 shown]
	s_mul_i32 s92, s15, 28
	s_mul_i32 s93, s15, 29
	;; [unrolled: 1-line block ×4, first 2 shown]
	s_lshl_b32 s96, s15, 5
	s_mul_i32 s97, s15, 33
	s_mul_i32 s98, s15, 34
	;; [unrolled: 1-line block ×31, first 2 shown]
	s_mov_b64 s[4:5], 0
	s_mov_b64 s[66:67], 0x100
	s_branch .LBB99_6
.LBB99_5:                               ;   in Loop: Header=BB99_6 Depth=1
	s_waitcnt vmcnt(0)
	v_cvt_f16_f32_e32 v0, v70
	v_cvt_f16_f32_e32 v70, v71
	v_cvt_f16_f32_e32 v71, v74
	v_cvt_f16_f32_e32 v74, v75
	v_cvt_f16_f32_e32 v72, v72
	v_cvt_f16_f32_e32 v73, v73
	v_pack_b32_f16 v0, v0, v70
	v_pack_b32_f16 v70, v71, v74
	ds_write2_b32 v101, v0, v70 offset1:66
	v_cvt_f16_f32_e32 v70, v78
	v_cvt_f16_f32_e32 v71, v79
	v_pack_b32_f16 v0, v72, v73
	v_cvt_f16_f32_e32 v72, v76
	v_cvt_f16_f32_e32 v73, v77
	;; [unrolled: 1-line block ×4, first 2 shown]
	v_pack_b32_f16 v70, v70, v71
	ds_write2_b32 v101, v0, v70 offset0:132 offset1:198
	v_pack_b32_f16 v0, v72, v73
	v_cvt_f16_f32_e32 v71, v80
	v_cvt_f16_f32_e32 v72, v81
	v_pack_b32_f16 v70, v74, v75
	v_cvt_f16_f32_e32 v73, v86
	v_cvt_f16_f32_e32 v74, v87
	v_add_u32_e32 v75, 0x400, v101
	ds_write2_b32 v75, v0, v70 offset0:8 offset1:74
	v_pack_b32_f16 v0, v71, v72
	v_cvt_f16_f32_e32 v71, v84
	v_cvt_f16_f32_e32 v72, v85
	v_pack_b32_f16 v70, v73, v74
	ds_write2_b32 v75, v0, v70 offset0:140 offset1:206
	v_cvt_f16_f32_e32 v0, v90
	v_cvt_f16_f32_e32 v70, v91
	v_pack_b32_f16 v71, v71, v72
	v_cvt_f16_f32_e32 v72, v88
	v_cvt_f16_f32_e32 v73, v89
	v_pack_b32_f16 v0, v0, v70
	v_add_u32_e32 v70, 0x800, v101
	ds_write2_b32 v70, v71, v0 offset0:16 offset1:82
	v_pack_b32_f16 v0, v72, v73
	v_cvt_f16_f32_e32 v71, v94
	v_cvt_f16_f32_e32 v72, v95
	;; [unrolled: 1-line block ×6, first 2 shown]
	v_pack_b32_f16 v71, v71, v72
	ds_write2_b32 v70, v0, v71 offset0:148 offset1:214
	v_pack_b32_f16 v0, v73, v74
	v_pack_b32_f16 v70, v75, v76
	v_add_u32_e32 v71, 0xc00, v101
	ds_write2_b32 v71, v0, v70 offset0:24 offset1:90
	ds_write2_b32 v71, v1, v1 offset0:156 offset1:222
	ds_read2_b64 v[70:73], v102 offset1:4
	s_waitcnt lgkmcnt(0)
	v_mfma_f32_16x16x16_f16 a[0:3], v[12:13], v[70:71], a[0:3]
	v_add_u32_e32 v100, 64, v100
	v_cmp_le_i32_e32 vcc, s12, v100
	v_lshl_add_u64 v[4:5], v[4:5], 0, s[66:67]
	v_mfma_f32_16x16x16_f16 a[4:7], v[38:39], v[70:71], a[4:7]
	s_or_b64 s[4:5], vcc, s[4:5]
	v_mfma_f32_16x16x16_f16 a[8:11], v[52:53], v[70:71], a[8:11]
	v_mfma_f32_16x16x16_f16 a[12:15], v[68:69], v[70:71], a[12:15]
	;; [unrolled: 1-line block ×3, first 2 shown]
	ds_read2_b64 v[10:13], v102 offset0:8 offset1:12
	v_mfma_f32_16x16x16_f16 a[4:7], v[34:35], v[72:73], a[4:7]
	v_mfma_f32_16x16x16_f16 a[8:11], v[50:51], v[72:73], a[8:11]
	;; [unrolled: 1-line block ×3, first 2 shown]
	s_waitcnt lgkmcnt(0)
	v_mfma_f32_16x16x16_f16 a[0:3], v[8:9], v[10:11], a[0:3]
	v_mfma_f32_16x16x16_f16 a[4:7], v[32:33], v[10:11], a[4:7]
	;; [unrolled: 1-line block ×5, first 2 shown]
	ds_read2_b64 v[6:9], v102 offset0:16 offset1:20
	v_mfma_f32_16x16x16_f16 a[4:7], v[30:31], v[12:13], a[4:7]
	v_mfma_f32_16x16x16_f16 a[8:11], v[46:47], v[12:13], a[8:11]
	;; [unrolled: 1-line block ×3, first 2 shown]
	s_waitcnt lgkmcnt(0)
	v_mfma_f32_16x16x16_f16 a[0:3], v[20:21], v[6:7], a[0:3]
	v_mfma_f32_16x16x16_f16 a[4:7], v[28:29], v[6:7], a[4:7]
	;; [unrolled: 1-line block ×8, first 2 shown]
	ds_read2_b64 v[6:9], v102 offset0:24 offset1:28
	s_waitcnt lgkmcnt(0)
	v_mfma_f32_16x16x16_f16 a[0:3], v[16:17], v[6:7], a[0:3]
	v_mfma_f32_16x16x16_f16 a[4:7], v[24:25], v[6:7], a[4:7]
	;; [unrolled: 1-line block ×8, first 2 shown]
	s_andn2_b64 exec, exec, s[4:5]
	s_cbranch_execz .LBB99_48
.LBB99_6:                               ; =>This Inner Loop Header: Depth=1
	v_readlane_b32 s86, v103, 11
	v_lshl_add_u64 v[6:7], v[4:5], 0, s[64:65]
	global_load_dword v0, v[4:5], off
	global_load_dword v22, v[6:7], off
	v_add_u32_e32 v8, s86, v100
	v_readlane_b32 s86, v103, 12
	v_add_u32_e32 v6, s3, v100
	v_add_u32_e32 v18, s72, v100
	;; [unrolled: 1-line block ×3, first 2 shown]
	v_readlane_b32 s86, v103, 13
	v_ashrrev_i32_e32 v7, 31, v6
	v_add_u32_e32 v10, s68, v100
	v_add_u32_e32 v14, s86, v100
	v_readlane_b32 s86, v103, 14
	v_ashrrev_i32_e32 v19, 31, v18
	v_lshl_add_u64 v[6:7], v[6:7], 2, s[0:1]
	v_add_u32_e32 v16, s86, v100
	v_readlane_b32 s86, v103, 15
	v_ashrrev_i32_e32 v9, 31, v8
	v_ashrrev_i32_e32 v11, 31, v10
	v_add_u32_e32 v20, s86, v100
	v_ashrrev_i32_e32 v13, 31, v12
	v_ashrrev_i32_e32 v15, 31, v14
	;; [unrolled: 1-line block ×3, first 2 shown]
	v_lshl_add_u64 v[18:19], v[18:19], 2, s[0:1]
	v_ashrrev_i32_e32 v21, 31, v20
	v_readlane_b32 s86, v103, 16
	v_lshl_add_u64 v[8:9], v[8:9], 2, s[0:1]
	v_lshl_add_u64 v[10:11], v[10:11], 2, s[0:1]
	;; [unrolled: 1-line block ×6, first 2 shown]
	global_load_dword v23, v[6:7], off
	global_load_dword v24, v[8:9], off
	;; [unrolled: 1-line block ×6, first 2 shown]
	s_nop 0
	global_load_dword v18, v[18:19], off
	s_nop 0
	global_load_dword v19, v[20:21], off
	v_add_u32_e32 v6, s86, v100
	v_readlane_b32 s86, v103, 17
	v_ashrrev_i32_e32 v7, 31, v6
	v_lshl_add_u64 v[6:7], v[6:7], 2, s[0:1]
	v_add_u32_e32 v8, s86, v100
	v_readlane_b32 s86, v103, 18
	v_ashrrev_i32_e32 v9, 31, v8
	v_lshl_add_u64 v[8:9], v[8:9], 2, s[0:1]
	;; [unrolled: 4-line block ×5, first 2 shown]
	v_add_u32_e32 v16, s86, v100
	v_ashrrev_i32_e32 v17, 31, v16
	v_lshl_add_u64 v[16:17], v[16:17], 2, s[0:1]
	global_load_dword v20, v[6:7], off
	global_load_dword v21, v[8:9], off
	s_nop 0
	global_load_dword v10, v[10:11], off
	s_nop 0
	;; [unrolled: 2-line block ×3, first 2 shown]
	global_load_dword v12, v[14:15], off
	global_load_dword v13, v[16:17], off
	v_readlane_b32 s86, v103, 22
	v_add_u32_e32 v6, s80, v100
	v_ashrrev_i32_e32 v7, 31, v6
	v_add_u32_e32 v8, s86, v100
	v_readlane_b32 s86, v103, 23
	v_ashrrev_i32_e32 v9, 31, v8
	v_lshl_add_u64 v[6:7], v[6:7], 2, s[0:1]
	v_add_u32_e32 v14, s86, v100
	v_readlane_b32 s86, v103, 24
	v_lshl_add_u64 v[8:9], v[8:9], 2, s[0:1]
	global_load_dword v30, v[6:7], off
	global_load_dword v31, v[8:9], off
	v_add_u32_e32 v16, s86, v100
	v_readlane_b32 s86, v103, 25
	v_ashrrev_i32_e32 v15, 31, v14
	v_lshl_add_u64 v[14:15], v[14:15], 2, s[0:1]
	v_ashrrev_i32_e32 v17, 31, v16
	v_lshl_add_u64 v[16:17], v[16:17], 2, s[0:1]
	s_andn2_b64 vcc, exec, s[34:35]
	s_waitcnt vmcnt(17)
	ds_write_b32 v101, v0
	s_waitcnt vmcnt(16)
	ds_write_b32 v101, v22 offset:264
	s_waitcnt vmcnt(15)
	ds_write_b32 v101, v23 offset:528
	;; [unrolled: 2-line block ×15, first 2 shown]
	v_add_u32_e32 v18, s86, v100
	v_readlane_b32 s86, v103, 26
	v_add_u32_e32 v24, s87, v100
	v_add_u32_e32 v26, s88, v100
	v_add_u32_e32 v20, s86, v100
	v_readlane_b32 s86, v103, 27
	v_add_u32_e32 v28, s89, v100
	v_ashrrev_i32_e32 v19, 31, v18
	v_add_u32_e32 v22, s86, v100
	v_ashrrev_i32_e32 v21, 31, v20
	v_ashrrev_i32_e32 v23, 31, v22
	;; [unrolled: 1-line block ×5, first 2 shown]
	ds_read_b64 v[12:13], v102
	ds_read_b64 v[10:11], v102 offset:32
	ds_read_b64 v[8:9], v102 offset:64
	;; [unrolled: 1-line block ×3, first 2 shown]
	v_lshl_add_u64 v[18:19], v[18:19], 2, s[0:1]
	v_lshl_add_u64 v[20:21], v[20:21], 2, s[0:1]
	v_lshl_add_u64 v[22:23], v[22:23], 2, s[0:1]
	v_lshl_add_u64 v[24:25], v[24:25], 2, s[0:1]
	v_lshl_add_u64 v[26:27], v[26:27], 2, s[0:1]
	v_lshl_add_u64 v[28:29], v[28:29], 2, s[0:1]
	global_load_dword v0, v[14:15], off
	global_load_dword v32, v[16:17], off
	global_load_dword v33, v[18:19], off
	global_load_dword v34, v[20:21], off
	global_load_dword v35, v[22:23], off
	global_load_dword v36, v[24:25], off
	global_load_dword v37, v[26:27], off
	global_load_dword v38, v[28:29], off
	v_add_u32_e32 v14, s90, v100
	v_ashrrev_i32_e32 v15, 31, v14
	v_add_u32_e32 v16, s91, v100
	v_add_u32_e32 v18, s92, v100
	v_add_u32_e32 v20, s93, v100
	v_add_u32_e32 v22, s94, v100
	v_add_u32_e32 v24, s95, v100
	v_add_u32_e32 v26, s96, v100
	v_add_u32_e32 v28, s97, v100
	v_lshl_add_u64 v[14:15], v[14:15], 2, s[0:1]
	v_ashrrev_i32_e32 v17, 31, v16
	v_ashrrev_i32_e32 v19, 31, v18
	v_ashrrev_i32_e32 v21, 31, v20
	v_ashrrev_i32_e32 v23, 31, v22
	v_ashrrev_i32_e32 v25, 31, v24
	v_ashrrev_i32_e32 v27, 31, v26
	v_ashrrev_i32_e32 v29, 31, v28
	v_lshl_add_u64 v[16:17], v[16:17], 2, s[0:1]
	v_lshl_add_u64 v[18:19], v[18:19], 2, s[0:1]
	v_lshl_add_u64 v[20:21], v[20:21], 2, s[0:1]
	v_lshl_add_u64 v[22:23], v[22:23], 2, s[0:1]
	v_lshl_add_u64 v[24:25], v[24:25], 2, s[0:1]
	v_lshl_add_u64 v[26:27], v[26:27], 2, s[0:1]
	v_lshl_add_u64 v[28:29], v[28:29], 2, s[0:1]
	global_load_dword v39, v[14:15], off
	global_load_dword v40, v[16:17], off
	global_load_dword v41, v[18:19], off
	global_load_dword v42, v[20:21], off
	global_load_dword v43, v[22:23], off
	global_load_dword v44, v[24:25], off
	global_load_dword v45, v[26:27], off
	global_load_dword v46, v[28:29], off
	v_add_u32_e32 v14, s98, v100
	v_ashrrev_i32_e32 v15, 31, v14
	v_add_u32_e32 v16, s99, v100
	v_add_u32_e32 v18, s28, v100
	v_add_u32_e32 v20, s29, v100
	v_add_u32_e32 v22, s24, v100
	v_add_u32_e32 v24, s25, v100
	v_add_u32_e32 v26, s11, v100
	v_add_u32_e32 v28, s30, v100
	v_lshl_add_u64 v[14:15], v[14:15], 2, s[0:1]
	v_ashrrev_i32_e32 v17, 31, v16
	v_ashrrev_i32_e32 v19, 31, v18
	v_ashrrev_i32_e32 v21, 31, v20
	v_ashrrev_i32_e32 v23, 31, v22
	v_ashrrev_i32_e32 v25, 31, v24
	v_ashrrev_i32_e32 v27, 31, v26
	v_ashrrev_i32_e32 v29, 31, v28
	v_lshl_add_u64 v[16:17], v[16:17], 2, s[0:1]
	;; [unrolled: 32-line block ×4, first 2 shown]
	v_lshl_add_u64 v[18:19], v[18:19], 2, s[0:1]
	v_lshl_add_u64 v[20:21], v[20:21], 2, s[0:1]
	;; [unrolled: 1-line block ×6, first 2 shown]
	global_load_dword v63, v[14:15], off
	global_load_dword v64, v[16:17], off
	;; [unrolled: 1-line block ×8, first 2 shown]
	v_add_u32_e32 v14, s81, v100
	v_ashrrev_i32_e32 v15, 31, v14
	v_add_u32_e32 v16, s82, v100
	v_add_u32_e32 v18, s83, v100
	;; [unrolled: 1-line block ×5, first 2 shown]
	v_lshl_add_u64 v[14:15], v[14:15], 2, s[0:1]
	v_ashrrev_i32_e32 v17, 31, v16
	v_ashrrev_i32_e32 v19, 31, v18
	;; [unrolled: 1-line block ×5, first 2 shown]
	v_lshl_add_u64 v[16:17], v[16:17], 2, s[0:1]
	v_lshl_add_u64 v[18:19], v[18:19], 2, s[0:1]
	;; [unrolled: 1-line block ×5, first 2 shown]
	global_load_dword v71, v[14:15], off
	global_load_dword v72, v[16:17], off
	;; [unrolled: 1-line block ×6, first 2 shown]
	ds_read_b64 v[20:21], v102 offset:128
	ds_read_b64 v[18:19], v102 offset:160
	ds_read_b64 v[16:17], v102 offset:192
	ds_read_b64 v[14:15], v102 offset:224
	s_waitcnt vmcnt(47)
	ds_write_b32 v101, v30
	s_waitcnt vmcnt(46)
	ds_write_b32 v101, v31 offset:264
	s_waitcnt vmcnt(45)
	ds_write_b32 v101, v0 offset:528
	s_waitcnt vmcnt(44)
	ds_write_b32 v101, v32 offset:792
	s_waitcnt vmcnt(43)
	ds_write_b32 v101, v33 offset:1056
	s_waitcnt vmcnt(42)
	ds_write_b32 v101, v34 offset:1320
	s_waitcnt vmcnt(41)
	ds_write_b32 v101, v35 offset:1584
	s_waitcnt vmcnt(40)
	ds_write_b32 v101, v36 offset:1848
	s_waitcnt vmcnt(39)
	ds_write_b32 v101, v37 offset:2112
	s_waitcnt vmcnt(38)
	ds_write_b32 v101, v38 offset:2376
	s_waitcnt vmcnt(37)
	ds_write_b32 v101, v39 offset:2640
	s_waitcnt vmcnt(36)
	ds_write_b32 v101, v40 offset:2904
	s_waitcnt vmcnt(35)
	ds_write_b32 v101, v41 offset:3168
	s_waitcnt vmcnt(34)
	ds_write_b32 v101, v42 offset:3432
	s_waitcnt vmcnt(33)
	ds_write_b32 v101, v43 offset:3696
	s_waitcnt vmcnt(32)
	ds_write_b32 v101, v44 offset:3960
	ds_read_b64 v[38:39], v102
	ds_read_b64 v[34:35], v102 offset:32
	ds_read_b64 v[32:33], v102 offset:64
	ds_read_b64 v[30:31], v102 offset:96
	ds_read_b64 v[28:29], v102 offset:128
	ds_read_b64 v[26:27], v102 offset:160
	ds_read_b64 v[24:25], v102 offset:192
	ds_read_b64 v[22:23], v102 offset:224
	s_waitcnt vmcnt(31)
	ds_write_b32 v101, v45
	s_waitcnt vmcnt(30)
	ds_write_b32 v101, v46 offset:264
	s_waitcnt vmcnt(29)
	ds_write_b32 v101, v47 offset:528
	s_waitcnt vmcnt(28)
	ds_write_b32 v101, v48 offset:792
	s_waitcnt vmcnt(27)
	ds_write_b32 v101, v49 offset:1056
	s_waitcnt vmcnt(26)
	ds_write_b32 v101, v50 offset:1320
	s_waitcnt vmcnt(25)
	ds_write_b32 v101, v51 offset:1584
	s_waitcnt vmcnt(24)
	ds_write_b32 v101, v52 offset:1848
	s_waitcnt vmcnt(23)
	ds_write_b32 v101, v53 offset:2112
	s_waitcnt vmcnt(22)
	ds_write_b32 v101, v54 offset:2376
	s_waitcnt vmcnt(21)
	ds_write_b32 v101, v55 offset:2640
	s_waitcnt vmcnt(20)
	ds_write_b32 v101, v56 offset:2904
	s_waitcnt vmcnt(19)
	ds_write_b32 v101, v57 offset:3168
	s_waitcnt vmcnt(18)
	ds_write_b32 v101, v58 offset:3432
	s_waitcnt vmcnt(17)
	ds_write_b32 v101, v59 offset:3696
	s_waitcnt vmcnt(16)
	ds_write_b32 v101, v60 offset:3960
	ds_read_b64 v[52:53], v102
	ds_read_b64 v[50:51], v102 offset:32
	ds_read_b64 v[48:49], v102 offset:64
	ds_read_b64 v[46:47], v102 offset:96
	ds_read_b64 v[44:45], v102 offset:128
	ds_read_b64 v[42:43], v102 offset:160
	ds_read_b64 v[40:41], v102 offset:192
	ds_read_b64 v[36:37], v102 offset:224
	s_waitcnt vmcnt(15)
	ds_write_b32 v101, v61
	s_waitcnt vmcnt(14)
	ds_write_b32 v101, v62 offset:264
	s_waitcnt vmcnt(13)
	ds_write_b32 v101, v63 offset:528
	s_waitcnt vmcnt(12)
	ds_write_b32 v101, v64 offset:792
	s_waitcnt vmcnt(11)
	ds_write_b32 v101, v65 offset:1056
	s_waitcnt vmcnt(10)
	ds_write_b32 v101, v66 offset:1320
	s_waitcnt vmcnt(9)
	ds_write_b32 v101, v67 offset:1584
	s_waitcnt vmcnt(8)
	ds_write_b32 v101, v68 offset:1848
	s_waitcnt vmcnt(7)
	ds_write_b32 v101, v69 offset:2112
	s_waitcnt vmcnt(6)
	ds_write_b32 v101, v70 offset:2376
	s_waitcnt vmcnt(5)
	ds_write_b32 v101, v71 offset:2640
	s_waitcnt vmcnt(4)
	ds_write_b32 v101, v72 offset:2904
	s_waitcnt vmcnt(3)
	ds_write_b32 v101, v73 offset:3168
	s_waitcnt vmcnt(2)
	ds_write_b32 v101, v74 offset:3432
	s_waitcnt vmcnt(1)
	ds_write_b32 v101, v75 offset:3696
	s_waitcnt vmcnt(0)
	ds_write_b32 v101, v76 offset:3960
	ds_read_b64 v[68:69], v102
	ds_read_b64 v[66:67], v102 offset:32
	ds_read_b64 v[62:63], v102 offset:64
	ds_read_b64 v[58:59], v102 offset:96
	ds_read_b64 v[64:65], v102 offset:128
	ds_read_b64 v[60:61], v102 offset:160
	;; [unrolled: 1-line block ×4, first 2 shown]
	v_mov_b32_e32 v70, 0
	v_mov_b32_e32 v71, 0
	s_cbranch_vccnz .LBB99_9
; %bb.7:                                ;   in Loop: Header=BB99_6 Depth=1
	s_load_dword vcc_lo, s[36:37], 0x0
	v_mov_b32_e32 v71, 0
	v_mov_b32_e32 v70, 0
	s_waitcnt lgkmcnt(0)
	s_mul_hi_u32 vcc_hi, vcc_lo, s16
	s_add_i32 vcc_hi, vcc_lo, vcc_hi
	s_lshr_b32 s86, vcc_hi, s17
	s_cmp_ge_i32 s86, s13
	s_cbranch_scc1 .LBB99_9
; %bb.8:                                ;   in Loop: Header=BB99_6 Depth=1
	s_mul_i32 vcc_hi, s86, s18
	s_sub_i32 vcc_lo, vcc_lo, vcc_hi
	s_mul_i32 s86, s86, s20
	s_mul_i32 vcc_lo, vcc_lo, s9
	v_add_u32_e32 v0, s86, v100
	v_lshl_add_u32 v70, v0, 1, vcc_lo
	v_ashrrev_i32_e32 v71, 31, v70
	v_lshl_add_u64 v[70:71], v[70:71], 2, s[6:7]
	global_load_dwordx2 v[70:71], v[70:71], off
.LBB99_9:                               ;   in Loop: Header=BB99_6 Depth=1
	s_andn2_b64 vcc, exec, s[38:39]
	v_mov_b32_e32 v72, 0
	v_mov_b32_e32 v74, 0
	v_mov_b32_e32 v75, 0
	s_cbranch_vccnz .LBB99_12
; %bb.10:                               ;   in Loop: Header=BB99_6 Depth=1
	s_load_dword vcc_lo, s[36:37], 0x4
	v_mov_b32_e32 v75, 0
	v_mov_b32_e32 v74, 0
	s_waitcnt lgkmcnt(0)
	s_mul_hi_u32 s86, vcc_lo, s16
	s_add_i32 s86, vcc_lo, s86
	s_lshr_b32 vcc_hi, s86, s17
	s_cmp_ge_i32 vcc_hi, s13
	s_cbranch_scc1 .LBB99_12
; %bb.11:                               ;   in Loop: Header=BB99_6 Depth=1
	s_mul_i32 s86, vcc_hi, s18
	s_sub_i32 s86, vcc_lo, s86
	s_mul_i32 vcc_hi, vcc_hi, s20
	s_mul_i32 s86, s86, s9
	v_add_u32_e32 v0, vcc_hi, v100
	v_lshl_add_u32 v74, v0, 1, s86
	v_ashrrev_i32_e32 v75, 31, v74
	v_lshl_add_u64 v[74:75], v[74:75], 2, s[6:7]
	global_load_dwordx2 v[74:75], v[74:75], off
.LBB99_12:                              ;   in Loop: Header=BB99_6 Depth=1
	s_andn2_b64 vcc, exec, s[40:41]
	v_mov_b32_e32 v73, 0
	s_cbranch_vccnz .LBB99_15
; %bb.13:                               ;   in Loop: Header=BB99_6 Depth=1
	s_load_dword vcc_lo, s[36:37], 0x8
	v_mov_b32_e32 v73, 0
	v_mov_b32_e32 v72, 0
	s_waitcnt lgkmcnt(0)
	s_mul_hi_u32 s86, vcc_lo, s16
	s_add_i32 s86, vcc_lo, s86
	s_lshr_b32 vcc_hi, s86, s17
	s_cmp_ge_i32 vcc_hi, s13
	s_cbranch_scc1 .LBB99_15
; %bb.14:                               ;   in Loop: Header=BB99_6 Depth=1
	s_mul_i32 s86, vcc_hi, s18
	s_sub_i32 s86, vcc_lo, s86
	s_mul_i32 vcc_hi, vcc_hi, s20
	s_mul_i32 s86, s86, s9
	v_add_u32_e32 v0, vcc_hi, v100
	v_lshl_add_u32 v72, v0, 1, s86
	v_ashrrev_i32_e32 v73, 31, v72
	v_lshl_add_u64 v[72:73], v[72:73], 2, s[6:7]
	global_load_dwordx2 v[72:73], v[72:73], off
.LBB99_15:                              ;   in Loop: Header=BB99_6 Depth=1
	s_andn2_b64 vcc, exec, s[42:43]
	v_mov_b32_e32 v76, 0
	v_mov_b32_e32 v78, 0
	v_mov_b32_e32 v79, 0
	s_cbranch_vccnz .LBB99_18
; %bb.16:                               ;   in Loop: Header=BB99_6 Depth=1
	s_load_dword vcc_lo, s[36:37], 0xc
	v_mov_b32_e32 v79, 0
	v_mov_b32_e32 v78, 0
	s_waitcnt lgkmcnt(0)
	s_mul_hi_u32 s86, vcc_lo, s16
	s_add_i32 s86, vcc_lo, s86
	s_lshr_b32 vcc_hi, s86, s17
	s_cmp_ge_i32 vcc_hi, s13
	s_cbranch_scc1 .LBB99_18
; %bb.17:                               ;   in Loop: Header=BB99_6 Depth=1
	s_mul_i32 s86, vcc_hi, s18
	s_sub_i32 s86, vcc_lo, s86
	s_mul_i32 vcc_hi, vcc_hi, s20
	s_mul_i32 s86, s86, s9
	v_add_u32_e32 v0, vcc_hi, v100
	v_lshl_add_u32 v78, v0, 1, s86
	v_ashrrev_i32_e32 v79, 31, v78
	v_lshl_add_u64 v[78:79], v[78:79], 2, s[6:7]
	global_load_dwordx2 v[78:79], v[78:79], off
.LBB99_18:                              ;   in Loop: Header=BB99_6 Depth=1
	s_andn2_b64 vcc, exec, s[44:45]
	v_mov_b32_e32 v77, 0
	s_cbranch_vccnz .LBB99_21
; %bb.19:                               ;   in Loop: Header=BB99_6 Depth=1
	s_load_dword vcc_lo, s[36:37], 0x10
	v_mov_b32_e32 v77, 0
	v_mov_b32_e32 v76, 0
	s_waitcnt lgkmcnt(0)
	s_mul_hi_u32 s86, vcc_lo, s16
	s_add_i32 s86, vcc_lo, s86
	s_lshr_b32 vcc_hi, s86, s17
	s_cmp_ge_i32 vcc_hi, s13
	s_cbranch_scc1 .LBB99_21
; %bb.20:                               ;   in Loop: Header=BB99_6 Depth=1
	s_mul_i32 s86, vcc_hi, s18
	s_sub_i32 s86, vcc_lo, s86
	s_mul_i32 vcc_hi, vcc_hi, s20
	s_mul_i32 s86, s86, s9
	v_add_u32_e32 v0, vcc_hi, v100
	v_lshl_add_u32 v76, v0, 1, s86
	v_ashrrev_i32_e32 v77, 31, v76
	v_lshl_add_u64 v[76:77], v[76:77], 2, s[6:7]
	global_load_dwordx2 v[76:77], v[76:77], off
.LBB99_21:                              ;   in Loop: Header=BB99_6 Depth=1
	s_andn2_b64 vcc, exec, s[46:47]
	v_mov_b32_e32 v80, 0
	v_mov_b32_e32 v82, 0
	v_mov_b32_e32 v83, 0
	s_cbranch_vccnz .LBB99_24
; %bb.22:                               ;   in Loop: Header=BB99_6 Depth=1
	s_load_dword vcc_lo, s[36:37], 0x14
	v_mov_b32_e32 v83, 0
	v_mov_b32_e32 v82, 0
	s_waitcnt lgkmcnt(0)
	s_mul_hi_u32 s86, vcc_lo, s16
	s_add_i32 s86, vcc_lo, s86
	s_lshr_b32 vcc_hi, s86, s17
	s_cmp_ge_i32 vcc_hi, s13
	s_cbranch_scc1 .LBB99_24
; %bb.23:                               ;   in Loop: Header=BB99_6 Depth=1
	s_mul_i32 s86, vcc_hi, s18
	s_sub_i32 s86, vcc_lo, s86
	s_mul_i32 vcc_hi, vcc_hi, s20
	s_mul_i32 s86, s86, s9
	v_add_u32_e32 v0, vcc_hi, v100
	v_lshl_add_u32 v82, v0, 1, s86
	v_ashrrev_i32_e32 v83, 31, v82
	v_lshl_add_u64 v[82:83], v[82:83], 2, s[6:7]
	global_load_dwordx2 v[82:83], v[82:83], off
.LBB99_24:                              ;   in Loop: Header=BB99_6 Depth=1
	s_andn2_b64 vcc, exec, s[48:49]
	v_mov_b32_e32 v81, 0
	s_cbranch_vccnz .LBB99_27
; %bb.25:                               ;   in Loop: Header=BB99_6 Depth=1
	s_load_dword vcc_lo, s[36:37], 0x18
	v_mov_b32_e32 v81, 0
	v_mov_b32_e32 v80, 0
	s_waitcnt lgkmcnt(0)
	s_mul_hi_u32 s86, vcc_lo, s16
	s_add_i32 s86, vcc_lo, s86
	s_lshr_b32 vcc_hi, s86, s17
	s_cmp_ge_i32 vcc_hi, s13
	s_cbranch_scc1 .LBB99_27
; %bb.26:                               ;   in Loop: Header=BB99_6 Depth=1
	s_mul_i32 s86, vcc_hi, s18
	s_sub_i32 s86, vcc_lo, s86
	s_mul_i32 vcc_hi, vcc_hi, s20
	s_mul_i32 s86, s86, s9
	v_add_u32_e32 v0, vcc_hi, v100
	v_lshl_add_u32 v80, v0, 1, s86
	v_ashrrev_i32_e32 v81, 31, v80
	v_lshl_add_u64 v[80:81], v[80:81], 2, s[6:7]
	global_load_dwordx2 v[80:81], v[80:81], off
.LBB99_27:                              ;   in Loop: Header=BB99_6 Depth=1
	s_andn2_b64 vcc, exec, s[50:51]
	v_mov_b32_e32 v84, 0
	v_mov_b32_e32 v86, 0
	v_mov_b32_e32 v87, 0
	s_cbranch_vccnz .LBB99_30
; %bb.28:                               ;   in Loop: Header=BB99_6 Depth=1
	s_load_dword vcc_lo, s[36:37], 0x1c
	v_mov_b32_e32 v87, 0
	v_mov_b32_e32 v86, 0
	s_waitcnt lgkmcnt(0)
	s_mul_hi_u32 s86, vcc_lo, s16
	s_add_i32 s86, vcc_lo, s86
	s_lshr_b32 vcc_hi, s86, s17
	s_cmp_ge_i32 vcc_hi, s13
	s_cbranch_scc1 .LBB99_30
; %bb.29:                               ;   in Loop: Header=BB99_6 Depth=1
	s_mul_i32 s86, vcc_hi, s18
	s_sub_i32 s86, vcc_lo, s86
	s_mul_i32 vcc_hi, vcc_hi, s20
	s_mul_i32 s86, s86, s9
	v_add_u32_e32 v0, vcc_hi, v100
	v_lshl_add_u32 v86, v0, 1, s86
	v_ashrrev_i32_e32 v87, 31, v86
	v_lshl_add_u64 v[86:87], v[86:87], 2, s[6:7]
	global_load_dwordx2 v[86:87], v[86:87], off
.LBB99_30:                              ;   in Loop: Header=BB99_6 Depth=1
	s_andn2_b64 vcc, exec, s[52:53]
	v_mov_b32_e32 v85, 0
	s_cbranch_vccnz .LBB99_33
; %bb.31:                               ;   in Loop: Header=BB99_6 Depth=1
	s_load_dword vcc_lo, s[36:37], 0x20
	v_mov_b32_e32 v85, 0
	v_mov_b32_e32 v84, 0
	s_waitcnt lgkmcnt(0)
	s_mul_hi_u32 s86, vcc_lo, s16
	s_add_i32 s86, vcc_lo, s86
	s_lshr_b32 vcc_hi, s86, s17
	s_cmp_ge_i32 vcc_hi, s13
	s_cbranch_scc1 .LBB99_33
; %bb.32:                               ;   in Loop: Header=BB99_6 Depth=1
	s_mul_i32 s86, vcc_hi, s18
	s_sub_i32 s86, vcc_lo, s86
	s_mul_i32 vcc_hi, vcc_hi, s20
	s_mul_i32 s86, s86, s9
	v_add_u32_e32 v0, vcc_hi, v100
	v_lshl_add_u32 v84, v0, 1, s86
	v_ashrrev_i32_e32 v85, 31, v84
	v_lshl_add_u64 v[84:85], v[84:85], 2, s[6:7]
	global_load_dwordx2 v[84:85], v[84:85], off
.LBB99_33:                              ;   in Loop: Header=BB99_6 Depth=1
	s_andn2_b64 vcc, exec, s[54:55]
	v_mov_b32_e32 v88, 0
	v_mov_b32_e32 v90, 0
	v_mov_b32_e32 v91, 0
	s_cbranch_vccnz .LBB99_36
; %bb.34:                               ;   in Loop: Header=BB99_6 Depth=1
	s_load_dword vcc_lo, s[36:37], 0x24
	v_mov_b32_e32 v91, 0
	v_mov_b32_e32 v90, 0
	s_waitcnt lgkmcnt(0)
	s_mul_hi_u32 s86, vcc_lo, s16
	s_add_i32 s86, vcc_lo, s86
	s_lshr_b32 vcc_hi, s86, s17
	s_cmp_ge_i32 vcc_hi, s13
	s_cbranch_scc1 .LBB99_36
; %bb.35:                               ;   in Loop: Header=BB99_6 Depth=1
	s_mul_i32 s86, vcc_hi, s18
	s_sub_i32 s86, vcc_lo, s86
	s_mul_i32 vcc_hi, vcc_hi, s20
	s_mul_i32 s86, s86, s9
	v_add_u32_e32 v0, vcc_hi, v100
	v_lshl_add_u32 v90, v0, 1, s86
	v_ashrrev_i32_e32 v91, 31, v90
	v_lshl_add_u64 v[90:91], v[90:91], 2, s[6:7]
	global_load_dwordx2 v[90:91], v[90:91], off
.LBB99_36:                              ;   in Loop: Header=BB99_6 Depth=1
	s_andn2_b64 vcc, exec, s[56:57]
	v_mov_b32_e32 v89, 0
	s_cbranch_vccnz .LBB99_39
; %bb.37:                               ;   in Loop: Header=BB99_6 Depth=1
	s_load_dword vcc_lo, s[36:37], 0x28
	v_mov_b32_e32 v89, 0
	v_mov_b32_e32 v88, 0
	s_waitcnt lgkmcnt(0)
	s_mul_hi_u32 s86, vcc_lo, s16
	s_add_i32 s86, vcc_lo, s86
	s_lshr_b32 vcc_hi, s86, s17
	s_cmp_ge_i32 vcc_hi, s13
	s_cbranch_scc1 .LBB99_39
; %bb.38:                               ;   in Loop: Header=BB99_6 Depth=1
	s_mul_i32 s86, vcc_hi, s18
	s_sub_i32 s86, vcc_lo, s86
	s_mul_i32 vcc_hi, vcc_hi, s20
	s_mul_i32 s86, s86, s9
	v_add_u32_e32 v0, vcc_hi, v100
	v_lshl_add_u32 v88, v0, 1, s86
	v_ashrrev_i32_e32 v89, 31, v88
	v_lshl_add_u64 v[88:89], v[88:89], 2, s[6:7]
	global_load_dwordx2 v[88:89], v[88:89], off
.LBB99_39:                              ;   in Loop: Header=BB99_6 Depth=1
	s_andn2_b64 vcc, exec, s[58:59]
	v_mov_b32_e32 v92, 0
	v_mov_b32_e32 v94, 0
	v_mov_b32_e32 v95, 0
	s_cbranch_vccnz .LBB99_42
; %bb.40:                               ;   in Loop: Header=BB99_6 Depth=1
	s_load_dword vcc_lo, s[36:37], 0x2c
	v_mov_b32_e32 v95, 0
	v_mov_b32_e32 v94, 0
	s_waitcnt lgkmcnt(0)
	s_mul_hi_u32 s86, vcc_lo, s16
	s_add_i32 s86, vcc_lo, s86
	s_lshr_b32 vcc_hi, s86, s17
	s_cmp_ge_i32 vcc_hi, s13
	s_cbranch_scc1 .LBB99_42
; %bb.41:                               ;   in Loop: Header=BB99_6 Depth=1
	s_mul_i32 s86, vcc_hi, s18
	s_sub_i32 s86, vcc_lo, s86
	s_mul_i32 vcc_hi, vcc_hi, s20
	s_mul_i32 s86, s86, s9
	v_add_u32_e32 v0, vcc_hi, v100
	v_lshl_add_u32 v94, v0, 1, s86
	v_ashrrev_i32_e32 v95, 31, v94
	v_lshl_add_u64 v[94:95], v[94:95], 2, s[6:7]
	global_load_dwordx2 v[94:95], v[94:95], off
.LBB99_42:                              ;   in Loop: Header=BB99_6 Depth=1
	s_andn2_b64 vcc, exec, s[60:61]
	v_mov_b32_e32 v93, 0
	s_cbranch_vccnz .LBB99_45
; %bb.43:                               ;   in Loop: Header=BB99_6 Depth=1
	s_load_dword vcc_lo, s[36:37], 0x30
	v_mov_b32_e32 v93, 0
	v_mov_b32_e32 v92, 0
	s_waitcnt lgkmcnt(0)
	s_mul_hi_u32 s86, vcc_lo, s16
	s_add_i32 s86, vcc_lo, s86
	s_lshr_b32 vcc_hi, s86, s17
	s_cmp_ge_i32 vcc_hi, s13
	s_cbranch_scc1 .LBB99_45
; %bb.44:                               ;   in Loop: Header=BB99_6 Depth=1
	s_mul_i32 s86, vcc_hi, s18
	s_sub_i32 s86, vcc_lo, s86
	s_mul_i32 vcc_hi, vcc_hi, s20
	s_mul_i32 s86, s86, s9
	v_add_u32_e32 v0, vcc_hi, v100
	v_lshl_add_u32 v92, v0, 1, s86
	v_ashrrev_i32_e32 v93, 31, v92
	v_lshl_add_u64 v[92:93], v[92:93], 2, s[6:7]
	global_load_dwordx2 v[92:93], v[92:93], off
.LBB99_45:                              ;   in Loop: Header=BB99_6 Depth=1
	s_andn2_b64 vcc, exec, s[62:63]
	v_mov_b32_e32 v96, 0
	v_mov_b32_e32 v97, 0
	s_cbranch_vccnz .LBB99_5
; %bb.46:                               ;   in Loop: Header=BB99_6 Depth=1
	s_load_dword vcc_lo, s[36:37], 0x34
	v_mov_b32_e32 v97, 0
	v_mov_b32_e32 v96, 0
	s_waitcnt lgkmcnt(0)
	s_mul_hi_u32 s86, vcc_lo, s16
	s_add_i32 s86, vcc_lo, s86
	s_lshr_b32 vcc_hi, s86, s17
	s_cmp_ge_i32 vcc_hi, s13
	s_cbranch_scc1 .LBB99_5
; %bb.47:                               ;   in Loop: Header=BB99_6 Depth=1
	s_mul_i32 s86, vcc_hi, s18
	s_sub_i32 s86, vcc_lo, s86
	s_mul_i32 vcc_hi, vcc_hi, s20
	s_mul_i32 s86, s86, s9
	v_add_u32_e32 v0, vcc_hi, v100
	v_lshl_add_u32 v96, v0, 1, s86
	v_ashrrev_i32_e32 v97, 31, v96
	v_lshl_add_u64 v[96:97], v[96:97], 2, s[6:7]
	global_load_dwordx2 v[96:97], v[96:97], off
	s_branch .LBB99_5
.LBB99_48:
	s_or_b64 exec, exec, s[4:5]
	v_readlane_b32 s24, v103, 6
	v_readlane_b32 s26, v103, 9
	v_readlane_b32 s22, v103, 4
	v_readlane_b32 s28, v103, 2
	v_readlane_b32 s25, v103, 7
	v_readlane_b32 s27, v103, 10
	v_readlane_b32 s11, v103, 8
	v_readlane_b32 s23, v103, 5
	v_readlane_b32 s29, v103, 3
.LBB99_49:
	s_or_b64 exec, exec, s[28:29]
	s_lshl_b64 s[0:1], s[26:27], 2
	v_lshlrev_b32_e32 v0, 2, v98
	v_or_b32_e32 v4, 12, v3
	s_add_u32 s4, s22, s0
	v_add3_u32 v0, 0, v99, v0
	v_and_b32_e32 v1, 0x3f0, v3
	v_and_b32_e32 v4, 0x3fc, v4
	s_addc_u32 s5, s23, s1
	v_add_u32_e32 v1, v0, v1
	v_add_u32_e32 v0, v0, v4
	ds_write2_b32 v1, a0, a1 offset1:1
	ds_write_b32 v1, a2 offset:8
	ds_write_b32 v0, a3
	ds_write2_b32 v1, a4, a5 offset0:16 offset1:17
	ds_write_b32 v1, a6 offset:72
	ds_write_b32 v0, a7 offset:64
	ds_write2_b32 v1, a8, a9 offset0:32 offset1:33
	ds_write_b32 v1, a10 offset:136
	ds_write_b32 v0, a11 offset:128
	ds_write2_b32 v1, a12, a13 offset0:48 offset1:49
	ds_write_b32 v1, a14 offset:200
	ds_write_b32 v0, a15 offset:192
	s_cmp_gt_i32 s14, 0
	v_add_u32_e32 v0, s2, v2
	s_cselect_b64 s[6:7], -1, 0
	v_cmp_gt_i32_e64 s[0:1], s33, v0
	v_cmp_gt_u32_e32 vcc, 14, v2
	s_and_b64 s[0:1], s[6:7], s[0:1]
	v_lshl_add_u32 v5, v3, 2, 0
	v_add_u32_e32 v4, s11, v3
	v_mul_u32_u24_e32 v6, 0x108, v2
	s_and_b64 s[8:9], vcc, s[0:1]
	s_and_saveexec_b64 s[0:1], s[8:9]
	v_readlane_b32 s14, v103, 0
	v_readlane_b32 s15, v103, 1
	s_cbranch_execz .LBB99_52
; %bb.50:
	v_ashrrev_i32_e32 v1, 31, v0
	v_lshl_add_u64 v[8:9], v[0:1], 2, s[4:5]
	global_load_dword v1, v[8:9], off
	s_waitcnt vmcnt(0)
	v_mul_hi_u32 v3, v1, s19
	v_add_u32_e32 v3, v1, v3
	v_lshrrev_b32_e32 v3, s24, v3
	v_cmp_gt_i32_e32 vcc, s13, v3
	s_and_b64 exec, exec, vcc
	s_cbranch_execz .LBB99_52
; %bb.51:
	v_add_u32_e32 v7, v5, v6
	ds_read_b32 v7, v7
	v_mul_lo_u32 v8, v3, s25
	v_sub_u32_e32 v1, v1, v8
	v_mul_lo_u32 v3, v3, s21
	v_mul_lo_u32 v1, v1, s10
	v_add3_u32 v8, v4, v3, v1
	v_mov_b32_e32 v9, 0
	s_waitcnt lgkmcnt(0)
	v_add_f32_e32 v7, 0, v7
	v_lshl_add_u64 v[8:9], v[8:9], 2, s[14:15]
	global_store_dword v[8:9], v7, off
.LBB99_52:
	s_or_b64 exec, exec, s[0:1]
	v_add_u32_e32 v1, 1, v0
	v_cmp_gt_i32_e64 s[0:1], s33, v1
	v_cmp_gt_u32_e32 vcc, 13, v2
	s_and_b64 s[0:1], s[6:7], s[0:1]
	s_and_b64 s[8:9], vcc, s[0:1]
	s_and_saveexec_b64 s[0:1], s[8:9]
	s_cbranch_execz .LBB99_55
; %bb.53:
	s_ashr_i32 s3, s2, 31
	v_mov_b32_e32 v3, 0
	v_lshl_add_u64 v[8:9], v[2:3], 0, s[2:3]
	v_lshl_add_u64 v[8:9], v[8:9], 2, s[4:5]
	global_load_dword v1, v[8:9], off offset:4
	s_waitcnt vmcnt(0)
	v_mul_hi_u32 v7, v1, s19
	v_add_u32_e32 v7, v1, v7
	v_lshrrev_b32_e32 v7, s24, v7
	v_cmp_gt_i32_e32 vcc, s13, v7
	s_and_b64 exec, exec, vcc
	s_cbranch_execz .LBB99_55
; %bb.54:
	v_add_u32_e32 v8, v6, v5
	ds_read_b32 v8, v8 offset:264
	v_mul_lo_u32 v9, v7, s25
	v_sub_u32_e32 v1, v1, v9
	v_mul_lo_u32 v7, v7, s21
	v_mul_lo_u32 v1, v1, s10
	s_waitcnt lgkmcnt(0)
	v_add_f32_e32 v10, 0, v8
	v_add3_u32 v8, v4, v7, v1
	v_mov_b32_e32 v9, v3
	v_lshl_add_u64 v[8:9], v[8:9], 2, s[14:15]
	global_store_dword v[8:9], v10, off
.LBB99_55:
	s_or_b64 exec, exec, s[0:1]
	v_add_u32_e32 v1, 2, v0
	v_cmp_gt_i32_e64 s[0:1], s33, v1
	v_cmp_gt_u32_e32 vcc, 12, v2
	s_and_b64 s[0:1], s[6:7], s[0:1]
	s_and_b64 s[8:9], vcc, s[0:1]
	s_and_saveexec_b64 s[0:1], s[8:9]
	s_cbranch_execz .LBB99_58
; %bb.56:
	s_ashr_i32 s3, s2, 31
	v_mov_b32_e32 v3, 0
	v_lshl_add_u64 v[8:9], v[2:3], 0, s[2:3]
	v_lshl_add_u64 v[8:9], v[8:9], 2, s[4:5]
	global_load_dword v1, v[8:9], off offset:8
	s_waitcnt vmcnt(0)
	v_mul_hi_u32 v7, v1, s19
	v_add_u32_e32 v7, v1, v7
	v_lshrrev_b32_e32 v7, s24, v7
	v_cmp_gt_i32_e32 vcc, s13, v7
	s_and_b64 exec, exec, vcc
	s_cbranch_execz .LBB99_58
; %bb.57:
	v_add_u32_e32 v8, v5, v6
	ds_read_b32 v8, v8 offset:528
	v_mul_lo_u32 v9, v7, s25
	v_sub_u32_e32 v1, v1, v9
	v_mul_lo_u32 v7, v7, s21
	v_mul_lo_u32 v1, v1, s10
	s_waitcnt lgkmcnt(0)
	v_add_f32_e32 v10, 0, v8
	v_add3_u32 v8, v4, v7, v1
	v_mov_b32_e32 v9, v3
	v_lshl_add_u64 v[8:9], v[8:9], 2, s[14:15]
	global_store_dword v[8:9], v10, off
.LBB99_58:
	;; [unrolled: 35-line block ×12, first 2 shown]
	s_or_b64 exec, exec, s[0:1]
	v_add_u32_e32 v0, 13, v0
	v_cmp_gt_i32_e64 s[0:1], s33, v0
	v_cmp_eq_u32_e32 vcc, 0, v2
	s_and_b64 s[0:1], s[6:7], s[0:1]
	s_and_b64 s[0:1], vcc, s[0:1]
	s_and_saveexec_b64 s[6:7], s[0:1]
	s_cbranch_execz .LBB99_91
; %bb.89:
	s_ashr_i32 s3, s2, 31
	s_lshl_b64 s[0:1], s[2:3], 2
	s_add_u32 s0, s4, s0
	s_addc_u32 s1, s5, s1
	s_load_dword s0, s[0:1], 0x34
	s_waitcnt lgkmcnt(0)
	s_mul_hi_u32 s1, s0, s19
	s_add_i32 s1, s0, s1
	s_lshr_b32 s1, s1, s24
	s_cmp_ge_i32 s1, s13
	s_cbranch_scc1 .LBB99_91
; %bb.90:
	v_add_u32_e32 v0, v5, v6
	ds_read_b32 v0, v0 offset:3432
	s_mul_i32 s2, s1, s25
	s_sub_i32 s0, s0, s2
	s_mul_i32 s1, s1, s21
	s_mul_i32 s0, s0, s10
	s_add_i32 s0, s0, s1
	s_waitcnt lgkmcnt(0)
	v_add_f32_e32 v2, 0, v0
	v_add_u32_e32 v0, s0, v4
	v_mov_b32_e32 v1, 0
	v_lshl_add_u64 v[0:1], v[0:1], 2, s[14:15]
	global_store_dword v[0:1], v2, off
.LBB99_91:
	s_endpgm
	.section	.rodata,"a",@progbits
	.p2align	6, 0x0
	.amdhsa_kernel _ZL13mul_mat_f_idsI7__half2Li64ELi14ELi1EEvPKT_PKfPKiS7_S7_Pfiiiiiiiiiiiiii15HIP_vector_typeIjLj3EESA_
		.amdhsa_group_segment_fixed_size 0
		.amdhsa_private_segment_fixed_size 0
		.amdhsa_kernarg_size 128
		.amdhsa_user_sgpr_count 2
		.amdhsa_user_sgpr_dispatch_ptr 0
		.amdhsa_user_sgpr_queue_ptr 0
		.amdhsa_user_sgpr_kernarg_segment_ptr 1
		.amdhsa_user_sgpr_dispatch_id 0
		.amdhsa_user_sgpr_kernarg_preload_length 0
		.amdhsa_user_sgpr_kernarg_preload_offset 0
		.amdhsa_user_sgpr_private_segment_size 0
		.amdhsa_uses_dynamic_stack 0
		.amdhsa_enable_private_segment 0
		.amdhsa_system_sgpr_workgroup_id_x 1
		.amdhsa_system_sgpr_workgroup_id_y 1
		.amdhsa_system_sgpr_workgroup_id_z 1
		.amdhsa_system_sgpr_workgroup_info 0
		.amdhsa_system_vgpr_workitem_id 1
		.amdhsa_next_free_vgpr 120
		.amdhsa_next_free_sgpr 100
		.amdhsa_accum_offset 104
		.amdhsa_reserve_vcc 1
		.amdhsa_float_round_mode_32 0
		.amdhsa_float_round_mode_16_64 0
		.amdhsa_float_denorm_mode_32 3
		.amdhsa_float_denorm_mode_16_64 3
		.amdhsa_dx10_clamp 1
		.amdhsa_ieee_mode 1
		.amdhsa_fp16_overflow 0
		.amdhsa_tg_split 0
		.amdhsa_exception_fp_ieee_invalid_op 0
		.amdhsa_exception_fp_denorm_src 0
		.amdhsa_exception_fp_ieee_div_zero 0
		.amdhsa_exception_fp_ieee_overflow 0
		.amdhsa_exception_fp_ieee_underflow 0
		.amdhsa_exception_fp_ieee_inexact 0
		.amdhsa_exception_int_div_zero 0
	.end_amdhsa_kernel
	.section	.text._ZL13mul_mat_f_idsI7__half2Li64ELi14ELi1EEvPKT_PKfPKiS7_S7_Pfiiiiiiiiiiiiii15HIP_vector_typeIjLj3EESA_,"axG",@progbits,_ZL13mul_mat_f_idsI7__half2Li64ELi14ELi1EEvPKT_PKfPKiS7_S7_Pfiiiiiiiiiiiiii15HIP_vector_typeIjLj3EESA_,comdat
.Lfunc_end99:
	.size	_ZL13mul_mat_f_idsI7__half2Li64ELi14ELi1EEvPKT_PKfPKiS7_S7_Pfiiiiiiiiiiiiii15HIP_vector_typeIjLj3EESA_, .Lfunc_end99-_ZL13mul_mat_f_idsI7__half2Li64ELi14ELi1EEvPKT_PKfPKiS7_S7_Pfiiiiiiiiiiiiii15HIP_vector_typeIjLj3EESA_
                                        ; -- End function
	.section	.AMDGPU.csdata,"",@progbits
; Kernel info:
; codeLenInByte = 8812
; NumSgprs: 106
; NumVgprs: 104
; NumAgprs: 16
; TotalNumVgprs: 120
; ScratchSize: 0
; MemoryBound: 0
; FloatMode: 240
; IeeeMode: 1
; LDSByteSize: 0 bytes/workgroup (compile time only)
; SGPRBlocks: 13
; VGPRBlocks: 14
; NumSGPRsForWavesPerEU: 106
; NumVGPRsForWavesPerEU: 120
; AccumOffset: 104
; Occupancy: 4
; WaveLimiterHint : 1
; COMPUTE_PGM_RSRC2:SCRATCH_EN: 0
; COMPUTE_PGM_RSRC2:USER_SGPR: 2
; COMPUTE_PGM_RSRC2:TRAP_HANDLER: 0
; COMPUTE_PGM_RSRC2:TGID_X_EN: 1
; COMPUTE_PGM_RSRC2:TGID_Y_EN: 1
; COMPUTE_PGM_RSRC2:TGID_Z_EN: 1
; COMPUTE_PGM_RSRC2:TIDIG_COMP_CNT: 1
; COMPUTE_PGM_RSRC3_GFX90A:ACCUM_OFFSET: 25
; COMPUTE_PGM_RSRC3_GFX90A:TG_SPLIT: 0
	.section	.text._ZL9mul_mat_fI7__half2Li64ELi14ELi1ELb1EEvPKT_PKfPKiPfiiiiiiiiiiiiiiii,"axG",@progbits,_ZL9mul_mat_fI7__half2Li64ELi14ELi1ELb1EEvPKT_PKfPKiPfiiiiiiiiiiiiiiii,comdat
	.globl	_ZL9mul_mat_fI7__half2Li64ELi14ELi1ELb1EEvPKT_PKfPKiPfiiiiiiiiiiiiiiii ; -- Begin function _ZL9mul_mat_fI7__half2Li64ELi14ELi1ELb1EEvPKT_PKfPKiPfiiiiiiiiiiiiiiii
	.p2align	8
	.type	_ZL9mul_mat_fI7__half2Li64ELi14ELi1ELb1EEvPKT_PKfPKiPfiiiiiiiiiiiiiiii,@function
_ZL9mul_mat_fI7__half2Li64ELi14ELi1ELb1EEvPKT_PKfPKiPfiiiiiiiiiiiiiiii: ; @_ZL9mul_mat_fI7__half2Li64ELi14ELi1ELb1EEvPKT_PKfPKiPfiiiiiiiiiiiiiiii
; %bb.0:
	s_load_dwordx8 s[64:71], s[0:1], 0x20
	s_mov_b32 s28, s4
	s_load_dwordx2 s[8:9], s[0:1], 0x10
	s_waitcnt lgkmcnt(0)
	s_add_i32 s4, s65, 13
	s_mul_hi_i32 s5, s4, 0x92492493
	s_add_i32 s5, s5, s4
	s_lshr_b32 s4, s5, 31
	s_ashr_i32 s5, s5, 3
	s_add_i32 s5, s5, s4
	v_cvt_f32_u32_e32 v1, s5
	s_load_dword s4, s[0:1], 0x64
	s_add_u32 s36, s0, 0x60
	s_addc_u32 s37, s1, 0
	v_rcp_iflag_f32_e32 v1, v1
	s_sub_i32 s6, 0, s5
	v_mul_f32_e32 v1, 0x4f7ffffe, v1
	v_cvt_u32_f32_e32 v1, v1
	v_mul_lo_u32 v2, s6, v1
	v_mul_hi_u32 v2, v1, v2
	v_add_u32_e32 v1, v1, v2
	s_waitcnt lgkmcnt(0)
	v_mul_hi_u32 v1, s4, v1
	v_mul_lo_u32 v2, v1, s5
	v_sub_u32_e32 v2, s4, v2
	v_add_u32_e32 v3, 1, v1
	v_subrev_u32_e32 v4, s5, v2
	v_cmp_le_u32_e32 vcc, s5, v2
	s_nop 1
	v_cndmask_b32_e32 v1, v1, v3, vcc
	v_cndmask_b32_e32 v2, v2, v4, vcc
	v_add_u32_e32 v3, 1, v1
	v_cmp_le_u32_e32 vcc, s5, v2
	s_nop 1
	v_cndmask_b32_e32 v1, v1, v3, vcc
	v_cvt_f32_u32_e32 v2, v1
	v_sub_u32_e32 v5, 0, v1
	v_bfe_u32 v3, v0, 10, 10
	v_rcp_iflag_f32_e32 v2, v2
	s_nop 0
	v_mul_f32_e32 v2, 0x4f7ffffe, v2
	v_cvt_u32_f32_e32 v4, v2
	v_and_b32_e32 v2, 0x3ff, v0
	v_cmp_eq_u32_e32 vcc, 0, v2
	v_mul_lo_u32 v5, v5, v4
	v_mul_hi_u32 v5, v4, v5
	v_add_u32_e32 v4, v4, v5
	v_mul_hi_u32 v4, s3, v4
	s_and_saveexec_b64 s[6:7], vcc
	s_cbranch_execz .LBB100_2
; %bb.1:
	v_mov_b32_e32 v5, 0x100
	v_lshl_add_u32 v5, v3, 2, v5
	v_mov_b32_e32 v6, -1
	ds_write_b32 v5, v6
.LBB100_2:
	s_or_b64 exec, exec, s[6:7]
	v_mul_lo_u32 v5, v4, v1
	v_sub_u32_e32 v5, s3, v5
	v_add_u32_e32 v6, 1, v4
	v_sub_u32_e32 v7, v5, v1
	v_cmp_ge_u32_e64 s[6:7], v5, v1
	v_cmp_gt_i32_e64 s[30:31], s66, v2
	s_nop 0
	v_cndmask_b32_e64 v4, v4, v6, s[6:7]
	v_cndmask_b32_e64 v5, v5, v7, s[6:7]
	v_add_u32_e32 v6, 1, v4
	v_cmp_ge_u32_e64 s[6:7], v5, v1
	s_nop 1
	v_cndmask_b32_e64 v4, v4, v6, s[6:7]
	v_mul_lo_u32 v78, v4, 14
	v_mul_lo_u32 v1, v4, v1
	v_mul_hi_i32 v5, v78, s71
	v_mul_lo_u32 v4, v78, s71
	v_sub_u32_e32 v10, s3, v1
	v_lshlrev_b64 v[4:5], 2, v[4:5]
	v_add_u32_e32 v1, v3, v78
	v_lshl_add_u64 v[4:5], s[8:9], 0, v[4:5]
	v_cmp_gt_i32_e64 s[46:47], s65, v1
	v_mov_b32_e32 v1, 0
	s_and_saveexec_b64 s[10:11], s[46:47]
	s_cbranch_execz .LBB100_10
; %bb.3:
	v_mov_b32_e32 v1, 0
	s_and_saveexec_b64 s[12:13], s[30:31]
	s_cbranch_execz .LBB100_9
; %bb.4:
	v_mul_lo_u32 v6, v3, s71
	v_ashrrev_i32_e32 v7, 31, v6
	v_mov_b32_e32 v1, 0x100
	v_lshl_add_u64 v[6:7], v[6:7], 2, v[4:5]
	v_lshl_add_u32 v11, v3, 2, v1
	v_mul_lo_u32 v8, v2, s70
	s_lshl_b32 s3, s70, 6
	s_mov_b64 s[14:15], 0
	v_mov_b32_e32 v1, 0
	v_mov_b32_e32 v12, v2
	s_branch .LBB100_6
.LBB100_5:                              ;   in Loop: Header=BB100_6 Depth=1
	s_or_b64 exec, exec, s[16:17]
	v_add_u32_e32 v12, 64, v12
	v_cmp_le_i32_e64 s[8:9], s66, v12
	s_xor_b64 s[4:5], s[6:7], -1
	s_or_b64 s[4:5], s[4:5], s[8:9]
	s_and_b64 s[4:5], exec, s[4:5]
	s_or_b64 s[14:15], s[4:5], s[14:15]
	v_add_u32_e32 v8, s3, v8
	s_andn2_b64 exec, exec, s[14:15]
	s_cbranch_execz .LBB100_8
.LBB100_6:                              ; =>This Inner Loop Header: Depth=1
	v_ashrrev_i32_e32 v9, 31, v8
	v_lshl_add_u64 v[14:15], v[8:9], 2, v[6:7]
	global_load_dword v9, v[14:15], off
	s_waitcnt vmcnt(0)
	v_cmp_ne_u32_e64 s[6:7], v9, v10
	v_cmp_eq_u32_e64 s[8:9], v9, v10
	s_and_saveexec_b64 s[16:17], s[8:9]
	s_cbranch_execz .LBB100_5
; %bb.7:                                ;   in Loop: Header=BB100_6 Depth=1
	v_mov_b32_e32 v1, 1
	ds_write_b32 v11, v12
	s_branch .LBB100_5
.LBB100_8:
	s_or_b64 exec, exec, s[14:15]
.LBB100_9:
	s_or_b64 exec, exec, s[12:13]
.LBB100_10:
	s_or_b64 exec, exec, s[10:11]
	s_and_saveexec_b64 s[6:7], vcc
	s_cbranch_execz .LBB100_12
; %bb.11:
	v_mov_b32_e32 v6, 0x100
	v_lshl_add_u32 v6, v3, 2, v6
	v_mov_b32_e32 v7, -1
	ds_write_b32 v6, v7 offset:4
.LBB100_12:
	s_or_b64 exec, exec, s[6:7]
	v_add_u32_e32 v79, 1, v3
	v_add_u32_e32 v6, v79, v78
	v_cmp_gt_i32_e64 s[4:5], s65, v6
	s_mov_b64 s[10:11], exec
                                        ; implicit-def: $vgpr102 : SGPR spill to VGPR lane
	s_nop 0
	v_writelane_b32 v102, s4, 0
	s_nop 1
	v_writelane_b32 v102, s5, 1
	s_and_b64 s[4:5], s[10:11], s[4:5]
	s_mov_b64 exec, s[4:5]
	s_cbranch_execz .LBB100_20
; %bb.13:
	s_and_saveexec_b64 s[12:13], s[30:31]
	s_cbranch_execz .LBB100_19
; %bb.14:
	v_mul_lo_u32 v6, v79, s71
	v_ashrrev_i32_e32 v7, 31, v6
	v_mov_b32_e32 v8, 0x100
	v_lshl_add_u64 v[6:7], v[6:7], 2, v[4:5]
	v_lshl_add_u32 v11, v3, 2, v8
	v_mul_lo_u32 v8, v2, s70
	s_lshl_b32 s3, s70, 6
	s_mov_b64 s[14:15], 0
	v_mov_b32_e32 v12, v2
	s_branch .LBB100_16
.LBB100_15:                             ;   in Loop: Header=BB100_16 Depth=1
	s_or_b64 exec, exec, s[16:17]
	v_add_u32_e32 v12, 64, v12
	v_cmp_le_i32_e64 s[8:9], s66, v12
	s_xor_b64 s[4:5], s[6:7], -1
	s_or_b64 s[4:5], s[4:5], s[8:9]
	s_and_b64 s[4:5], exec, s[4:5]
	s_or_b64 s[14:15], s[4:5], s[14:15]
	v_add_u32_e32 v8, s3, v8
	s_andn2_b64 exec, exec, s[14:15]
	s_cbranch_execz .LBB100_18
.LBB100_16:                             ; =>This Inner Loop Header: Depth=1
	v_ashrrev_i32_e32 v9, 31, v8
	v_lshl_add_u64 v[14:15], v[8:9], 2, v[6:7]
	global_load_dword v9, v[14:15], off
	s_waitcnt vmcnt(0)
	v_cmp_ne_u32_e64 s[6:7], v9, v10
	v_cmp_eq_u32_e64 s[8:9], v9, v10
	s_and_saveexec_b64 s[16:17], s[8:9]
	s_cbranch_execz .LBB100_15
; %bb.17:                               ;   in Loop: Header=BB100_16 Depth=1
	v_mov_b32_e32 v1, 1
	ds_write_b32 v11, v12 offset:4
	s_branch .LBB100_15
.LBB100_18:
	s_or_b64 exec, exec, s[14:15]
.LBB100_19:
	s_or_b64 exec, exec, s[12:13]
.LBB100_20:
	s_or_b64 exec, exec, s[10:11]
	s_and_saveexec_b64 s[6:7], vcc
	s_cbranch_execz .LBB100_22
; %bb.21:
	v_mov_b32_e32 v6, 0x100
	v_lshl_add_u32 v6, v3, 2, v6
	v_mov_b32_e32 v7, -1
	ds_write_b32 v6, v7 offset:8
.LBB100_22:
	s_or_b64 exec, exec, s[6:7]
	v_add_u32_e32 v80, 2, v3
	v_add_u32_e32 v6, v80, v78
	v_cmp_gt_i32_e64 s[4:5], s65, v6
	s_mov_b64 s[10:11], exec
	s_nop 0
	v_writelane_b32 v102, s4, 2
	s_nop 1
	v_writelane_b32 v102, s5, 3
	s_and_b64 s[4:5], s[10:11], s[4:5]
	s_mov_b64 exec, s[4:5]
	s_cbranch_execz .LBB100_30
; %bb.23:
	s_and_saveexec_b64 s[12:13], s[30:31]
	s_cbranch_execz .LBB100_29
; %bb.24:
	v_mul_lo_u32 v6, v80, s71
	v_ashrrev_i32_e32 v7, 31, v6
	v_mov_b32_e32 v8, 0x100
	v_lshl_add_u64 v[6:7], v[6:7], 2, v[4:5]
	v_lshl_add_u32 v11, v3, 2, v8
	v_mul_lo_u32 v8, v2, s70
	s_lshl_b32 s3, s70, 6
	s_mov_b64 s[14:15], 0
	v_mov_b32_e32 v12, v2
	s_branch .LBB100_26
.LBB100_25:                             ;   in Loop: Header=BB100_26 Depth=1
	s_or_b64 exec, exec, s[16:17]
	v_add_u32_e32 v12, 64, v12
	v_cmp_le_i32_e64 s[8:9], s66, v12
	s_xor_b64 s[4:5], s[6:7], -1
	s_or_b64 s[4:5], s[4:5], s[8:9]
	s_and_b64 s[4:5], exec, s[4:5]
	s_or_b64 s[14:15], s[4:5], s[14:15]
	v_add_u32_e32 v8, s3, v8
	s_andn2_b64 exec, exec, s[14:15]
	s_cbranch_execz .LBB100_28
.LBB100_26:                             ; =>This Inner Loop Header: Depth=1
	v_ashrrev_i32_e32 v9, 31, v8
	v_lshl_add_u64 v[14:15], v[8:9], 2, v[6:7]
	global_load_dword v9, v[14:15], off
	s_waitcnt vmcnt(0)
	v_cmp_ne_u32_e64 s[6:7], v9, v10
	v_cmp_eq_u32_e64 s[8:9], v9, v10
	s_and_saveexec_b64 s[16:17], s[8:9]
	s_cbranch_execz .LBB100_25
; %bb.27:                               ;   in Loop: Header=BB100_26 Depth=1
	v_mov_b32_e32 v1, 1
	ds_write_b32 v11, v12 offset:8
	s_branch .LBB100_25
.LBB100_28:
	s_or_b64 exec, exec, s[14:15]
.LBB100_29:
	s_or_b64 exec, exec, s[12:13]
.LBB100_30:
	s_or_b64 exec, exec, s[10:11]
	s_and_saveexec_b64 s[6:7], vcc
	s_cbranch_execz .LBB100_32
; %bb.31:
	v_mov_b32_e32 v6, 0x100
	v_lshl_add_u32 v6, v3, 2, v6
	v_mov_b32_e32 v7, -1
	ds_write_b32 v6, v7 offset:12
.LBB100_32:
	s_or_b64 exec, exec, s[6:7]
	v_add_u32_e32 v81, 3, v3
	v_add_u32_e32 v6, v81, v78
	v_cmp_gt_i32_e64 s[4:5], s65, v6
	s_mov_b64 s[12:13], exec
	;; [unrolled: 64-line block ×7, first 2 shown]
	s_nop 0
	v_writelane_b32 v102, s4, 14
	s_nop 1
	v_writelane_b32 v102, s5, 15
	s_and_b64 s[4:5], s[22:23], s[4:5]
	s_mov_b64 exec, s[4:5]
	s_cbranch_execz .LBB100_90
; %bb.83:
	s_and_saveexec_b64 s[24:25], s[30:31]
	s_cbranch_execz .LBB100_89
; %bb.84:
	v_mul_lo_u32 v6, v86, s71
	v_ashrrev_i32_e32 v7, 31, v6
	v_mov_b32_e32 v8, 0x100
	v_lshl_add_u64 v[6:7], v[6:7], 2, v[4:5]
	v_lshl_add_u32 v11, v3, 2, v8
	v_mul_lo_u32 v8, v2, s70
	s_lshl_b32 s3, s70, 6
	s_mov_b64 s[26:27], 0
	v_mov_b32_e32 v12, v2
	s_branch .LBB100_86
.LBB100_85:                             ;   in Loop: Header=BB100_86 Depth=1
	s_or_b64 exec, exec, s[34:35]
	v_add_u32_e32 v12, 64, v12
	v_cmp_le_i32_e64 s[20:21], s66, v12
	s_xor_b64 s[4:5], s[18:19], -1
	s_or_b64 s[4:5], s[4:5], s[20:21]
	s_and_b64 s[4:5], exec, s[4:5]
	s_or_b64 s[26:27], s[4:5], s[26:27]
	v_add_u32_e32 v8, s3, v8
	s_andn2_b64 exec, exec, s[26:27]
	s_cbranch_execz .LBB100_88
.LBB100_86:                             ; =>This Inner Loop Header: Depth=1
	v_ashrrev_i32_e32 v9, 31, v8
	v_lshl_add_u64 v[14:15], v[8:9], 2, v[6:7]
	global_load_dword v9, v[14:15], off
	s_waitcnt vmcnt(0)
	v_cmp_ne_u32_e64 s[18:19], v9, v10
	v_cmp_eq_u32_e64 s[20:21], v9, v10
	s_and_saveexec_b64 s[34:35], s[20:21]
	s_cbranch_execz .LBB100_85
; %bb.87:                               ;   in Loop: Header=BB100_86 Depth=1
	v_mov_b32_e32 v1, 1
	ds_write_b32 v11, v12 offset:32
	s_branch .LBB100_85
.LBB100_88:
	s_or_b64 exec, exec, s[26:27]
.LBB100_89:
	s_or_b64 exec, exec, s[24:25]
.LBB100_90:
	s_or_b64 exec, exec, s[22:23]
	s_load_dwordx4 s[72:75], s[0:1], 0x44
	s_and_saveexec_b64 s[18:19], vcc
	s_cbranch_execz .LBB100_92
; %bb.91:
	v_mov_b32_e32 v6, 0x100
	v_lshl_add_u32 v6, v3, 2, v6
	v_mov_b32_e32 v7, -1
	ds_write_b32 v6, v7 offset:36
.LBB100_92:
	s_or_b64 exec, exec, s[18:19]
	v_add_u32_e32 v87, 9, v3
	v_add_u32_e32 v6, v87, v78
	v_cmp_gt_i32_e64 s[4:5], s65, v6
	s_mov_b64 s[24:25], exec
	s_nop 0
	v_writelane_b32 v102, s4, 16
	s_nop 1
	v_writelane_b32 v102, s5, 17
	s_and_b64 s[4:5], s[24:25], s[4:5]
	s_mov_b64 exec, s[4:5]
	s_cbranch_execz .LBB100_100
; %bb.93:
	s_and_saveexec_b64 s[26:27], s[30:31]
	s_cbranch_execz .LBB100_99
; %bb.94:
	v_mul_lo_u32 v6, v87, s71
	v_ashrrev_i32_e32 v7, 31, v6
	v_mov_b32_e32 v8, 0x100
	v_lshl_add_u64 v[6:7], v[6:7], 2, v[4:5]
	v_lshl_add_u32 v11, v3, 2, v8
	v_mul_lo_u32 v8, v2, s70
	s_lshl_b32 s3, s70, 6
	s_mov_b64 s[34:35], 0
	v_mov_b32_e32 v12, v2
	s_branch .LBB100_96
.LBB100_95:                             ;   in Loop: Header=BB100_96 Depth=1
	s_or_b64 exec, exec, s[38:39]
	v_add_u32_e32 v12, 64, v12
	v_cmp_le_i32_e64 s[22:23], s66, v12
	s_xor_b64 s[4:5], s[20:21], -1
	s_or_b64 s[4:5], s[4:5], s[22:23]
	s_and_b64 s[4:5], exec, s[4:5]
	s_or_b64 s[34:35], s[4:5], s[34:35]
	v_add_u32_e32 v8, s3, v8
	s_andn2_b64 exec, exec, s[34:35]
	s_cbranch_execz .LBB100_98
.LBB100_96:                             ; =>This Inner Loop Header: Depth=1
	v_ashrrev_i32_e32 v9, 31, v8
	v_lshl_add_u64 v[14:15], v[8:9], 2, v[6:7]
	global_load_dword v9, v[14:15], off
	s_waitcnt vmcnt(0)
	v_cmp_ne_u32_e64 s[20:21], v9, v10
	v_cmp_eq_u32_e64 s[22:23], v9, v10
	s_and_saveexec_b64 s[38:39], s[22:23]
	s_cbranch_execz .LBB100_95
; %bb.97:                               ;   in Loop: Header=BB100_96 Depth=1
	v_mov_b32_e32 v1, 1
	ds_write_b32 v11, v12 offset:36
	s_branch .LBB100_95
.LBB100_98:
	s_or_b64 exec, exec, s[34:35]
.LBB100_99:
	s_or_b64 exec, exec, s[26:27]
.LBB100_100:
	s_or_b64 exec, exec, s[24:25]
	s_waitcnt lgkmcnt(0)
	s_abs_i32 s3, s75
	s_and_saveexec_b64 s[20:21], vcc
	s_cbranch_execz .LBB100_102
; %bb.101:
	v_mov_b32_e32 v6, 0x100
	v_lshl_add_u32 v6, v3, 2, v6
	v_mov_b32_e32 v7, -1
	ds_write_b32 v6, v7 offset:40
.LBB100_102:
	s_or_b64 exec, exec, s[20:21]
	v_cvt_f32_u32_e32 v11, s3
	v_add_u32_e32 v88, 10, v3
	v_add_u32_e32 v6, v88, v78
	v_cmp_gt_i32_e64 s[4:5], s65, v6
	s_mov_b64 s[26:27], exec
	s_nop 0
	v_writelane_b32 v102, s4, 18
	s_nop 1
	v_writelane_b32 v102, s5, 19
	s_and_b64 s[4:5], s[26:27], s[4:5]
	s_mov_b64 exec, s[4:5]
	s_cbranch_execz .LBB100_110
; %bb.103:
	s_and_saveexec_b64 s[34:35], s[30:31]
	s_cbranch_execz .LBB100_109
; %bb.104:
	v_mul_lo_u32 v6, v88, s71
	v_ashrrev_i32_e32 v7, 31, v6
	v_mov_b32_e32 v8, 0x100
	v_lshl_add_u64 v[6:7], v[6:7], 2, v[4:5]
	v_lshl_add_u32 v12, v3, 2, v8
	v_mul_lo_u32 v8, v2, s70
	s_lshl_b32 s4, s70, 6
	s_mov_b64 s[38:39], 0
	v_mov_b32_e32 v13, v2
	s_branch .LBB100_106
.LBB100_105:                            ;   in Loop: Header=BB100_106 Depth=1
	s_or_b64 exec, exec, s[40:41]
	v_add_u32_e32 v13, 64, v13
	v_cmp_le_i32_e64 s[24:25], s66, v13
	s_xor_b64 s[6:7], s[22:23], -1
	s_or_b64 s[6:7], s[6:7], s[24:25]
	s_and_b64 s[6:7], exec, s[6:7]
	s_or_b64 s[38:39], s[6:7], s[38:39]
	v_add_u32_e32 v8, s4, v8
	s_andn2_b64 exec, exec, s[38:39]
	s_cbranch_execz .LBB100_108
.LBB100_106:                            ; =>This Inner Loop Header: Depth=1
	v_ashrrev_i32_e32 v9, 31, v8
	v_lshl_add_u64 v[14:15], v[8:9], 2, v[6:7]
	global_load_dword v9, v[14:15], off
	s_waitcnt vmcnt(0)
	v_cmp_ne_u32_e64 s[22:23], v9, v10
	v_cmp_eq_u32_e64 s[24:25], v9, v10
	s_and_saveexec_b64 s[40:41], s[24:25]
	s_cbranch_execz .LBB100_105
; %bb.107:                              ;   in Loop: Header=BB100_106 Depth=1
	v_mov_b32_e32 v1, 1
	ds_write_b32 v12, v13 offset:40
	s_branch .LBB100_105
.LBB100_108:
	s_or_b64 exec, exec, s[38:39]
.LBB100_109:
	s_or_b64 exec, exec, s[34:35]
.LBB100_110:
	s_or_b64 exec, exec, s[26:27]
	v_rcp_iflag_f32_e32 v6, v11
	s_and_saveexec_b64 s[22:23], vcc
	s_cbranch_execz .LBB100_112
; %bb.111:
	v_mov_b32_e32 v7, 0x100
	v_lshl_add_u32 v7, v3, 2, v7
	v_mov_b32_e32 v8, -1
	ds_write_b32 v7, v8 offset:44
.LBB100_112:
	s_or_b64 exec, exec, s[22:23]
	v_add_u32_e32 v89, 11, v3
	v_mul_f32_e32 v11, 0x4f7ffffe, v6
	v_add_u32_e32 v6, v89, v78
	v_cmp_gt_i32_e64 s[4:5], s65, v6
	s_mov_b64 s[34:35], exec
	s_nop 0
	v_writelane_b32 v102, s4, 20
	s_nop 1
	v_writelane_b32 v102, s5, 21
	s_and_b64 s[4:5], s[34:35], s[4:5]
	s_mov_b64 exec, s[4:5]
	s_cbranch_execz .LBB100_120
; %bb.113:
	s_and_saveexec_b64 s[38:39], s[30:31]
	s_cbranch_execz .LBB100_119
; %bb.114:
	v_mul_lo_u32 v6, v89, s71
	v_ashrrev_i32_e32 v7, 31, v6
	v_mov_b32_e32 v8, 0x100
	v_lshl_add_u64 v[6:7], v[6:7], 2, v[4:5]
	v_lshl_add_u32 v12, v3, 2, v8
	v_mul_lo_u32 v8, v2, s70
	s_lshl_b32 s4, s70, 6
	s_mov_b64 s[40:41], 0
	v_mov_b32_e32 v13, v2
	s_branch .LBB100_116
.LBB100_115:                            ;   in Loop: Header=BB100_116 Depth=1
	s_or_b64 exec, exec, s[42:43]
	v_add_u32_e32 v13, 64, v13
	v_cmp_le_i32_e64 s[26:27], s66, v13
	s_xor_b64 s[6:7], s[24:25], -1
	s_or_b64 s[6:7], s[6:7], s[26:27]
	s_and_b64 s[6:7], exec, s[6:7]
	s_or_b64 s[40:41], s[6:7], s[40:41]
	v_add_u32_e32 v8, s4, v8
	s_andn2_b64 exec, exec, s[40:41]
	s_cbranch_execz .LBB100_118
.LBB100_116:                            ; =>This Inner Loop Header: Depth=1
	v_ashrrev_i32_e32 v9, 31, v8
	v_lshl_add_u64 v[14:15], v[8:9], 2, v[6:7]
	global_load_dword v9, v[14:15], off
	s_waitcnt vmcnt(0)
	v_cmp_ne_u32_e64 s[24:25], v9, v10
	v_cmp_eq_u32_e64 s[26:27], v9, v10
	s_and_saveexec_b64 s[42:43], s[26:27]
	s_cbranch_execz .LBB100_115
; %bb.117:                              ;   in Loop: Header=BB100_116 Depth=1
	v_mov_b32_e32 v1, 1
	ds_write_b32 v12, v13 offset:44
	s_branch .LBB100_115
.LBB100_118:
	s_or_b64 exec, exec, s[40:41]
.LBB100_119:
	s_or_b64 exec, exec, s[38:39]
.LBB100_120:
	s_or_b64 exec, exec, s[34:35]
	v_cvt_u32_f32_e32 v11, v11
	s_sub_i32 s4, 0, s3
	s_and_saveexec_b64 s[24:25], vcc
	s_cbranch_execz .LBB100_122
; %bb.121:
	v_mov_b32_e32 v6, 0x100
	v_lshl_add_u32 v6, v3, 2, v6
	v_mov_b32_e32 v7, -1
	ds_write_b32 v6, v7 offset:48
.LBB100_122:
	s_or_b64 exec, exec, s[24:25]
	v_add_u32_e32 v90, 12, v3
	v_mul_lo_u32 v12, s4, v11
	v_add_u32_e32 v6, v90, v78
	v_cmp_gt_i32_e64 s[4:5], s65, v6
	s_mov_b64 s[38:39], exec
	s_nop 0
	v_writelane_b32 v102, s4, 22
	s_nop 1
	v_writelane_b32 v102, s5, 23
	s_and_b64 s[4:5], s[38:39], s[4:5]
	s_mov_b64 exec, s[4:5]
	s_cbranch_execz .LBB100_130
; %bb.123:
	s_and_saveexec_b64 s[40:41], s[30:31]
	s_cbranch_execz .LBB100_129
; %bb.124:
	v_mul_lo_u32 v6, v90, s71
	v_ashrrev_i32_e32 v7, 31, v6
	v_mov_b32_e32 v8, 0x100
	v_lshl_add_u64 v[6:7], v[6:7], 2, v[4:5]
	v_lshl_add_u32 v13, v3, 2, v8
	v_mul_lo_u32 v8, v2, s70
	s_lshl_b32 s4, s70, 6
	s_mov_b64 s[42:43], 0
	v_mov_b32_e32 v14, v2
	s_branch .LBB100_126
.LBB100_125:                            ;   in Loop: Header=BB100_126 Depth=1
	s_or_b64 exec, exec, s[44:45]
	v_add_u32_e32 v14, 64, v14
	v_cmp_le_i32_e64 s[34:35], s66, v14
	s_xor_b64 s[6:7], s[26:27], -1
	s_or_b64 s[6:7], s[6:7], s[34:35]
	s_and_b64 s[6:7], exec, s[6:7]
	s_or_b64 s[42:43], s[6:7], s[42:43]
	v_add_u32_e32 v8, s4, v8
	s_andn2_b64 exec, exec, s[42:43]
	s_cbranch_execz .LBB100_128
.LBB100_126:                            ; =>This Inner Loop Header: Depth=1
	v_ashrrev_i32_e32 v9, 31, v8
	v_lshl_add_u64 v[16:17], v[8:9], 2, v[6:7]
	global_load_dword v9, v[16:17], off
	s_waitcnt vmcnt(0)
	v_cmp_ne_u32_e64 s[26:27], v9, v10
	v_cmp_eq_u32_e64 s[34:35], v9, v10
	s_and_saveexec_b64 s[44:45], s[34:35]
	s_cbranch_execz .LBB100_125
; %bb.127:                              ;   in Loop: Header=BB100_126 Depth=1
	v_mov_b32_e32 v1, 1
	ds_write_b32 v13, v14 offset:48
	s_branch .LBB100_125
.LBB100_128:
	s_or_b64 exec, exec, s[42:43]
.LBB100_129:
	s_or_b64 exec, exec, s[40:41]
.LBB100_130:
	s_or_b64 exec, exec, s[38:39]
	v_mul_hi_u32 v6, v11, v12
	s_and_saveexec_b64 s[26:27], vcc
	s_cbranch_execz .LBB100_132
; %bb.131:
	v_mov_b32_e32 v7, 0x100
	v_lshl_add_u32 v7, v3, 2, v7
	v_mov_b32_e32 v8, -1
	ds_write_b32 v7, v8 offset:52
.LBB100_132:
	s_or_b64 exec, exec, s[26:27]
	s_load_dwordx4 s[12:15], s[0:1], 0x54
	v_add_u32_e32 v91, 13, v3
	s_abs_i32 s4, s28
	v_add_u32_e32 v8, v11, v6
	v_add_u32_e32 v6, v91, v78
	v_cmp_gt_i32_e64 s[6:7], s65, v6
	s_mov_b64 s[34:35], exec
	s_nop 0
	v_writelane_b32 v102, s6, 24
	s_nop 1
	v_writelane_b32 v102, s7, 25
	s_and_b64 s[6:7], s[34:35], s[6:7]
	s_mov_b64 exec, s[6:7]
	s_cbranch_execz .LBB100_140
; %bb.133:
	s_and_saveexec_b64 s[38:39], s[30:31]
	s_cbranch_execz .LBB100_139
; %bb.134:
	v_mul_lo_u32 v6, v91, s71
	v_ashrrev_i32_e32 v7, 31, v6
	v_lshl_add_u64 v[4:5], v[6:7], 2, v[4:5]
	v_mov_b32_e32 v6, 0x100
	v_lshl_add_u32 v9, v3, 2, v6
	v_mul_lo_u32 v6, v2, s70
	s_lshl_b32 s5, s70, 6
	s_mov_b64 s[40:41], 0
	v_mov_b32_e32 v11, v2
	s_branch .LBB100_136
.LBB100_135:                            ;   in Loop: Header=BB100_136 Depth=1
	s_or_b64 exec, exec, s[42:43]
	v_add_u32_e32 v11, 64, v11
	v_cmp_le_i32_e64 s[30:31], s66, v11
	s_xor_b64 s[6:7], vcc, -1
	s_or_b64 s[6:7], s[6:7], s[30:31]
	s_and_b64 s[6:7], exec, s[6:7]
	s_or_b64 s[40:41], s[6:7], s[40:41]
	v_add_u32_e32 v6, s5, v6
	s_andn2_b64 exec, exec, s[40:41]
	s_cbranch_execz .LBB100_138
.LBB100_136:                            ; =>This Inner Loop Header: Depth=1
	v_ashrrev_i32_e32 v7, 31, v6
	v_lshl_add_u64 v[12:13], v[6:7], 2, v[4:5]
	global_load_dword v7, v[12:13], off
	s_waitcnt vmcnt(0)
	v_cmp_ne_u32_e32 vcc, v7, v10
	v_cmp_eq_u32_e64 s[30:31], v7, v10
	s_and_saveexec_b64 s[42:43], s[30:31]
	s_cbranch_execz .LBB100_135
; %bb.137:                              ;   in Loop: Header=BB100_136 Depth=1
	v_mov_b32_e32 v1, 1
	ds_write_b32 v9, v11 offset:52
	s_branch .LBB100_135
.LBB100_138:
	s_or_b64 exec, exec, s[40:41]
.LBB100_139:
	s_or_b64 exec, exec, s[38:39]
.LBB100_140:
	s_or_b64 exec, exec, s[34:35]
	s_load_dwordx2 s[6:7], s[36:37], 0xc
	s_load_dwordx2 s[34:35], s[0:1], 0x8
	;; [unrolled: 1-line block ×3, first 2 shown]
	v_cmp_ne_u32_e32 vcc, 0, v1
	v_mul_hi_u32 v4, s4, v8
	s_waitcnt lgkmcnt(0)
	s_and_b32 s5, s7, 0xffff
	v_cndmask_b32_e64 v1, 0, 1, vcc
	v_writelane_b32 v102, s8, 26
	s_lshr_b32 s7, s6, 16
	v_or_b32_dpp v1, v1, v1 row_shl:1 row_mask:0xf bank_mask:0xf bound_ctrl:1
	s_and_b32 s6, s6, 0xffff
	v_writelane_b32 v102, s9, 27
	v_or_b32_dpp v1, v1, v1 row_shl:2 row_mask:0xf bank_mask:0xf bound_ctrl:1
	s_mul_i32 s8, s7, s6
	s_bfe_i32 s8, s8, 0x180000
	v_or_b32_dpp v1, v1, v1 row_shl:4 row_mask:0xf bank_mask:0xf bound_ctrl:1
	s_mul_i32 s5, s8, s5
	s_add_i32 s8, s5, 63
	v_or_b32_dpp v1, v1, v1 row_shl:8 row_mask:0xf bank_mask:0xf bound_ctrl:1
	s_bitcmp1_b32 exec_hi, 0
	s_nop 0
	v_mov_b32_dpp v5, v1 wave_shl:1 row_mask:0xf bank_mask:0xf bound_ctrl:1
	s_nop 1
	v_or_b32_dpp v1, v5, v1 row_mirror row_mask:0xf bank_mask:0xf bound_ctrl:1
	s_nop 0
	v_readlane_b32 s5, v1, 32
	s_cselect_b32 s5, s5, 0
	v_readlane_b32 s9, v1, 0
	s_or_b32 s5, s5, s9
	s_andn2_b32 s8, s8, 63
	s_cmp_lg_u32 s8, 64
	v_mov_b32_e32 v1, s5
	s_cbranch_scc0 .LBB100_147
; %bb.141:
	v_bfe_u32 v0, v0, 20, 10
	v_mbcnt_lo_u32_b32 v1, -1, 0
	v_mad_u32_u24 v0, v0, s7, v3
	v_mbcnt_hi_u32_b32 v5, -1, v1
	v_mad_u64_u32 v[0:1], s[6:7], v0, s6, v[2:3]
	v_lshrrev_b32_e32 v1, 6, v0
	v_or_b32_e32 v1, v5, v1
	v_cmp_eq_u32_e32 vcc, 0, v1
	s_and_saveexec_b64 s[30:31], vcc
	s_cbranch_execz .LBB100_143
; %bb.142:
	v_mov_b32_e32 v1, 0
	v_mov_b32_e32 v6, s5
	ds_write_b32 v1, v6
.LBB100_143:
	s_or_b64 exec, exec, s[30:31]
	v_cmp_eq_u32_e32 vcc, 0, v5
	v_cmp_lt_u32_e64 s[30:31], 63, v0
	s_and_b64 s[6:7], s[30:31], vcc
	s_waitcnt lgkmcnt(0)
	; wave barrier
	s_waitcnt lgkmcnt(0)
	s_and_saveexec_b64 s[30:31], s[6:7]
	s_cbranch_execz .LBB100_146
; %bb.144:
	v_mbcnt_lo_u32_b32 v0, exec_lo, 0
	v_mbcnt_hi_u32_b32 v0, exec_hi, v0
	v_cmp_eq_u32_e32 vcc, 0, v0
	s_and_b64 exec, exec, vcc
	s_cbranch_execz .LBB100_146
; %bb.145:
	v_mov_b32_e32 v0, 0
	v_mov_b32_e32 v1, s5
	ds_or_b32 v0, v1
.LBB100_146:
	s_or_b64 exec, exec, s[30:31]
	v_mov_b32_e32 v0, 0
	s_waitcnt lgkmcnt(0)
	; wave barrier
	s_waitcnt lgkmcnt(0)
	ds_read_b32 v1, v0
	s_waitcnt lgkmcnt(0)
	; wave barrier
	s_waitcnt lgkmcnt(0)
.LBB100_147:
	s_load_dwordx2 s[0:1], s[0:1], 0x0
	v_cmp_ne_u32_e32 vcc, 0, v1
	s_ashr_i32 s5, s28, 31
	s_ashr_i32 s6, s75, 31
	s_cbranch_vccz .LBB100_252
; %bb.148:
	v_lshlrev_b32_e32 v92, 6, v3
	v_add_u32_e32 v93, v92, v2
	v_cmp_le_i32_e32 vcc, s64, v93
	v_and_b32_e32 v6, 15, v2
                                        ; implicit-def: $sgpr7
                                        ; implicit-def: $vgpr94
	s_and_saveexec_b64 s[8:9], vcc
	s_xor_b64 s[30:31], exec, s[8:9]
; %bb.149:
	v_mul_u32_u24_e32 v94, 0x108, v6
	s_mov_b32 s7, 0
                                        ; implicit-def: $vgpr93
                                        ; implicit-def: $vgpr4
                                        ; implicit-def: $vgpr10
                                        ; implicit-def: $vgpr6
; %bb.150:
	s_or_saveexec_b64 s[10:11], s[30:31]
	s_lshl_b32 s8, s2, 6
	v_accvgpr_write_b32 a0, s7
	v_accvgpr_write_b32 a1, s7
	;; [unrolled: 1-line block ×16, first 2 shown]
	v_writelane_b32 v102, s10, 28
	s_nop 1
	v_writelane_b32 v102, s11, 29
	s_xor_b64 exec, exec, s[10:11]
	s_cbranch_execz .LBB100_196
; %bb.151:
	v_mul_lo_u32 v0, v4, s3
	v_sub_u32_e32 v0, s4, v0
	v_add_u32_e32 v1, 1, v4
	v_subrev_u32_e32 v5, s3, v0
	v_cmp_le_u32_e32 vcc, s3, v0
	s_xor_b32 s2, s5, s6
	v_writelane_b32 v102, s46, 30
	v_cndmask_b32_e32 v1, v4, v1, vcc
	v_cndmask_b32_e32 v0, v0, v5, vcc
	v_add_u32_e32 v4, 1, v1
	v_cmp_le_u32_e32 vcc, s3, v0
	v_writelane_b32 v102, s47, 31
	v_writelane_b32 v102, s8, 32
	v_cndmask_b32_e32 v0, v1, v4, vcc
	v_xor_b32_e32 v0, s2, v0
	v_subrev_u32_e32 v0, s2, v0
	s_mul_i32 s2, s8, s67
	s_ashr_i32 s3, s2, 31
	s_lshl_b64 s[4:5], s[2:3], 2
	s_movk_i32 s2, 0x1080
	v_mov_b32_e32 v95, 0x100
	v_writelane_b32 v102, s28, 33
	v_mul_hi_i32 v1, v0, s12
	v_mul_lo_u32 v0, v0, s12
	v_mul_lo_u32 v4, v10, s72
	v_mad_u32_u24 v7, v3, s2, v95
	s_mul_hi_i32 s3, s13, s28
	v_writelane_b32 v102, s12, 34
	s_mul_i32 s2, s13, s28
	v_ashrrev_i32_e32 v5, 31, v4
	s_lshl_b64 s[2:3], s[2:3], 2
	v_lshlrev_b64 v[10:11], 2, v[4:5]
	v_writelane_b32 v102, s13, 35
	v_mul_hi_i32 v5, s68, v78
	v_mul_lo_u32 v4, s68, v78
	s_add_u32 s2, s34, s2
	v_writelane_b32 v102, s14, 36
	v_lshlrev_b64 v[4:5], 3, v[4:5]
	s_addc_u32 s3, s35, s3
	v_writelane_b32 v102, s15, 37
	v_lshl_add_u64 v[4:5], s[2:3], 0, v[4:5]
	v_mul_u32_u24_e32 v94, 0x108, v6
	v_lshrrev_b32_e32 v6, 1, v2
	s_lshl_b32 s2, s68, 3
	v_and_b32_e32 v6, 0x1f8, v6
	v_writelane_b32 v102, s2, 38
	s_mul_i32 s2, s68, 6
	v_lshlrev_b64 v[8:9], 2, v[0:1]
	v_add3_u32 v97, v7, v94, v6
	v_writelane_b32 v102, s2, 39
	s_lshl_b32 s2, s68, 4
	v_lshlrev_b32_e32 v6, 1, v2
	v_lshl_add_u32 v96, v2, 2, v7
	v_writelane_b32 v102, s2, 40
	s_mul_i32 s2, s68, 10
	v_lshl_add_u32 v98, v3, 7, v6
	v_lshl_add_u64 v[6:7], v[8:9], 0, s[4:5]
	s_waitcnt lgkmcnt(0)
	v_lshl_add_u64 v[0:1], s[0:1], 0, v[8:9]
	v_writelane_b32 v102, s2, 41
	s_mul_i32 s2, s68, 12
	v_lshl_add_u64 v[8:9], v[6:7], 0, v[10:11]
	v_writelane_b32 v102, s2, 42
	v_lshl_add_u64 v[8:9], s[0:1], 0, v[8:9]
	s_mul_i32 s0, s68, 26
	v_writelane_b32 v102, s0, 43
	s_mul_i32 s0, s68, 24
	v_writelane_b32 v102, s0, 44
	;; [unrolled: 2-line block ×6, first 2 shown]
	s_lshl_b32 s0, s68, 1
	v_writelane_b32 v102, s0, 49
	s_mul_i32 s0, s67, 3
	v_lshl_add_u64 v[0:1], v[0:1], 0, v[10:11]
	v_or_b32_e32 v12, 1, v78
	v_add_u32_e32 v13, 2, v78
	s_lshl_b32 s66, s68, 2
	v_add_u32_e32 v14, 3, v78
	v_add_u32_e32 v15, 4, v78
	;; [unrolled: 1-line block ×11, first 2 shown]
	s_ashr_i32 s3, s67, 31
	s_mov_b32 s2, s67
	v_lshlrev_b32_e32 v6, 2, v93
	v_mov_b32_e32 v7, 0
	v_writelane_b32 v102, s0, 50
	s_mul_i32 s0, s67, 5
	v_lshl_add_u64 v[0:1], v[0:1], 0, s[4:5]
	s_lshl_b64 s[2:3], s[2:3], 2
	v_lshl_add_u64 v[8:9], v[8:9], 0, v[6:7]
	s_lshl_b32 s88, s67, 1
	s_lshl_b32 s90, s67, 2
	v_writelane_b32 v102, s0, 51
	s_mul_i32 s92, s67, 6
	s_mul_i32 s93, s67, 7
	s_lshl_b32 s94, s67, 3
	s_mul_i32 s95, s67, 9
	s_mul_i32 s96, s67, 10
	;; [unrolled: 1-line block ×7, first 2 shown]
	s_lshl_b32 s28, s67, 4
	s_mul_i32 s29, s67, 17
	s_mul_i32 s60, s67, 18
	;; [unrolled: 1-line block ×15, first 2 shown]
	s_lshl_b32 s14, s67, 5
	s_mul_i32 s15, s67, 33
	s_mul_i32 s16, s67, 34
	;; [unrolled: 1-line block ×10, first 2 shown]
	v_cmp_gt_i32_e64 s[0:1], s65, v78
	s_mul_i32 s25, s67, 43
	s_mul_i32 s26, s67, 44
	v_accvgpr_write_b32 a15, 0
	v_accvgpr_write_b32 a14, 0
	v_accvgpr_write_b32 a13, 0
	v_accvgpr_write_b32 a12, 0
	v_accvgpr_write_b32 a11, 0
	v_accvgpr_write_b32 a10, 0
	v_accvgpr_write_b32 a9, 0
	v_accvgpr_write_b32 a8, 0
	v_accvgpr_write_b32 a7, 0
	v_accvgpr_write_b32 a6, 0
	v_accvgpr_write_b32 a5, 0
	v_accvgpr_write_b32 a4, 0
	v_accvgpr_write_b32 a3, 0
	v_accvgpr_write_b32 a2, 0
	v_accvgpr_write_b32 a1, 0
	v_accvgpr_write_b32 a0, 0
	s_mul_i32 s27, s67, 45
	s_mul_i32 s75, s67, 46
	;; [unrolled: 1-line block ×19, first 2 shown]
	v_cmp_gt_i32_e64 s[30:31], s65, v12
	v_cmp_gt_i32_e64 s[34:35], s65, v13
	;; [unrolled: 1-line block ×13, first 2 shown]
	s_mov_b32 s65, s66
	s_mov_b64 s[66:67], 0
	s_mov_b64 s[76:77], 0x100
	s_branch .LBB100_153
.LBB100_152:                            ;   in Loop: Header=BB100_153 Depth=1
	s_waitcnt vmcnt(0)
	v_cvt_f16_f32_e32 v6, v74
	v_cvt_f16_f32_e32 v74, v75
	v_add_u32_e32 v75, 0xc00, v96
	ds_write_b32 v96, v7 offset:4024
	v_add_u32_e32 v93, 64, v93
	v_pack_b32_f16 v6, v6, v74
	ds_write2_b32 v75, v6, v7 offset0:106 offset1:172
	ds_read2_b64 v[74:77], v97 offset0:8 offset1:12
	v_cmp_le_i32_e32 vcc, s64, v93
	v_add_u32_e32 v98, 0x80, v98
	v_lshl_add_u64 v[8:9], v[8:9], 0, s[76:77]
	s_waitcnt lgkmcnt(0)
	v_mfma_f32_16x16x16_f16 a[12:15], v[16:17], v[74:75], a[12:15]
	s_or_b64 s[66:67], vcc, s[66:67]
	v_mfma_f32_16x16x16_f16 a[8:11], v[42:43], v[74:75], a[8:11]
	v_mfma_f32_16x16x16_f16 a[4:7], v[56:57], v[74:75], a[4:7]
	;; [unrolled: 1-line block ×4, first 2 shown]
	ds_read2_b64 v[14:17], v97 offset0:16 offset1:20
	v_mfma_f32_16x16x16_f16 a[8:11], v[40:41], v[76:77], a[8:11]
	v_mfma_f32_16x16x16_f16 a[4:7], v[54:55], v[76:77], a[4:7]
	;; [unrolled: 1-line block ×3, first 2 shown]
	s_waitcnt lgkmcnt(0)
	v_mfma_f32_16x16x16_f16 a[12:15], v[12:13], v[14:15], a[12:15]
	v_mfma_f32_16x16x16_f16 a[8:11], v[36:37], v[14:15], a[8:11]
	;; [unrolled: 1-line block ×5, first 2 shown]
	ds_read2_b64 v[10:13], v97 offset0:24 offset1:28
	v_mfma_f32_16x16x16_f16 a[8:11], v[34:35], v[16:17], a[8:11]
	v_mfma_f32_16x16x16_f16 a[4:7], v[50:51], v[16:17], a[4:7]
	;; [unrolled: 1-line block ×3, first 2 shown]
	s_waitcnt lgkmcnt(0)
	v_mfma_f32_16x16x16_f16 a[12:15], v[24:25], v[10:11], a[12:15]
	v_mfma_f32_16x16x16_f16 a[8:11], v[32:33], v[10:11], a[8:11]
	;; [unrolled: 1-line block ×8, first 2 shown]
	ds_read2_b64 v[10:13], v97 offset0:32 offset1:36
	s_waitcnt lgkmcnt(0)
	v_mfma_f32_16x16x16_f16 a[12:15], v[20:21], v[10:11], a[12:15]
	v_mfma_f32_16x16x16_f16 a[8:11], v[28:29], v[10:11], a[8:11]
	;; [unrolled: 1-line block ×8, first 2 shown]
	s_andn2_b64 exec, exec, s[66:67]
	s_cbranch_execz .LBB100_195
.LBB100_153:                            ; =>This Inner Loop Header: Depth=1
	v_readlane_b32 vcc_lo, v102, 50
	v_lshl_add_u64 v[10:11], v[8:9], 0, s[2:3]
	global_load_dword v6, v[8:9], off
	global_load_dword v26, v[10:11], off
	v_add_u32_e32 v12, vcc_lo, v93
	v_readlane_b32 vcc_lo, v102, 51
	v_add_u32_e32 v10, s88, v93
	v_add_u32_e32 v14, s90, v93
	v_add_u32_e32 v16, vcc_lo, v93
	v_add_u32_e32 v22, s94, v93
	v_ashrrev_i32_e32 v11, 31, v10
	v_ashrrev_i32_e32 v15, 31, v14
	;; [unrolled: 1-line block ×3, first 2 shown]
	v_add_u32_e32 v18, s92, v93
	v_add_u32_e32 v20, s93, v93
	v_ashrrev_i32_e32 v23, 31, v22
	v_add_u32_e32 v24, s95, v93
	v_lshl_add_u64 v[10:11], v[10:11], 2, v[0:1]
	v_ashrrev_i32_e32 v13, 31, v12
	v_lshl_add_u64 v[14:15], v[14:15], 2, v[0:1]
	v_lshl_add_u64 v[16:17], v[16:17], 2, v[0:1]
	v_ashrrev_i32_e32 v19, 31, v18
	v_ashrrev_i32_e32 v21, 31, v20
	v_lshl_add_u64 v[22:23], v[22:23], 2, v[0:1]
	v_ashrrev_i32_e32 v25, 31, v24
	v_lshl_add_u64 v[12:13], v[12:13], 2, v[0:1]
	v_lshl_add_u64 v[18:19], v[18:19], 2, v[0:1]
	;; [unrolled: 1-line block ×4, first 2 shown]
	global_load_dword v27, v[10:11], off
	global_load_dword v28, v[12:13], off
	;; [unrolled: 1-line block ×6, first 2 shown]
	s_nop 0
	global_load_dword v22, v[22:23], off
	s_nop 0
	global_load_dword v23, v[24:25], off
	v_add_u32_e32 v10, s96, v93
	v_add_u32_e32 v14, s98, v93
	;; [unrolled: 1-line block ×3, first 2 shown]
	v_ashrrev_i32_e32 v11, 31, v10
	v_add_u32_e32 v12, s97, v93
	v_ashrrev_i32_e32 v15, 31, v14
	v_ashrrev_i32_e32 v17, 31, v16
	v_add_u32_e32 v18, s62, v93
	v_add_u32_e32 v20, s63, v93
	v_lshl_add_u64 v[10:11], v[10:11], 2, v[0:1]
	v_ashrrev_i32_e32 v13, 31, v12
	v_lshl_add_u64 v[14:15], v[14:15], 2, v[0:1]
	v_lshl_add_u64 v[16:17], v[16:17], 2, v[0:1]
	v_ashrrev_i32_e32 v19, 31, v18
	v_ashrrev_i32_e32 v21, 31, v20
	v_lshl_add_u64 v[12:13], v[12:13], 2, v[0:1]
	v_lshl_add_u64 v[18:19], v[18:19], 2, v[0:1]
	;; [unrolled: 1-line block ×3, first 2 shown]
	global_load_dword v24, v[10:11], off
	global_load_dword v25, v[12:13], off
	s_nop 0
	global_load_dword v14, v[14:15], off
	s_nop 0
	;; [unrolled: 2-line block ×3, first 2 shown]
	global_load_dword v16, v[18:19], off
	global_load_dword v17, v[20:21], off
	v_add_u32_e32 v10, s28, v93
	v_add_u32_e32 v12, s29, v93
	v_ashrrev_i32_e32 v11, 31, v10
	v_ashrrev_i32_e32 v13, 31, v12
	v_lshl_add_u64 v[10:11], v[10:11], 2, v[0:1]
	v_add_u32_e32 v18, s60, v93
	v_lshl_add_u64 v[12:13], v[12:13], 2, v[0:1]
	global_load_dword v34, v[10:11], off
	global_load_dword v35, v[12:13], off
	v_ashrrev_i32_e32 v19, 31, v18
	v_add_u32_e32 v20, s61, v93
	v_lshl_add_u64 v[18:19], v[18:19], 2, v[0:1]
	v_ashrrev_i32_e32 v21, 31, v20
	v_lshl_add_u64 v[20:21], v[20:21], 2, v[0:1]
	s_andn2_b64 vcc, exec, s[0:1]
	s_waitcnt vmcnt(17)
	ds_write_b32 v96, v6 offset:64
	s_waitcnt vmcnt(16)
	ds_write_b32 v96, v26 offset:328
	;; [unrolled: 2-line block ×16, first 2 shown]
	v_add_u32_e32 v22, s58, v93
	v_add_u32_e32 v24, s59, v93
	;; [unrolled: 1-line block ×6, first 2 shown]
	v_ashrrev_i32_e32 v23, 31, v22
	v_ashrrev_i32_e32 v25, 31, v24
	;; [unrolled: 1-line block ×6, first 2 shown]
	ds_read_b64 v[16:17], v97 offset:64
	ds_read_b64 v[14:15], v97 offset:96
	;; [unrolled: 1-line block ×4, first 2 shown]
	v_lshl_add_u64 v[22:23], v[22:23], 2, v[0:1]
	v_lshl_add_u64 v[24:25], v[24:25], 2, v[0:1]
	v_lshl_add_u64 v[26:27], v[26:27], 2, v[0:1]
	v_lshl_add_u64 v[28:29], v[28:29], 2, v[0:1]
	v_lshl_add_u64 v[30:31], v[30:31], 2, v[0:1]
	v_lshl_add_u64 v[32:33], v[32:33], 2, v[0:1]
	global_load_dword v6, v[18:19], off
	global_load_dword v36, v[20:21], off
	global_load_dword v37, v[22:23], off
	global_load_dword v38, v[24:25], off
	global_load_dword v39, v[26:27], off
	global_load_dword v40, v[28:29], off
	global_load_dword v41, v[30:31], off
	global_load_dword v42, v[32:33], off
	v_add_u32_e32 v18, s78, v93
	v_ashrrev_i32_e32 v19, 31, v18
	v_add_u32_e32 v20, s5, v93
	v_add_u32_e32 v22, s10, v93
	v_add_u32_e32 v24, s11, v93
	v_add_u32_e32 v26, s12, v93
	v_add_u32_e32 v28, s13, v93
	v_add_u32_e32 v30, s14, v93
	v_add_u32_e32 v32, s15, v93
	v_lshl_add_u64 v[18:19], v[18:19], 2, v[0:1]
	v_ashrrev_i32_e32 v21, 31, v20
	v_ashrrev_i32_e32 v23, 31, v22
	v_ashrrev_i32_e32 v25, 31, v24
	v_ashrrev_i32_e32 v27, 31, v26
	v_ashrrev_i32_e32 v29, 31, v28
	v_ashrrev_i32_e32 v31, 31, v30
	v_ashrrev_i32_e32 v33, 31, v32
	v_lshl_add_u64 v[20:21], v[20:21], 2, v[0:1]
	v_lshl_add_u64 v[22:23], v[22:23], 2, v[0:1]
	v_lshl_add_u64 v[24:25], v[24:25], 2, v[0:1]
	v_lshl_add_u64 v[26:27], v[26:27], 2, v[0:1]
	v_lshl_add_u64 v[28:29], v[28:29], 2, v[0:1]
	v_lshl_add_u64 v[30:31], v[30:31], 2, v[0:1]
	v_lshl_add_u64 v[32:33], v[32:33], 2, v[0:1]
	global_load_dword v43, v[18:19], off
	global_load_dword v44, v[20:21], off
	global_load_dword v45, v[22:23], off
	global_load_dword v46, v[24:25], off
	global_load_dword v47, v[26:27], off
	global_load_dword v48, v[28:29], off
	global_load_dword v49, v[30:31], off
	global_load_dword v50, v[32:33], off
	v_add_u32_e32 v18, s16, v93
	v_ashrrev_i32_e32 v19, 31, v18
	v_add_u32_e32 v20, s17, v93
	v_add_u32_e32 v22, s18, v93
	v_add_u32_e32 v24, s19, v93
	v_add_u32_e32 v26, s20, v93
	v_add_u32_e32 v28, s21, v93
	v_add_u32_e32 v30, s22, v93
	v_add_u32_e32 v32, s23, v93
	v_lshl_add_u64 v[18:19], v[18:19], 2, v[0:1]
	v_ashrrev_i32_e32 v21, 31, v20
	v_ashrrev_i32_e32 v23, 31, v22
	v_ashrrev_i32_e32 v25, 31, v24
	v_ashrrev_i32_e32 v27, 31, v26
	v_ashrrev_i32_e32 v29, 31, v28
	v_ashrrev_i32_e32 v31, 31, v30
	v_ashrrev_i32_e32 v33, 31, v32
	v_lshl_add_u64 v[20:21], v[20:21], 2, v[0:1]
	;; [unrolled: 32-line block ×4, first 2 shown]
	v_lshl_add_u64 v[22:23], v[22:23], 2, v[0:1]
	v_lshl_add_u64 v[24:25], v[24:25], 2, v[0:1]
	;; [unrolled: 1-line block ×6, first 2 shown]
	global_load_dword v67, v[18:19], off
	global_load_dword v68, v[20:21], off
	;; [unrolled: 1-line block ×8, first 2 shown]
	v_add_u32_e32 v18, s4, v93
	v_ashrrev_i32_e32 v19, 31, v18
	v_add_u32_e32 v20, s72, v93
	v_add_u32_e32 v22, s79, v93
	;; [unrolled: 1-line block ×5, first 2 shown]
	v_lshl_add_u64 v[18:19], v[18:19], 2, v[0:1]
	v_ashrrev_i32_e32 v21, 31, v20
	v_ashrrev_i32_e32 v23, 31, v22
	v_ashrrev_i32_e32 v25, 31, v24
	v_ashrrev_i32_e32 v27, 31, v26
	v_ashrrev_i32_e32 v29, 31, v28
	v_lshl_add_u64 v[20:21], v[20:21], 2, v[0:1]
	v_lshl_add_u64 v[22:23], v[22:23], 2, v[0:1]
	;; [unrolled: 1-line block ×5, first 2 shown]
	global_load_dword v75, v[18:19], off
	global_load_dword v76, v[20:21], off
	;; [unrolled: 1-line block ×6, first 2 shown]
	ds_read_b64 v[24:25], v97 offset:192
	ds_read_b64 v[22:23], v97 offset:224
	ds_read_b64 v[20:21], v97 offset:256
	ds_read_b64 v[18:19], v97 offset:288
	s_waitcnt vmcnt(47)
	ds_write_b32 v96, v34 offset:64
	s_waitcnt vmcnt(46)
	ds_write_b32 v96, v35 offset:328
	s_waitcnt vmcnt(45)
	ds_write_b32 v96, v6 offset:592
	s_waitcnt vmcnt(44)
	ds_write_b32 v96, v36 offset:856
	s_waitcnt vmcnt(43)
	ds_write_b32 v96, v37 offset:1120
	s_waitcnt vmcnt(42)
	ds_write_b32 v96, v38 offset:1384
	s_waitcnt vmcnt(41)
	ds_write_b32 v96, v39 offset:1648
	s_waitcnt vmcnt(40)
	ds_write_b32 v96, v40 offset:1912
	s_waitcnt vmcnt(39)
	ds_write_b32 v96, v41 offset:2176
	s_waitcnt vmcnt(38)
	ds_write_b32 v96, v42 offset:2440
	s_waitcnt vmcnt(37)
	ds_write_b32 v96, v43 offset:2704
	s_waitcnt vmcnt(36)
	ds_write_b32 v96, v44 offset:2968
	s_waitcnt vmcnt(35)
	ds_write_b32 v96, v45 offset:3232
	s_waitcnt vmcnt(34)
	ds_write_b32 v96, v46 offset:3496
	s_waitcnt vmcnt(33)
	ds_write_b32 v96, v47 offset:3760
	s_waitcnt vmcnt(32)
	ds_write_b32 v96, v48 offset:4024
	ds_read_b64 v[42:43], v97 offset:64
	ds_read_b64 v[40:41], v97 offset:96
	ds_read_b64 v[36:37], v97 offset:128
	ds_read_b64 v[34:35], v97 offset:160
	ds_read_b64 v[32:33], v97 offset:192
	ds_read_b64 v[30:31], v97 offset:224
	ds_read_b64 v[28:29], v97 offset:256
	ds_read_b64 v[26:27], v97 offset:288
	s_waitcnt vmcnt(31)
	ds_write_b32 v96, v49 offset:64
	s_waitcnt vmcnt(30)
	ds_write_b32 v96, v50 offset:328
	s_waitcnt vmcnt(29)
	ds_write_b32 v96, v51 offset:592
	s_waitcnt vmcnt(28)
	ds_write_b32 v96, v52 offset:856
	s_waitcnt vmcnt(27)
	ds_write_b32 v96, v53 offset:1120
	s_waitcnt vmcnt(26)
	ds_write_b32 v96, v54 offset:1384
	s_waitcnt vmcnt(25)
	ds_write_b32 v96, v55 offset:1648
	s_waitcnt vmcnt(24)
	ds_write_b32 v96, v56 offset:1912
	s_waitcnt vmcnt(23)
	ds_write_b32 v96, v57 offset:2176
	s_waitcnt vmcnt(22)
	ds_write_b32 v96, v58 offset:2440
	s_waitcnt vmcnt(21)
	ds_write_b32 v96, v59 offset:2704
	s_waitcnt vmcnt(20)
	ds_write_b32 v96, v60 offset:2968
	s_waitcnt vmcnt(19)
	ds_write_b32 v96, v61 offset:3232
	s_waitcnt vmcnt(18)
	ds_write_b32 v96, v62 offset:3496
	s_waitcnt vmcnt(17)
	ds_write_b32 v96, v63 offset:3760
	s_waitcnt vmcnt(16)
	ds_write_b32 v96, v64 offset:4024
	ds_read_b64 v[56:57], v97 offset:64
	ds_read_b64 v[54:55], v97 offset:96
	ds_read_b64 v[52:53], v97 offset:128
	ds_read_b64 v[50:51], v97 offset:160
	;; [unrolled: 40-line block ×3, first 2 shown]
	ds_read_b64 v[68:69], v97 offset:192
	ds_read_b64 v[64:65], v97 offset:224
	;; [unrolled: 1-line block ×4, first 2 shown]
	v_mov_b32_e32 v74, 0
	v_mov_b32_e32 v75, 0
	s_cbranch_vccnz .LBB100_156
; %bb.154:                              ;   in Loop: Header=BB100_153 Depth=1
	ds_read_b32 v6, v95
	v_mov_b32_e32 v75, 0
	v_mov_b32_e32 v74, 0
	s_waitcnt lgkmcnt(0)
	v_cmp_gt_i32_e32 vcc, 0, v6
	s_cbranch_vccnz .LBB100_156
; %bb.155:                              ;   in Loop: Header=BB100_153 Depth=1
	v_mul_lo_u32 v6, v6, s73
	v_add_u32_e32 v74, v98, v6
	v_ashrrev_i32_e32 v75, 31, v74
	v_lshl_add_u64 v[74:75], v[74:75], 2, v[4:5]
	global_load_dwordx2 v[74:75], v[74:75], off
.LBB100_156:                            ;   in Loop: Header=BB100_153 Depth=1
	s_waitcnt vmcnt(0)
	v_cvt_f16_f32_e32 v6, v74
	v_cvt_f16_f32_e32 v74, v75
	s_andn2_b64 vcc, exec, s[30:31]
	v_mov_b32_e32 v76, 0
	v_mov_b32_e32 v77, 0
	v_pack_b32_f16 v6, v6, v74
	v_mov_b32_e32 v74, 0
	ds_write_b32 v96, v6 offset:64
	s_cbranch_vccnz .LBB100_159
; %bb.157:                              ;   in Loop: Header=BB100_153 Depth=1
	ds_read_b32 v6, v95 offset:4
	v_mov_b32_e32 v77, 0
	v_mov_b32_e32 v76, 0
	s_waitcnt lgkmcnt(0)
	v_cmp_gt_i32_e32 vcc, 0, v6
	s_cbranch_vccnz .LBB100_159
; %bb.158:                              ;   in Loop: Header=BB100_153 Depth=1
	v_mul_lo_u32 v6, v6, s73
	v_readlane_b32 vcc_lo, v102, 49
	s_nop 1
	v_add_u32_e32 v6, vcc_lo, v6
	v_add_u32_e32 v76, v6, v98
	v_ashrrev_i32_e32 v77, 31, v76
	v_lshl_add_u64 v[76:77], v[76:77], 2, v[4:5]
	global_load_dwordx2 v[76:77], v[76:77], off
.LBB100_159:                            ;   in Loop: Header=BB100_153 Depth=1
	s_waitcnt vmcnt(0)
	v_cvt_f16_f32_e32 v6, v76
	v_cvt_f16_f32_e32 v75, v77
	s_andn2_b64 vcc, exec, s[34:35]
	v_pack_b32_f16 v6, v6, v75
	v_mov_b32_e32 v75, 0
	ds_write_b32 v96, v6 offset:328
	s_cbranch_vccnz .LBB100_162
; %bb.160:                              ;   in Loop: Header=BB100_153 Depth=1
	ds_read_b32 v6, v95 offset:8
	v_mov_b32_e32 v75, 0
	v_mov_b32_e32 v74, 0
	s_waitcnt lgkmcnt(0)
	v_cmp_gt_i32_e32 vcc, 0, v6
	s_cbranch_vccnz .LBB100_162
; %bb.161:                              ;   in Loop: Header=BB100_153 Depth=1
	v_mul_lo_u32 v6, v6, s73
	v_add_u32_e32 v6, s65, v6
	v_add_u32_e32 v74, v6, v98
	v_ashrrev_i32_e32 v75, 31, v74
	v_lshl_add_u64 v[74:75], v[74:75], 2, v[4:5]
	global_load_dwordx2 v[74:75], v[74:75], off
.LBB100_162:                            ;   in Loop: Header=BB100_153 Depth=1
	s_waitcnt vmcnt(0)
	v_cvt_f16_f32_e32 v6, v74
	v_cvt_f16_f32_e32 v74, v75
	s_andn2_b64 vcc, exec, s[36:37]
	v_mov_b32_e32 v76, 0
	v_mov_b32_e32 v77, 0
	v_pack_b32_f16 v6, v6, v74
	v_mov_b32_e32 v74, 0
	ds_write_b32 v96, v6 offset:592
	s_cbranch_vccnz .LBB100_165
; %bb.163:                              ;   in Loop: Header=BB100_153 Depth=1
	ds_read_b32 v6, v95 offset:12
	v_mov_b32_e32 v77, 0
	v_mov_b32_e32 v76, 0
	s_waitcnt lgkmcnt(0)
	v_cmp_gt_i32_e32 vcc, 0, v6
	s_cbranch_vccnz .LBB100_165
; %bb.164:                              ;   in Loop: Header=BB100_153 Depth=1
	v_mul_lo_u32 v6, v6, s73
	v_readlane_b32 vcc_lo, v102, 39
	s_nop 1
	v_add_u32_e32 v6, vcc_lo, v6
	v_add_u32_e32 v76, v6, v98
	v_ashrrev_i32_e32 v77, 31, v76
	v_lshl_add_u64 v[76:77], v[76:77], 2, v[4:5]
	global_load_dwordx2 v[76:77], v[76:77], off
.LBB100_165:                            ;   in Loop: Header=BB100_153 Depth=1
	s_waitcnt vmcnt(0)
	v_cvt_f16_f32_e32 v6, v76
	v_cvt_f16_f32_e32 v75, v77
	s_andn2_b64 vcc, exec, s[38:39]
	v_pack_b32_f16 v6, v6, v75
	v_mov_b32_e32 v75, 0
	ds_write_b32 v96, v6 offset:856
	s_cbranch_vccnz .LBB100_168
; %bb.166:                              ;   in Loop: Header=BB100_153 Depth=1
	ds_read_b32 v6, v95 offset:16
	v_mov_b32_e32 v75, 0
	v_mov_b32_e32 v74, 0
	s_waitcnt lgkmcnt(0)
	v_cmp_gt_i32_e32 vcc, 0, v6
	s_cbranch_vccnz .LBB100_168
; %bb.167:                              ;   in Loop: Header=BB100_153 Depth=1
	v_mul_lo_u32 v6, v6, s73
	v_readlane_b32 vcc_lo, v102, 38
	s_nop 1
	v_add_u32_e32 v6, vcc_lo, v6
	v_add_u32_e32 v74, v6, v98
	v_ashrrev_i32_e32 v75, 31, v74
	v_lshl_add_u64 v[74:75], v[74:75], 2, v[4:5]
	global_load_dwordx2 v[74:75], v[74:75], off
.LBB100_168:                            ;   in Loop: Header=BB100_153 Depth=1
	s_waitcnt vmcnt(0)
	v_cvt_f16_f32_e32 v6, v74
	v_cvt_f16_f32_e32 v74, v75
	s_andn2_b64 vcc, exec, s[40:41]
	v_mov_b32_e32 v76, 0
	v_mov_b32_e32 v77, 0
	v_pack_b32_f16 v6, v6, v74
	v_mov_b32_e32 v74, 0
	ds_write_b32 v96, v6 offset:1120
	s_cbranch_vccnz .LBB100_171
; %bb.169:                              ;   in Loop: Header=BB100_153 Depth=1
	ds_read_b32 v6, v95 offset:20
	v_mov_b32_e32 v77, 0
	v_mov_b32_e32 v76, 0
	s_waitcnt lgkmcnt(0)
	v_cmp_gt_i32_e32 vcc, 0, v6
	s_cbranch_vccnz .LBB100_171
; %bb.170:                              ;   in Loop: Header=BB100_153 Depth=1
	v_mul_lo_u32 v6, v6, s73
	v_readlane_b32 vcc_lo, v102, 41
	s_nop 1
	v_add_u32_e32 v6, vcc_lo, v6
	v_add_u32_e32 v76, v6, v98
	v_ashrrev_i32_e32 v77, 31, v76
	v_lshl_add_u64 v[76:77], v[76:77], 2, v[4:5]
	global_load_dwordx2 v[76:77], v[76:77], off
.LBB100_171:                            ;   in Loop: Header=BB100_153 Depth=1
	s_waitcnt vmcnt(0)
	v_cvt_f16_f32_e32 v6, v76
	v_cvt_f16_f32_e32 v75, v77
	s_andn2_b64 vcc, exec, s[42:43]
	v_pack_b32_f16 v6, v6, v75
	v_mov_b32_e32 v75, 0
	ds_write_b32 v96, v6 offset:1384
	s_cbranch_vccnz .LBB100_174
; %bb.172:                              ;   in Loop: Header=BB100_153 Depth=1
	ds_read_b32 v6, v95 offset:24
	v_mov_b32_e32 v75, 0
	v_mov_b32_e32 v74, 0
	s_waitcnt lgkmcnt(0)
	v_cmp_gt_i32_e32 vcc, 0, v6
	s_cbranch_vccnz .LBB100_174
; %bb.173:                              ;   in Loop: Header=BB100_153 Depth=1
	v_mul_lo_u32 v6, v6, s73
	v_readlane_b32 vcc_lo, v102, 42
	s_nop 1
	v_add_u32_e32 v6, vcc_lo, v6
	v_add_u32_e32 v74, v6, v98
	v_ashrrev_i32_e32 v75, 31, v74
	v_lshl_add_u64 v[74:75], v[74:75], 2, v[4:5]
	global_load_dwordx2 v[74:75], v[74:75], off
.LBB100_174:                            ;   in Loop: Header=BB100_153 Depth=1
	;; [unrolled: 52-line block ×5, first 2 shown]
	s_waitcnt vmcnt(0)
	v_cvt_f16_f32_e32 v6, v74
	v_cvt_f16_f32_e32 v74, v75
	s_andn2_b64 vcc, exec, s[56:57]
	v_mov_b32_e32 v75, 0
	v_pack_b32_f16 v6, v6, v74
	v_mov_b32_e32 v74, 0
	ds_write_b32 v96, v6 offset:3232
	s_cbranch_vccnz .LBB100_152
; %bb.193:                              ;   in Loop: Header=BB100_153 Depth=1
	ds_read_b32 v6, v95 offset:52
	v_mov_b32_e32 v75, 0
	v_mov_b32_e32 v74, 0
	s_waitcnt lgkmcnt(0)
	v_cmp_gt_i32_e32 vcc, 0, v6
	s_cbranch_vccnz .LBB100_152
; %bb.194:                              ;   in Loop: Header=BB100_153 Depth=1
	v_mul_lo_u32 v6, v6, s73
	v_readlane_b32 vcc_lo, v102, 43
	s_nop 1
	v_add_u32_e32 v6, vcc_lo, v6
	v_add_u32_e32 v74, v6, v98
	v_ashrrev_i32_e32 v75, 31, v74
	v_lshl_add_u64 v[74:75], v[74:75], 2, v[4:5]
	global_load_dwordx2 v[74:75], v[74:75], off
	s_branch .LBB100_152
.LBB100_195:
	s_or_b64 exec, exec, s[66:67]
	v_readlane_b32 s46, v102, 30
	v_readlane_b32 s12, v102, 34
	;; [unrolled: 1-line block ×8, first 2 shown]
.LBB100_196:
	s_waitcnt lgkmcnt(0)
	v_readlane_b32 s0, v102, 28
	v_readlane_b32 s1, v102, 29
	s_or_b64 exec, exec, s[0:1]
	s_movk_i32 s0, 0x100
	v_lshlrev_b32_e32 v0, 2, v92
	v_add3_u32 v0, s0, v94, v0
	v_and_b32_e32 v4, 0x3f0, v2
	v_add_u32_e32 v5, v0, v4
	ds_write2_b32 v5, a12, a13 offset0:16 offset1:17
	v_or_b32_e32 v5, 12, v2
	v_add_u32_e32 v1, 64, v0
	v_and_b32_e32 v5, 0x3fc, v5
	v_add_u32_e32 v4, v1, v4
	v_add_u32_e32 v0, v0, v5
	ds_write_b32 v4, a14 offset:8
	ds_write_b32 v0, a15 offset:64
	ds_write2_b32 v4, a8, a9 offset0:16 offset1:17
	ds_write_b32 v4, a10 offset:72
	v_add_u32_e32 v0, v1, v5
	ds_write_b32 v0, a11 offset:64
	ds_write2_b32 v4, a4, a5 offset0:32 offset1:33
	ds_write_b32 v4, a6 offset:136
	ds_write_b32 v0, a7 offset:128
	ds_write2_b32 v4, a0, a1 offset0:48 offset1:49
	ds_write_b32 v4, a2 offset:200
	ds_write_b32 v0, a3 offset:192
	v_mov_b32_e32 v0, 0x100
	v_lshl_add_u32 v4, v2, 2, v0
	s_movk_i32 s0, 0x108
	v_mad_u32_u24 v1, v3, s0, v4
	ds_read_b32 v5, v1 offset:64
	v_cmp_gt_u32_e32 vcc, 14, v3
	v_mov_b32_e32 v6, -1
	s_and_saveexec_b64 s[0:1], vcc
	s_cbranch_execz .LBB100_198
; %bb.197:
	v_lshl_add_u32 v0, v3, 2, v0
	ds_read_b32 v6, v0
.LBB100_198:
	s_or_b64 exec, exec, s[0:1]
	s_mul_hi_i32 s1, s14, s28
	s_mul_i32 s0, s14, s28
	s_lshl_b64 s[0:1], s[0:1], 2
	v_readlane_b32 s2, v102, 26
	v_mul_hi_i32 v1, v78, s69
	v_mul_lo_u32 v0, v78, s69
	v_readlane_b32 s3, v102, 27
	s_add_u32 s0, s2, s0
	s_addc_u32 s1, s3, s1
	v_lshlrev_b64 v[0:1], 2, v[0:1]
	s_waitcnt lgkmcnt(0)
	v_cmp_lt_i32_e32 vcc, -1, v6
	v_mul_u32_u24_e32 v7, 0x108, v3
	v_add_u32_e32 v2, s8, v2
	v_lshl_add_u64 v[0:1], s[0:1], 0, v[0:1]
	s_and_b64 s[2:3], vcc, s[46:47]
	s_and_saveexec_b64 s[0:1], s[2:3]
	s_cbranch_execz .LBB100_200
; %bb.199:
	v_mul_lo_u32 v6, v6, s74
	v_mul_lo_u32 v8, v3, s69
	v_add3_u32 v8, v2, v8, v6
	v_mov_b32_e32 v9, 0
	v_add_f32_e32 v5, 0, v5
	v_lshl_add_u64 v[8:9], v[8:9], 2, v[0:1]
	global_store_dword v[8:9], v5, off
.LBB100_200:
	s_or_b64 exec, exec, s[0:1]
	v_add_u32_e32 v4, v7, v4
	ds_read_b32 v5, v4 offset:328
	v_cmp_gt_u32_e32 vcc, 13, v3
	v_mov_b32_e32 v6, -1
	s_and_saveexec_b64 s[0:1], vcc
	s_cbranch_execz .LBB100_202
; %bb.201:
	v_mov_b32_e32 v6, 0x100
	v_lshl_add_u32 v6, v3, 2, v6
	ds_read_b32 v6, v6 offset:4
.LBB100_202:
	s_or_b64 exec, exec, s[0:1]
	v_readlane_b32 s0, v102, 0
	s_waitcnt lgkmcnt(0)
	v_cmp_lt_i32_e32 vcc, -1, v6
	v_readlane_b32 s1, v102, 1
	s_and_b64 s[2:3], vcc, s[0:1]
	s_and_saveexec_b64 s[0:1], s[2:3]
	s_cbranch_execz .LBB100_204
; %bb.203:
	v_mul_lo_u32 v6, v6, s74
	v_mul_lo_u32 v7, v79, s69
	v_add3_u32 v6, v2, v7, v6
	v_mov_b32_e32 v7, 0
	v_add_f32_e32 v5, 0, v5
	v_lshl_add_u64 v[6:7], v[6:7], 2, v[0:1]
	global_store_dword v[6:7], v5, off
.LBB100_204:
	s_or_b64 exec, exec, s[0:1]
	ds_read_b32 v5, v4 offset:592
	v_cmp_gt_u32_e32 vcc, 12, v3
	v_mov_b32_e32 v6, -1
	s_and_saveexec_b64 s[0:1], vcc
	s_cbranch_execz .LBB100_206
; %bb.205:
	v_mov_b32_e32 v6, 0x100
	v_lshl_add_u32 v6, v3, 2, v6
	ds_read_b32 v6, v6 offset:8
.LBB100_206:
	s_or_b64 exec, exec, s[0:1]
	v_readlane_b32 s0, v102, 2
	s_waitcnt lgkmcnt(0)
	v_cmp_lt_i32_e32 vcc, -1, v6
	v_readlane_b32 s1, v102, 3
	s_and_b64 s[2:3], vcc, s[0:1]
	s_and_saveexec_b64 s[0:1], s[2:3]
	s_cbranch_execz .LBB100_208
; %bb.207:
	v_mul_lo_u32 v6, v6, s74
	v_mul_lo_u32 v7, v80, s69
	v_add3_u32 v6, v2, v7, v6
	v_mov_b32_e32 v7, 0
	v_add_f32_e32 v5, 0, v5
	v_lshl_add_u64 v[6:7], v[6:7], 2, v[0:1]
	global_store_dword v[6:7], v5, off
.LBB100_208:
	s_or_b64 exec, exec, s[0:1]
	;; [unrolled: 28-line block ×12, first 2 shown]
	ds_read_b32 v4, v4 offset:3496
	v_cmp_eq_u32_e32 vcc, 0, v3
	v_mov_b32_e32 v3, -1
	s_and_saveexec_b64 s[0:1], vcc
	s_cbranch_execz .LBB100_250
; %bb.249:
	v_mov_b32_e32 v3, 0x100
	ds_read_b32 v3, v3 offset:52
.LBB100_250:
	s_or_b64 exec, exec, s[0:1]
	v_readlane_b32 s0, v102, 24
	s_waitcnt lgkmcnt(0)
	v_cmp_lt_i32_e32 vcc, -1, v3
	v_readlane_b32 s1, v102, 25
	s_and_b64 s[0:1], vcc, s[0:1]
	s_and_saveexec_b64 s[2:3], s[0:1]
	s_cbranch_execz .LBB100_252
; %bb.251:
	v_mul_lo_u32 v3, v3, s74
	v_mul_lo_u32 v5, v91, s69
	v_add3_u32 v2, v2, v5, v3
	v_mov_b32_e32 v3, 0
	v_add_f32_e32 v4, 0, v4
	v_lshl_add_u64 v[0:1], v[2:3], 2, v[0:1]
	global_store_dword v[0:1], v4, off
.LBB100_252:
	s_endpgm
	.section	.rodata,"a",@progbits
	.p2align	6, 0x0
	.amdhsa_kernel _ZL9mul_mat_fI7__half2Li64ELi14ELi1ELb1EEvPKT_PKfPKiPfiiiiiiiiiiiiiiii
		.amdhsa_group_segment_fixed_size 256
		.amdhsa_private_segment_fixed_size 0
		.amdhsa_kernarg_size 352
		.amdhsa_user_sgpr_count 2
		.amdhsa_user_sgpr_dispatch_ptr 0
		.amdhsa_user_sgpr_queue_ptr 0
		.amdhsa_user_sgpr_kernarg_segment_ptr 1
		.amdhsa_user_sgpr_dispatch_id 0
		.amdhsa_user_sgpr_kernarg_preload_length 0
		.amdhsa_user_sgpr_kernarg_preload_offset 0
		.amdhsa_user_sgpr_private_segment_size 0
		.amdhsa_uses_dynamic_stack 0
		.amdhsa_enable_private_segment 0
		.amdhsa_system_sgpr_workgroup_id_x 1
		.amdhsa_system_sgpr_workgroup_id_y 1
		.amdhsa_system_sgpr_workgroup_id_z 1
		.amdhsa_system_sgpr_workgroup_info 0
		.amdhsa_system_vgpr_workitem_id 2
		.amdhsa_next_free_vgpr 120
		.amdhsa_next_free_sgpr 100
		.amdhsa_accum_offset 104
		.amdhsa_reserve_vcc 1
		.amdhsa_float_round_mode_32 0
		.amdhsa_float_round_mode_16_64 0
		.amdhsa_float_denorm_mode_32 3
		.amdhsa_float_denorm_mode_16_64 3
		.amdhsa_dx10_clamp 1
		.amdhsa_ieee_mode 1
		.amdhsa_fp16_overflow 0
		.amdhsa_tg_split 0
		.amdhsa_exception_fp_ieee_invalid_op 0
		.amdhsa_exception_fp_denorm_src 0
		.amdhsa_exception_fp_ieee_div_zero 0
		.amdhsa_exception_fp_ieee_overflow 0
		.amdhsa_exception_fp_ieee_underflow 0
		.amdhsa_exception_fp_ieee_inexact 0
		.amdhsa_exception_int_div_zero 0
	.end_amdhsa_kernel
	.section	.text._ZL9mul_mat_fI7__half2Li64ELi14ELi1ELb1EEvPKT_PKfPKiPfiiiiiiiiiiiiiiii,"axG",@progbits,_ZL9mul_mat_fI7__half2Li64ELi14ELi1ELb1EEvPKT_PKfPKiPfiiiiiiiiiiiiiiii,comdat
.Lfunc_end100:
	.size	_ZL9mul_mat_fI7__half2Li64ELi14ELi1ELb1EEvPKT_PKfPKiPfiiiiiiiiiiiiiiii, .Lfunc_end100-_ZL9mul_mat_fI7__half2Li64ELi14ELi1ELb1EEvPKT_PKfPKiPfiiiiiiiiiiiiiiii
                                        ; -- End function
	.section	.AMDGPU.csdata,"",@progbits
; Kernel info:
; codeLenInByte = 12996
; NumSgprs: 106
; NumVgprs: 103
; NumAgprs: 16
; TotalNumVgprs: 120
; ScratchSize: 0
; MemoryBound: 0
; FloatMode: 240
; IeeeMode: 1
; LDSByteSize: 256 bytes/workgroup (compile time only)
; SGPRBlocks: 13
; VGPRBlocks: 14
; NumSGPRsForWavesPerEU: 106
; NumVGPRsForWavesPerEU: 120
; AccumOffset: 104
; Occupancy: 4
; WaveLimiterHint : 0
; COMPUTE_PGM_RSRC2:SCRATCH_EN: 0
; COMPUTE_PGM_RSRC2:USER_SGPR: 2
; COMPUTE_PGM_RSRC2:TRAP_HANDLER: 0
; COMPUTE_PGM_RSRC2:TGID_X_EN: 1
; COMPUTE_PGM_RSRC2:TGID_Y_EN: 1
; COMPUTE_PGM_RSRC2:TGID_Z_EN: 1
; COMPUTE_PGM_RSRC2:TIDIG_COMP_CNT: 2
; COMPUTE_PGM_RSRC3_GFX90A:ACCUM_OFFSET: 25
; COMPUTE_PGM_RSRC3_GFX90A:TG_SPLIT: 0
	.section	.text._ZL9mul_mat_fI7__half2Li64ELi14ELi1ELb0EEvPKT_PKfPKiPfiiiiiiiiiiiiiiii,"axG",@progbits,_ZL9mul_mat_fI7__half2Li64ELi14ELi1ELb0EEvPKT_PKfPKiPfiiiiiiiiiiiiiiii,comdat
	.globl	_ZL9mul_mat_fI7__half2Li64ELi14ELi1ELb0EEvPKT_PKfPKiPfiiiiiiiiiiiiiiii ; -- Begin function _ZL9mul_mat_fI7__half2Li64ELi14ELi1ELb0EEvPKT_PKfPKiPfiiiiiiiiiiiiiiii
	.p2align	8
	.type	_ZL9mul_mat_fI7__half2Li64ELi14ELi1ELb0EEvPKT_PKfPKiPfiiiiiiiiiiiiiiii,@function
_ZL9mul_mat_fI7__half2Li64ELi14ELi1ELb0EEvPKT_PKfPKiPfiiiiiiiiiiiiiiii: ; @_ZL9mul_mat_fI7__half2Li64ELi14ELi1ELb0EEvPKT_PKfPKiPfiiiiiiiiiiiiiiii
; %bb.0:
	s_load_dword s5, s[0:1], 0x20
	s_load_dwordx4 s[16:19], s[0:1], 0x2c
	v_bfe_u32 v84, v0, 10, 10
	v_lshlrev_b32_e32 v86, 6, v84
	v_and_b32_e32 v85, 0x3ff, v0
	v_or_b32_e32 v87, v86, v85
	s_mov_b32 s20, 0
	s_waitcnt lgkmcnt(0)
	s_ashr_i32 s19, s4, 31
	v_cmp_le_i32_e32 vcc, s5, v87
	v_and_b32_e32 v1, 15, v85
                                        ; implicit-def: $vgpr88
	s_and_saveexec_b64 s[6:7], vcc
	s_xor_b64 s[6:7], exec, s[6:7]
; %bb.1:
	v_mul_u32_u24_e32 v88, 0x108, v1
                                        ; implicit-def: $vgpr87
                                        ; implicit-def: $vgpr1
; %bb.2:
	s_or_saveexec_b64 s[24:25], s[6:7]
	s_load_dwordx8 s[8:15], s[0:1], 0x40
	s_load_dwordx2 s[6:7], s[0:1], 0x18
	s_lshl_b32 s2, s2, 6
	v_accvgpr_write_b32 a0, s20
	v_accvgpr_write_b32 a1, s20
	;; [unrolled: 1-line block ×16, first 2 shown]
	v_lshlrev_b32_e32 v0, 2, v85
	s_xor_b64 exec, exec, s[24:25]
	s_cbranch_execz .LBB101_6
; %bb.3:
	s_waitcnt lgkmcnt(0)
	s_abs_i32 s26, s8
	v_cvt_f32_u32_e32 v2, s26
	s_abs_i32 s27, s12
	v_cvt_f32_u32_e32 v3, s27
	s_sub_i32 s20, 0, s26
	v_rcp_iflag_f32_e32 v2, v2
	s_abs_i32 s28, s3
	v_rcp_iflag_f32_e32 v3, v3
	s_sub_i32 s21, 0, s27
	v_mul_f32_e32 v2, 0x4f7ffffe, v2
	v_cvt_u32_f32_e32 v2, v2
	v_mul_f32_e32 v3, 0x4f7ffffe, v3
	v_cvt_u32_f32_e32 v3, v3
	s_abs_i32 s29, s4
	v_mul_lo_u32 v4, s20, v2
	v_mul_hi_u32 v4, v2, v4
	v_add_u32_e32 v2, v2, v4
	v_mul_hi_u32 v2, s28, v2
	v_mul_lo_u32 v5, s21, v3
	v_mul_lo_u32 v4, v2, s26
	v_mul_hi_u32 v5, v3, v5
	v_sub_u32_e32 v4, s28, v4
	v_add_u32_e32 v3, v3, v5
	v_add_u32_e32 v5, 1, v2
	v_subrev_u32_e32 v6, s26, v4
	v_cmp_le_u32_e32 vcc, s26, v4
	s_load_dwordx4 s[20:23], s[0:1], 0x0
	s_ashr_i32 s0, s3, 31
	v_cndmask_b32_e32 v2, v2, v5, vcc
	v_cndmask_b32_e32 v4, v4, v6, vcc
	s_ashr_i32 s1, s8, 31
	v_add_u32_e32 v5, 1, v2
	v_cmp_le_u32_e32 vcc, s26, v4
	s_xor_b32 s0, s0, s1
	v_mul_hi_u32 v3, s29, v3
	v_cndmask_b32_e32 v2, v2, v5, vcc
	v_xor_b32_e32 v2, s0, v2
	v_subrev_u32_e32 v4, s0, v2
	v_mul_lo_u32 v2, v3, s27
	v_sub_u32_e32 v2, s29, v2
	v_add_u32_e32 v5, 1, v3
	v_subrev_u32_e32 v6, s27, v2
	v_cmp_le_u32_e32 vcc, s27, v2
	s_ashr_i32 s8, s12, 31
	s_xor_b32 s0, s19, s8
	v_cndmask_b32_e32 v3, v3, v5, vcc
	v_cndmask_b32_e32 v2, v2, v6, vcc
	v_add_u32_e32 v5, 1, v3
	v_cmp_le_u32_e32 vcc, s27, v2
	v_mul_lo_u32 v4, v4, s9
	s_mul_hi_i32 s9, s14, s4
	v_cndmask_b32_e32 v2, v3, v5, vcc
	v_xor_b32_e32 v2, s0, v2
	v_subrev_u32_e32 v2, s0, v2
	s_mul_i32 s0, s2, s16
	v_ashrrev_i32_e32 v5, 31, v4
	s_mul_i32 s8, s14, s4
	s_mul_i32 s12, s3, s10
	s_ashr_i32 s1, s0, 31
	v_mul_hi_i32 v3, v2, s13
	v_mul_lo_u32 v2, v2, s13
	s_lshl_b64 s[0:1], s[0:1], 2
	v_lshlrev_b64 v[4:5], 2, v[4:5]
	s_ashr_i32 s13, s12, 31
	s_lshl_b64 s[26:27], s[8:9], 2
	s_movk_i32 s8, 0x1080
	v_mul_u32_u24_e32 v88, 0x108, v1
	v_lshrrev_b32_e32 v1, 1, v85
	v_lshlrev_b64 v[6:7], 2, v[2:3]
	v_lshl_add_u64 v[8:9], v[4:5], 0, s[0:1]
	s_lshl_b64 s[0:1], s[12:13], 2
	v_mad_u32_u24 v4, v84, s8, 0
	v_and_b32_e32 v1, 0x1f8, v1
	s_waitcnt lgkmcnt(0)
	v_lshl_add_u64 v[2:3], s[20:21], 0, v[6:7]
	s_add_u32 s22, s22, s0
	v_add_u32_e32 v89, v4, v0
	v_add3_u32 v90, v4, v88, v1
	v_lshlrev_b32_e32 v4, 8, v84
	v_mov_b32_e32 v5, 0
	v_lshl_add_u64 v[6:7], v[8:9], 0, v[6:7]
	s_addc_u32 s23, s23, s1
	v_lshl_add_u64 v[6:7], v[6:7], 0, v[4:5]
	v_lshlrev_b32_e32 v4, 9, v84
	v_lshl_add_u64 v[2:3], v[8:9], 0, v[2:3]
	s_add_u32 s0, s22, s26
	v_mov_b32_e32 v1, v5
	v_lshl_add_u64 v[8:9], s[26:27], 0, v[4:5]
	v_lshlrev_b32_e32 v4, 3, v85
	s_addc_u32 s1, s23, s27
	s_ashr_i32 s9, s16, 31
	s_mov_b32 s8, s16
	s_ashr_i32 s13, s17, 31
	s_mov_b32 s12, s17
	v_lshl_add_u64 v[6:7], v[6:7], 0, v[0:1]
	v_lshl_add_u64 v[8:9], v[8:9], 0, v[4:5]
	s_lshl_b64 s[8:9], s[8:9], 2
	v_lshl_add_u64 v[6:7], s[20:21], 0, v[6:7]
	s_lshl_b64 s[12:13], s[12:13], 3
	v_lshl_add_u64 v[8:9], s[22:23], 0, v[8:9]
	s_mul_i32 s10, s16, 63
	s_lshl_b32 s14, s17, 1
	s_mul_i32 s19, s17, 3
	s_lshl_b32 s26, s17, 2
	s_mul_i32 s27, s17, 5
	s_mul_i32 s28, s17, 6
	;; [unrolled: 1-line block ×3, first 2 shown]
	s_lshl_b32 s30, s17, 3
	s_mul_i32 s31, s17, 9
	s_mul_i32 s33, s17, 10
	s_mul_i32 s34, s17, 11
	s_mul_i32 s35, s17, 12
	s_mul_i32 s36, s17, 13
	s_lshl_b32 s37, s16, 1
	s_mul_i32 s38, s16, 3
	s_lshl_b32 s39, s16, 2
	s_mul_i32 s40, s16, 5
	s_mul_i32 s41, s16, 6
	s_mul_i32 s42, s16, 7
	s_lshl_b32 s43, s16, 3
	s_mul_i32 s44, s16, 9
	s_mul_i32 s45, s16, 10
	;; [unrolled: 1-line block ×7, first 2 shown]
	s_lshl_b32 s51, s16, 4
	s_mul_i32 s52, s16, 17
	s_mul_i32 s53, s16, 18
	;; [unrolled: 1-line block ×15, first 2 shown]
	s_lshl_b32 s67, s16, 5
	s_mul_i32 s68, s16, 33
	s_mul_i32 s69, s16, 34
	;; [unrolled: 1-line block ×11, first 2 shown]
	v_accvgpr_write_b32 a15, 0
	v_accvgpr_write_b32 a14, 0
	;; [unrolled: 1-line block ×16, first 2 shown]
	s_mul_i32 s79, s16, 44
	s_mul_i32 s80, s16, 45
	;; [unrolled: 1-line block ×19, first 2 shown]
	s_mov_b64 s[16:17], 0
	s_mov_b64 s[20:21], 0x100
	;; [unrolled: 1-line block ×3, first 2 shown]
.LBB101_4:                              ; =>This Inner Loop Header: Depth=1
	v_add_u32_e32 v82, s37, v87
	v_add_u32_e32 v34, s38, v87
	;; [unrolled: 1-line block ×22, first 2 shown]
	v_lshl_add_u64 v[32:33], v[6:7], 0, s[8:9]
	v_add_u32_e32 v78, s41, v87
	v_add_u32_e32 v50, s57, v87
	;; [unrolled: 1-line block ×8, first 2 shown]
	v_ashrrev_i32_e32 v83, 31, v82
	v_ashrrev_i32_e32 v35, 31, v34
	;; [unrolled: 1-line block ×22, first 2 shown]
	v_add_u32_e32 v20, s65, v87
	v_add_u32_e32 v12, s68, v87
	;; [unrolled: 1-line block ×3, first 2 shown]
	global_load_dword v94, v[32:33], off
	v_lshl_add_u64 v[32:33], v[82:83], 2, v[2:3]
	v_lshl_add_u64 v[34:35], v[34:35], 2, v[2:3]
	;; [unrolled: 1-line block ×3, first 2 shown]
	v_ashrrev_i32_e32 v79, 31, v78
	v_lshl_add_u64 v[44:45], v[44:45], 2, v[2:3]
	v_lshl_add_u64 v[46:47], v[46:47], 2, v[2:3]
	;; [unrolled: 1-line block ×15, first 2 shown]
	v_ashrrev_i32_e32 v51, 31, v50
	v_lshl_add_u64 v[48:49], v[48:49], 2, v[2:3]
	v_ashrrev_i32_e32 v43, 31, v42
	v_lshl_add_u64 v[40:41], v[40:41], 2, v[2:3]
	v_lshl_add_u64 v[36:37], v[36:37], 2, v[2:3]
	;; [unrolled: 1-line block ×3, first 2 shown]
	v_ashrrev_i32_e32 v27, 31, v26
	v_ashrrev_i32_e32 v31, 31, v30
	;; [unrolled: 1-line block ×5, first 2 shown]
	v_add_u32_e32 v14, s70, v87
	v_add_u32_e32 v28, s71, v87
	global_load_dword v82, v[32:33], off
	global_load_dword v92, v[34:35], off
	s_nop 0
	global_load_dword v80, v[80:81], off
	v_lshl_add_u64 v[96:97], v[78:79], 2, v[2:3]
	global_load_dword v79, v[44:45], off
	global_load_dword v78, v[96:97], off
	;; [unrolled: 1-line block ×3, first 2 shown]
	s_nop 0
	global_load_dword v76, v[76:77], off
	s_nop 0
	global_load_dword v91, v[58:59], off
	global_load_dword v77, v[74:75], off
	;; [unrolled: 1-line block ×3, first 2 shown]
	s_nop 0
	global_load_dword v75, v[72:73], off
	global_load_dword v83, v[66:67], off
	s_nop 0
	global_load_dword v71, v[70:71], off
	s_nop 0
	global_load_dword v74, v[62:63], off
	global_load_dword v1, v[68:69], off
	;; [unrolled: 1-line block ×3, first 2 shown]
	s_nop 0
	global_load_dword v64, v[64:65], off
	s_nop 0
	global_load_dword v65, v[52:53], off
	global_load_dword v68, v[56:57], off
	v_lshl_add_u64 v[56:57], v[50:51], 2, v[2:3]
	global_load_dword v50, v[48:49], off
	global_load_dword v51, v[56:57], off
	v_lshl_add_u64 v[42:43], v[42:43], 2, v[2:3]
	global_load_dword v69, v[40:41], off
	global_load_dword v70, v[42:43], off
	;; [unrolled: 1-line block ×4, first 2 shown]
	v_lshl_add_u64 v[26:27], v[26:27], 2, v[2:3]
	v_lshl_add_u64 v[38:39], v[30:31], 2, v[2:3]
	v_ashrrev_i32_e32 v21, 31, v20
	v_lshl_add_u64 v[16:17], v[16:17], 2, v[2:3]
	v_lshl_add_u64 v[10:11], v[10:11], 2, v[2:3]
	;; [unrolled: 1-line block ×3, first 2 shown]
	v_ashrrev_i32_e32 v13, 31, v12
	v_ashrrev_i32_e32 v25, 31, v24
	v_add_u32_e32 v18, s72, v87
	v_add_u32_e32 v32, s73, v87
	global_load_dword v30, v[26:27], off
	global_load_dword v31, v[38:39], off
	v_lshl_add_u64 v[38:39], v[20:21], 2, v[2:3]
	global_load_dword v20, v[16:17], off
	global_load_dword v21, v[38:39], off
	;; [unrolled: 1-line block ×4, first 2 shown]
	v_lshl_add_u64 v[12:13], v[12:13], 2, v[2:3]
	v_lshl_add_u64 v[22:23], v[24:25], 2, v[2:3]
	v_ashrrev_i32_e32 v15, 31, v14
	v_ashrrev_i32_e32 v29, 31, v28
	v_add_u32_e32 v34, s74, v87
	v_add_u32_e32 v44, s75, v87
	global_load_dword v97, v[12:13], off
	global_load_dword v98, v[22:23], off
	v_lshl_add_u64 v[14:15], v[14:15], 2, v[2:3]
	v_lshl_add_u64 v[22:23], v[28:29], 2, v[2:3]
	v_ashrrev_i32_e32 v19, 31, v18
	v_ashrrev_i32_e32 v33, 31, v32
	v_add_u32_e32 v46, s76, v87
	v_add_u32_e32 v58, s77, v87
	global_load_dword v28, v[14:15], off
	global_load_dword v29, v[22:23], off
	;; [unrolled: 8-line block ×4, first 2 shown]
	v_lshl_add_u64 v[24:25], v[46:47], 2, v[2:3]
	v_lshl_add_u64 v[32:33], v[58:59], 2, v[2:3]
	v_ashrrev_i32_e32 v55, 31, v54
	v_ashrrev_i32_e32 v67, 31, v66
	v_add_u32_e32 v52, s82, v87
	v_add_u32_e32 v40, s84, v87
	;; [unrolled: 1-line block ×4, first 2 shown]
	global_load_dword v44, v[24:25], off
	global_load_dword v45, v[32:33], off
	v_lshl_add_u64 v[32:33], v[54:55], 2, v[2:3]
	v_lshl_add_u64 v[38:39], v[66:67], 2, v[2:3]
	v_ashrrev_i32_e32 v63, 31, v62
	v_ashrrev_i32_e32 v61, 31, v60
	v_add_u32_e32 v48, s83, v87
	v_add_u32_e32 v36, s85, v87
	;; [unrolled: 1-line block ×5, first 2 shown]
	global_load_dword v46, v[32:33], off
	global_load_dword v47, v[38:39], off
	v_lshl_add_u64 v[38:39], v[62:63], 2, v[2:3]
	v_lshl_add_u64 v[42:43], v[60:61], 2, v[2:3]
	v_ashrrev_i32_e32 v53, 31, v52
	v_ashrrev_i32_e32 v41, 31, v40
	;; [unrolled: 1-line block ×4, first 2 shown]
	v_add_u32_e32 v18, s91, v87
	v_add_u32_e32 v22, s92, v87
	global_load_dword v54, v[38:39], off
	global_load_dword v55, v[42:43], off
	v_ashrrev_i32_e32 v49, 31, v48
	v_lshl_add_u64 v[42:43], v[52:53], 2, v[2:3]
	v_ashrrev_i32_e32 v37, 31, v36
	v_lshl_add_u64 v[40:41], v[40:41], 2, v[2:3]
	;; [unrolled: 2-line block ×3, first 2 shown]
	v_lshl_add_u64 v[10:11], v[10:11], 2, v[2:3]
	v_ashrrev_i32_e32 v13, 31, v12
	v_ashrrev_i32_e32 v15, 31, v14
	v_add_u32_e32 v24, s93, v87
	v_add_u32_e32 v32, s94, v87
	v_lshl_add_u64 v[52:53], v[48:49], 2, v[2:3]
	global_load_dword v48, v[42:43], off
	global_load_dword v58, v[52:53], off
	v_lshl_add_u64 v[36:37], v[36:37], 2, v[2:3]
	global_load_dword v40, v[40:41], off
	s_nop 0
	global_load_dword v41, v[36:37], off
	v_lshl_add_u64 v[16:17], v[16:17], 2, v[2:3]
	global_load_dword v59, v[26:27], off
	global_load_dword v66, v[16:17], off
	;; [unrolled: 1-line block ×3, first 2 shown]
	s_nop 0
	global_load_dword v26, v[6:7], off
	v_lshl_add_u64 v[10:11], v[12:13], 2, v[2:3]
	v_lshl_add_u64 v[12:13], v[14:15], 2, v[2:3]
	v_ashrrev_i32_e32 v19, 31, v18
	v_ashrrev_i32_e32 v23, 31, v22
	v_add_u32_e32 v38, s95, v87
	v_add_u32_e32 v42, s96, v87
	global_load_dword v101, v[10:11], off
	global_load_dword v102, v[12:13], off
	s_nop 0
	global_load_dwordx2 v[10:11], v[8:9], off
	v_lshl_add_u64 v[12:13], v[18:19], 2, v[2:3]
	v_lshl_add_u64 v[14:15], v[22:23], 2, v[2:3]
	v_ashrrev_i32_e32 v25, 31, v24
	v_ashrrev_i32_e32 v33, 31, v32
	v_add_u32_e32 v36, s97, v87
	global_load_dword v103, v[12:13], off
	global_load_dword v104, v[14:15], off
	v_lshl_add_u64 v[14:15], v[24:25], 2, v[2:3]
	v_lshl_add_u64 v[18:19], v[32:33], 2, v[2:3]
	v_ashrrev_i32_e32 v39, 31, v38
	v_ashrrev_i32_e32 v43, 31, v42
	v_add_u32_e32 v16, s10, v87
	global_load_dword v105, v[14:15], off
	global_load_dword v106, v[18:19], off
	v_lshl_add_u64 v[18:19], v[38:39], 2, v[2:3]
	v_lshl_add_u64 v[22:23], v[42:43], 2, v[2:3]
	v_ashrrev_i32_e32 v37, 31, v36
	v_lshl_add_u64 v[12:13], v[8:9], 0, s[12:13]
	global_load_dword v107, v[18:19], off
	global_load_dword v108, v[22:23], off
	v_ashrrev_i32_e32 v17, 31, v16
	v_lshl_add_u64 v[22:23], v[36:37], 2, v[2:3]
	v_lshl_add_u64 v[16:17], v[16:17], 2, v[2:3]
	global_load_dword v109, v[22:23], off
	global_load_dword v110, v[16:17], off
	v_add_u32_e32 v14, s14, v87
	global_load_dwordx2 v[12:13], v[12:13], off
	v_add_u32_e32 v18, s19, v87
	v_add_u32_e32 v16, s26, v87
	;; [unrolled: 1-line block ×6, first 2 shown]
	v_ashrrev_i32_e32 v15, 31, v14
	v_ashrrev_i32_e32 v19, 31, v18
	;; [unrolled: 1-line block ×7, first 2 shown]
	s_waitcnt vmcnt(62)
	ds_write_b32 v89, v94 offset:264
	v_lshl_add_u64 v[14:15], v[14:15], 3, s[0:1]
	v_lshl_add_u64 v[18:19], v[18:19], 3, s[0:1]
	v_lshl_add_u64 v[16:17], v[16:17], 3, s[0:1]
	v_lshl_add_u64 v[22:23], v[22:23], 3, s[0:1]
	v_lshl_add_u64 v[24:25], v[24:25], 3, s[0:1]
	v_lshl_add_u64 v[32:33], v[32:33], 3, s[0:1]
	v_lshl_add_u64 v[36:37], v[36:37], 3, s[0:1]
	v_lshl_add_u64 v[6:7], v[6:7], 0, s[20:21]
	v_lshl_add_u64 v[8:9], v[8:9], 0, s[22:23]
	s_waitcnt vmcnt(12)
	ds_write_b32 v89, v26
	v_add_u32_e32 v26, s31, v87
	v_ashrrev_i32_e32 v27, 31, v26
	ds_write_b32 v89, v82 offset:528
	ds_write_b32 v89, v92 offset:792
	;; [unrolled: 1-line block ×8, first 2 shown]
	s_waitcnt vmcnt(9)
	v_cvt_f16_f32_e32 v49, v10
	v_add_u32_e32 v10, s27, v87
	v_cvt_f16_f32_e32 v52, v11
	v_ashrrev_i32_e32 v11, 31, v10
	ds_write_b32 v89, v77 offset:2640
	ds_write_b32 v89, v93 offset:2904
	;; [unrolled: 1-line block ×4, first 2 shown]
	v_lshl_add_u64 v[10:11], v[10:11], 3, s[0:1]
	v_lshl_add_u64 v[26:27], v[26:27], 3, s[0:1]
	s_waitcnt vmcnt(0)
	v_cvt_f16_f32_e32 v60, v12
	v_add_u32_e32 v12, s28, v87
	v_cvt_f16_f32_e32 v61, v13
	v_ashrrev_i32_e32 v13, 31, v12
	v_lshl_add_u64 v[12:13], v[12:13], 3, s[0:1]
	global_load_dwordx2 v[14:15], v[14:15], off
	s_nop 0
	global_load_dwordx2 v[18:19], v[18:19], off
	s_nop 0
	;; [unrolled: 2-line block ×9, first 2 shown]
	global_load_dwordx2 v[36:37], v[36:37], off
	ds_write_b32 v89, v71 offset:3696
	ds_write_b32 v89, v74 offset:3960
	s_waitcnt vmcnt(9)
	v_cvt_f16_f32_e32 v74, v14
	v_cvt_f16_f32_e32 v75, v15
	s_waitcnt vmcnt(8)
	v_cvt_f16_f32_e32 v76, v18
	s_waitcnt vmcnt(6)
	v_cvt_f16_f32_e32 v80, v10
	v_add_u32_e32 v10, s35, v87
	v_cvt_f16_f32_e32 v81, v11
	v_ashrrev_i32_e32 v11, 31, v10
	v_lshl_add_u64 v[10:11], v[10:11], 3, s[0:1]
	global_load_dwordx2 v[10:11], v[10:11], off
	v_cvt_f16_f32_e32 v77, v19
	v_cvt_f16_f32_e32 v78, v16
	;; [unrolled: 1-line block ×3, first 2 shown]
	s_waitcnt vmcnt(6)
	v_cvt_f16_f32_e32 v82, v12
	v_cvt_f16_f32_e32 v83, v13
	s_waitcnt vmcnt(5)
	v_cvt_f16_f32_e32 v91, v22
	v_cvt_f16_f32_e32 v92, v23
	;; [unrolled: 3-line block ×6, first 2 shown]
	s_waitcnt vmcnt(0)
	v_cvt_f16_f32_e32 v117, v10
	v_add_u32_e32 v10, s36, v87
	v_cvt_f16_f32_e32 v118, v11
	v_ashrrev_i32_e32 v11, 31, v10
	v_lshl_add_u64 v[10:11], v[10:11], 3, s[0:1]
	global_load_dwordx2 v[10:11], v[10:11], off
	v_add_u32_e32 v87, 64, v87
	v_cmp_le_i32_e32 vcc, s5, v87
	s_or_b64 s[16:17], vcc, s[16:17]
	s_waitcnt vmcnt(0)
	v_cvt_f16_f32_e32 v119, v10
	v_cvt_f16_f32_e32 v120, v11
	ds_read_b64 v[56:57], v90
	ds_read_b64 v[42:43], v90 offset:32
	ds_read_b64 v[38:39], v90 offset:64
	;; [unrolled: 1-line block ×7, first 2 shown]
	ds_write_b32 v89, v1
	ds_write_b32 v89, v4 offset:264
	ds_write_b32 v89, v64 offset:528
	;; [unrolled: 1-line block ×15, first 2 shown]
	v_pack_b32_f16 v1, v49, v52
	ds_read_b64 v[64:65], v90
	ds_read_b64 v[52:53], v90 offset:32
	ds_read_b64 v[50:51], v90 offset:64
	;; [unrolled: 1-line block ×7, first 2 shown]
	ds_write_b32 v89, v95
	ds_write_b32 v89, v97 offset:264
	ds_write_b32 v89, v98 offset:528
	;; [unrolled: 1-line block ×15, first 2 shown]
	v_pack_b32_f16 v4, v60, v61
	ds_read_b64 v[70:71], v90
	ds_read_b64 v[62:63], v90 offset:32
	ds_read_b64 v[60:61], v90 offset:64
	;; [unrolled: 1-line block ×7, first 2 shown]
	ds_write_b32 v89, v58
	ds_write_b32 v89, v40 offset:264
	ds_write_b32 v89, v41 offset:528
	;; [unrolled: 1-line block ×15, first 2 shown]
	ds_read_b64 v[72:73], v90
	ds_read_b64 v[68:69], v90 offset:32
	ds_read_b64 v[66:67], v90 offset:64
	;; [unrolled: 1-line block ×7, first 2 shown]
	ds_write_b32 v89, v1
	ds_write_b32 v89, v4 offset:264
	v_pack_b32_f16 v1, v74, v75
	v_pack_b32_f16 v4, v76, v77
	;; [unrolled: 1-line block ×12, first 2 shown]
	ds_write_b32 v89, v1 offset:528
	ds_write_b32 v89, v4 offset:792
	;; [unrolled: 1-line block ×14, first 2 shown]
	ds_read_b64 v[74:75], v90
	s_waitcnt lgkmcnt(0)
	v_mfma_f32_16x16x16_f16 a[12:15], v[56:57], v[74:75], a[12:15]
	ds_read_b64 v[56:57], v90 offset:32
	s_waitcnt lgkmcnt(0)
	v_mfma_f32_16x16x16_f16 a[12:15], v[42:43], v[56:57], a[12:15]
	ds_read_b64 v[42:43], v90 offset:64
	v_mfma_f32_16x16x16_f16 a[8:11], v[64:65], v[74:75], a[8:11]
	v_mfma_f32_16x16x16_f16 a[4:7], v[70:71], v[74:75], a[4:7]
	;; [unrolled: 1-line block ×3, first 2 shown]
	s_waitcnt lgkmcnt(0)
	v_mfma_f32_16x16x16_f16 a[12:15], v[38:39], v[42:43], a[12:15]
	ds_read_b64 v[38:39], v90 offset:96
	v_mfma_f32_16x16x16_f16 a[8:11], v[52:53], v[56:57], a[8:11]
	v_mfma_f32_16x16x16_f16 a[4:7], v[62:63], v[56:57], a[4:7]
	;; [unrolled: 1-line block ×6, first 2 shown]
	s_waitcnt lgkmcnt(0)
	v_mfma_f32_16x16x16_f16 a[12:15], v[26:27], v[38:39], a[12:15]
	ds_read_b64 v[26:27], v90 offset:128
	v_mfma_f32_16x16x16_f16 a[8:11], v[36:37], v[38:39], a[8:11]
	v_mfma_f32_16x16x16_f16 a[4:7], v[48:49], v[38:39], a[4:7]
	v_mfma_f32_16x16x16_f16 a[0:3], v[58:59], v[38:39], a[0:3]
	s_waitcnt lgkmcnt(0)
	v_mfma_f32_16x16x16_f16 a[12:15], v[22:23], v[26:27], a[12:15]
	ds_read_b64 v[22:23], v90 offset:160
	v_mfma_f32_16x16x16_f16 a[8:11], v[32:33], v[26:27], a[8:11]
	v_mfma_f32_16x16x16_f16 a[4:7], v[46:47], v[26:27], a[4:7]
	v_mfma_f32_16x16x16_f16 a[0:3], v[54:55], v[26:27], a[0:3]
	;; [unrolled: 6-line block ×4, first 2 shown]
	s_waitcnt lgkmcnt(0)
	v_mfma_f32_16x16x16_f16 a[12:15], v[10:11], v[12:13], a[12:15]
	v_mfma_f32_16x16x16_f16 a[8:11], v[14:15], v[12:13], a[8:11]
	;; [unrolled: 1-line block ×4, first 2 shown]
	s_andn2_b64 exec, exec, s[16:17]
	s_cbranch_execnz .LBB101_4
; %bb.5:
	s_or_b64 exec, exec, s[16:17]
.LBB101_6:
	s_or_b64 exec, exec, s[24:25]
	v_lshlrev_b32_e32 v1, 2, v86
	v_or_b32_e32 v3, 12, v85
	v_add3_u32 v1, 0, v88, v1
	v_and_b32_e32 v2, 0x3f0, v85
	v_and_b32_e32 v3, 0x3fc, v3
	v_add_u32_e32 v2, v1, v2
	v_add_u32_e32 v1, v1, v3
	s_waitcnt lgkmcnt(0)
	s_mul_hi_i32 s1, s15, s4
	s_mul_i32 s0, s15, s4
	ds_write2_b32 v2, a12, a13 offset1:1
	ds_write_b32 v2, a14 offset:8
	ds_write_b32 v1, a15
	ds_write2_b32 v2, a8, a9 offset0:16 offset1:17
	ds_write_b32 v2, a10 offset:72
	ds_write_b32 v1, a11 offset:64
	ds_write2_b32 v2, a4, a5 offset0:32 offset1:33
	ds_write_b32 v2, a6 offset:136
	ds_write_b32 v1, a7 offset:128
	;; [unrolled: 3-line block ×3, first 2 shown]
	v_mul_u32_u24_e32 v1, 0x108, v84
	s_lshl_b64 s[0:1], s[0:1], 2
	v_add3_u32 v6, 0, v0, v1
	s_add_u32 s4, s6, s0
	s_mul_i32 s0, s3, s11
	ds_read2_b32 v[0:1], v6 offset1:66
	s_addc_u32 s5, s7, s1
	s_ashr_i32 s1, s0, 31
	s_lshl_b64 s[0:1], s[0:1], 2
	s_add_u32 s0, s4, s0
	v_mul_lo_u32 v2, v84, s18
	s_addc_u32 s1, s5, s1
	v_add3_u32 v2, s2, v85, v2
	v_mov_b32_e32 v3, 0
	s_waitcnt lgkmcnt(0)
	v_add_f32_e32 v0, 0, v0
	v_lshl_add_u64 v[4:5], v[2:3], 2, s[0:1]
	global_store_dword v[4:5], v0, off
	ds_read2_b32 v[4:5], v6 offset0:132 offset1:198
	v_add_u32_e32 v2, s18, v2
	v_add_f32_e32 v7, 0, v1
	v_lshl_add_u64 v[0:1], v[2:3], 2, s[0:1]
	v_add_u32_e32 v2, s18, v2
	global_store_dword v[0:1], v7, off
	s_waitcnt lgkmcnt(0)
	v_add_f32_e32 v4, 0, v4
	v_lshl_add_u64 v[0:1], v[2:3], 2, s[0:1]
	v_add_u32_e32 v7, 0x400, v6
	global_store_dword v[0:1], v4, off
	ds_read2_b32 v[0:1], v7 offset0:8 offset1:74
	v_add_u32_e32 v2, s18, v2
	v_add_f32_e32 v8, 0, v5
	v_lshl_add_u64 v[4:5], v[2:3], 2, s[0:1]
	v_add_u32_e32 v2, s18, v2
	global_store_dword v[4:5], v8, off
	s_waitcnt lgkmcnt(0)
	v_add_f32_e32 v0, 0, v0
	v_lshl_add_u64 v[4:5], v[2:3], 2, s[0:1]
	global_store_dword v[4:5], v0, off
	ds_read2_b32 v[4:5], v7 offset0:140 offset1:206
	v_add_u32_e32 v2, s18, v2
	v_add_f32_e32 v7, 0, v1
	v_lshl_add_u64 v[0:1], v[2:3], 2, s[0:1]
	v_add_u32_e32 v2, s18, v2
	global_store_dword v[0:1], v7, off
	s_waitcnt lgkmcnt(0)
	v_add_f32_e32 v4, 0, v4
	v_lshl_add_u64 v[0:1], v[2:3], 2, s[0:1]
	v_add_u32_e32 v7, 0x800, v6
	global_store_dword v[0:1], v4, off
	ds_read2_b32 v[0:1], v7 offset0:16 offset1:82
	v_add_u32_e32 v2, s18, v2
	v_add_f32_e32 v8, 0, v5
	v_lshl_add_u64 v[4:5], v[2:3], 2, s[0:1]
	v_add_u32_e32 v2, s18, v2
	global_store_dword v[4:5], v8, off
	s_waitcnt lgkmcnt(0)
	v_add_f32_e32 v0, 0, v0
	v_lshl_add_u64 v[4:5], v[2:3], 2, s[0:1]
	global_store_dword v[4:5], v0, off
	ds_read2_b32 v[4:5], v7 offset0:148 offset1:214
	v_add_u32_e32 v2, s18, v2
	v_add_f32_e32 v7, 0, v1
	v_lshl_add_u64 v[0:1], v[2:3], 2, s[0:1]
	v_add_u32_e32 v2, s18, v2
	global_store_dword v[0:1], v7, off
	s_waitcnt lgkmcnt(0)
	v_add_f32_e32 v4, 0, v4
	v_lshl_add_u64 v[0:1], v[2:3], 2, s[0:1]
	global_store_dword v[0:1], v4, off
	v_add_u32_e32 v0, 0xc00, v6
	ds_read2_b32 v[0:1], v0 offset0:24 offset1:90
	v_add_u32_e32 v2, s18, v2
	v_add_f32_e32 v6, 0, v5
	v_lshl_add_u64 v[4:5], v[2:3], 2, s[0:1]
	v_add_u32_e32 v2, s18, v2
	global_store_dword v[4:5], v6, off
	s_waitcnt lgkmcnt(0)
	v_add_f32_e32 v0, 0, v0
	v_lshl_add_u64 v[4:5], v[2:3], 2, s[0:1]
	v_add_u32_e32 v2, s18, v2
	global_store_dword v[4:5], v0, off
	v_add_f32_e32 v4, 0, v1
	v_lshl_add_u64 v[0:1], v[2:3], 2, s[0:1]
	global_store_dword v[0:1], v4, off
	s_endpgm
	.section	.rodata,"a",@progbits
	.p2align	6, 0x0
	.amdhsa_kernel _ZL9mul_mat_fI7__half2Li64ELi14ELi1ELb0EEvPKT_PKfPKiPfiiiiiiiiiiiiiiii
		.amdhsa_group_segment_fixed_size 0
		.amdhsa_private_segment_fixed_size 0
		.amdhsa_kernarg_size 96
		.amdhsa_user_sgpr_count 2
		.amdhsa_user_sgpr_dispatch_ptr 0
		.amdhsa_user_sgpr_queue_ptr 0
		.amdhsa_user_sgpr_kernarg_segment_ptr 1
		.amdhsa_user_sgpr_dispatch_id 0
		.amdhsa_user_sgpr_kernarg_preload_length 0
		.amdhsa_user_sgpr_kernarg_preload_offset 0
		.amdhsa_user_sgpr_private_segment_size 0
		.amdhsa_uses_dynamic_stack 0
		.amdhsa_enable_private_segment 0
		.amdhsa_system_sgpr_workgroup_id_x 1
		.amdhsa_system_sgpr_workgroup_id_y 1
		.amdhsa_system_sgpr_workgroup_id_z 1
		.amdhsa_system_sgpr_workgroup_info 0
		.amdhsa_system_vgpr_workitem_id 1
		.amdhsa_next_free_vgpr 140
		.amdhsa_next_free_sgpr 98
		.amdhsa_accum_offset 124
		.amdhsa_reserve_vcc 1
		.amdhsa_float_round_mode_32 0
		.amdhsa_float_round_mode_16_64 0
		.amdhsa_float_denorm_mode_32 3
		.amdhsa_float_denorm_mode_16_64 3
		.amdhsa_dx10_clamp 1
		.amdhsa_ieee_mode 1
		.amdhsa_fp16_overflow 0
		.amdhsa_tg_split 0
		.amdhsa_exception_fp_ieee_invalid_op 0
		.amdhsa_exception_fp_denorm_src 0
		.amdhsa_exception_fp_ieee_div_zero 0
		.amdhsa_exception_fp_ieee_overflow 0
		.amdhsa_exception_fp_ieee_underflow 0
		.amdhsa_exception_fp_ieee_inexact 0
		.amdhsa_exception_int_div_zero 0
	.end_amdhsa_kernel
	.section	.text._ZL9mul_mat_fI7__half2Li64ELi14ELi1ELb0EEvPKT_PKfPKiPfiiiiiiiiiiiiiiii,"axG",@progbits,_ZL9mul_mat_fI7__half2Li64ELi14ELi1ELb0EEvPKT_PKfPKiPfiiiiiiiiiiiiiiii,comdat
.Lfunc_end101:
	.size	_ZL9mul_mat_fI7__half2Li64ELi14ELi1ELb0EEvPKT_PKfPKiPfiiiiiiiiiiiiiiii, .Lfunc_end101-_ZL9mul_mat_fI7__half2Li64ELi14ELi1ELb0EEvPKT_PKfPKiPfiiiiiiiiiiiiiiii
                                        ; -- End function
	.section	.AMDGPU.csdata,"",@progbits
; Kernel info:
; codeLenInByte = 5348
; NumSgprs: 104
; NumVgprs: 121
; NumAgprs: 16
; TotalNumVgprs: 140
; ScratchSize: 0
; MemoryBound: 0
; FloatMode: 240
; IeeeMode: 1
; LDSByteSize: 0 bytes/workgroup (compile time only)
; SGPRBlocks: 12
; VGPRBlocks: 17
; NumSGPRsForWavesPerEU: 104
; NumVGPRsForWavesPerEU: 140
; AccumOffset: 124
; Occupancy: 3
; WaveLimiterHint : 0
; COMPUTE_PGM_RSRC2:SCRATCH_EN: 0
; COMPUTE_PGM_RSRC2:USER_SGPR: 2
; COMPUTE_PGM_RSRC2:TRAP_HANDLER: 0
; COMPUTE_PGM_RSRC2:TGID_X_EN: 1
; COMPUTE_PGM_RSRC2:TGID_Y_EN: 1
; COMPUTE_PGM_RSRC2:TGID_Z_EN: 1
; COMPUTE_PGM_RSRC2:TIDIG_COMP_CNT: 1
; COMPUTE_PGM_RSRC3_GFX90A:ACCUM_OFFSET: 30
; COMPUTE_PGM_RSRC3_GFX90A:TG_SPLIT: 0
	.section	.text._ZL13mul_mat_f_idsI7__half2Li64ELi14ELi2EEvPKT_PKfPKiS7_S7_Pfiiiiiiiiiiiiii15HIP_vector_typeIjLj3EESA_,"axG",@progbits,_ZL13mul_mat_f_idsI7__half2Li64ELi14ELi2EEvPKT_PKfPKiS7_S7_Pfiiiiiiiiiiiiii15HIP_vector_typeIjLj3EESA_,comdat
	.globl	_ZL13mul_mat_f_idsI7__half2Li64ELi14ELi2EEvPKT_PKfPKiS7_S7_Pfiiiiiiiiiiiiii15HIP_vector_typeIjLj3EESA_ ; -- Begin function _ZL13mul_mat_f_idsI7__half2Li64ELi14ELi2EEvPKT_PKfPKiS7_S7_Pfiiiiiiiiiiiiii15HIP_vector_typeIjLj3EESA_
	.p2align	8
	.type	_ZL13mul_mat_f_idsI7__half2Li64ELi14ELi2EEvPKT_PKfPKiS7_S7_Pfiiiiiiiiiiiiii15HIP_vector_typeIjLj3EESA_,@function
_ZL13mul_mat_f_idsI7__half2Li64ELi14ELi2EEvPKT_PKfPKiS7_S7_Pfiiiiiiiiiiiiii15HIP_vector_typeIjLj3EESA_: ; @_ZL13mul_mat_f_idsI7__half2Li64ELi14ELi2EEvPKT_PKfPKiS7_S7_Pfiiiiiiiiiiiiii15HIP_vector_typeIjLj3EESA_
; %bb.0:
	s_load_dwordx2 s[6:7], s[0:1], 0x20
	s_mov_b32 s34, s3
	s_ashr_i32 s35, s3, 31
	s_lshl_b64 s[8:9], s[34:35], 2
	s_waitcnt lgkmcnt(0)
	s_add_u32 s6, s6, s8
	s_addc_u32 s7, s7, s9
	s_load_dwordx2 s[26:27], s[6:7], 0x0
	s_waitcnt lgkmcnt(0)
	s_sub_i32 s33, s27, s26
	s_add_i32 s3, s33, 13
	s_mul_hi_i32 s5, s3, 0x92492493
	s_add_i32 s5, s5, s3
	s_lshr_b32 s3, s5, 31
	s_ashr_i32 s5, s5, 3
	s_add_i32 s5, s5, s3
	s_cmp_ge_i32 s4, s5
	s_cbranch_scc1 .LBB102_70
; %bb.1:
	v_bfe_u32 v2, v0, 10, 10
	v_lshlrev_b32_e32 v98, 6, v2
	v_and_b32_e32 v3, 0x3ff, v0
	s_load_dwordx4 s[12:15], s[0:1], 0x30
	s_load_dwordx2 s[20:21], s[0:1], 0x40
	s_load_dwordx4 s[8:11], s[0:1], 0x4c
	s_load_dwordx4 s[16:19], s[0:1], 0x68
	s_load_dwordx2 s[24:25], s[0:1], 0x78
	v_add_u32_e32 v100, v98, v3
	s_ashr_i32 s27, s26, 31
	s_waitcnt lgkmcnt(0)
	v_cmp_le_i32_e32 vcc, s12, v100
	v_and_b32_e32 v99, 15, v3
                                        ; implicit-def: $sgpr3
	s_and_saveexec_b64 s[6:7], vcc
	s_xor_b64 s[6:7], exec, s[6:7]
; %bb.2:
	v_and_b32_e32 v99, 15, v3
	s_mov_b32 s3, 0
                                        ; implicit-def: $vgpr100
; %bb.3:
	s_or_saveexec_b64 s[28:29], s[6:7]
	s_load_dwordx2 s[22:23], s[0:1], 0x18
	s_load_dwordx2 s[6:7], s[0:1], 0x28
                                        ; implicit-def: $vgpr103 : SGPR spill to VGPR lane
	s_lshl_b32 s11, s2, 6
	s_mul_i32 s2, s4, 14
	v_accvgpr_write_b32 a0, s3
	v_accvgpr_write_b32 a1, s3
	s_waitcnt lgkmcnt(0)
	v_writelane_b32 v103, s6, 0
	v_accvgpr_write_b32 a2, s3
	v_accvgpr_write_b32 a3, s3
	;; [unrolled: 1-line block ×14, first 2 shown]
	v_writelane_b32 v103, s7, 1
	s_xor_b64 exec, exec, s[28:29]
	s_cbranch_execz .LBB102_49
; %bb.4:
	v_writelane_b32 v103, s28, 2
	s_movk_i32 s3, 0x1080
	v_mad_u32_u24 v0, v2, s3, 0
	v_writelane_b32 v103, s29, 3
	v_writelane_b32 v103, s22, 4
	v_lshrrev_b32_e32 v6, 1, v3
	v_lshlrev_b32_e32 v4, 2, v3
	v_writelane_b32 v103, s23, 5
	v_writelane_b32 v103, s24, 6
	s_load_dwordx4 s[4:7], s[0:1], 0x0
	s_load_dwordx2 s[22:23], s[0:1], 0x10
	v_writelane_b32 v103, s25, 7
	s_mul_i32 s0, s34, s8
	s_mul_i32 s24, s11, s15
	s_ashr_i32 s1, s0, 31
	s_ashr_i32 s25, s24, 31
	s_lshl_b64 s[24:25], s[24:25], 2
	s_lshl_b64 s[0:1], s[0:1], 2
	s_add_u32 s24, s0, s24
	v_writelane_b32 v103, s11, 8
	s_addc_u32 s25, s1, s25
	s_waitcnt lgkmcnt(0)
	s_add_u32 s0, s24, s4
	v_writelane_b32 v103, s26, 9
	s_addc_u32 s1, s25, s5
	v_mul_u32_u24_e32 v5, 0x108, v99
	v_writelane_b32 v103, s27, 10
	s_lshl_b64 s[26:27], s[26:27], 2
	s_add_u32 s8, s22, s26
	s_addc_u32 s11, s23, s27
	s_cmp_lt_i32 s2, s33
	s_cselect_b64 s[34:35], -1, 0
	s_ashr_i32 s3, s2, 31
	s_lshl_b64 s[22:23], s[2:3], 2
	s_add_u32 s36, s8, s22
	s_addc_u32 s37, s11, s23
	s_or_b32 s3, s2, 1
	s_cmp_lt_i32 s3, s33
	s_cselect_b64 s[38:39], -1, 0
	s_add_i32 s3, s2, 2
	s_cmp_lt_i32 s3, s33
	s_cselect_b64 s[40:41], -1, 0
	s_add_i32 s3, s2, 3
	s_cmp_lt_i32 s3, s33
	v_and_b32_e32 v6, 0x1f8, v6
	s_cselect_b64 s[42:43], -1, 0
	s_add_i32 s3, s2, 4
	v_mov_b32_e32 v1, 0
	v_add_u32_e32 v101, v0, v4
	v_add3_u32 v102, v0, v5, v6
	s_cmp_lt_i32 s3, s33
	v_lshlrev_b32_e32 v0, 8, v2
	s_cselect_b64 s[44:45], -1, 0
	s_add_i32 s3, s2, 5
	v_lshl_add_u64 v[6:7], s[24:25], 0, v[0:1]
	v_mov_b32_e32 v5, v1
	s_cmp_lt_i32 s3, s33
	v_lshl_add_u64 v[4:5], v[6:7], 0, v[4:5]
	s_cselect_b64 s[46:47], -1, 0
	s_add_i32 s3, s2, 6
	v_lshl_add_u64 v[4:5], s[4:5], 0, v[4:5]
	s_mul_i32 s4, s15, 3
	s_cmp_lt_i32 s3, s33
	v_writelane_b32 v103, s4, 11
	s_mul_i32 s4, s15, 5
	s_cselect_b64 s[48:49], -1, 0
	s_add_i32 s3, s2, 7
	v_writelane_b32 v103, s4, 12
	s_mul_i32 s4, s15, 6
	s_cmp_lt_i32 s3, s33
	v_writelane_b32 v103, s4, 13
	s_mul_i32 s4, s15, 7
	s_cselect_b64 s[50:51], -1, 0
	s_add_i32 s3, s2, 8
	v_writelane_b32 v103, s4, 14
	;; [unrolled: 7-line block ×7, first 2 shown]
	s_mul_i32 s4, s15, 20
	s_cmp_lt_i32 s3, s33
	v_writelane_b32 v103, s4, 25
	s_mul_i32 s4, s15, 21
	s_cselect_b64 s[62:63], -1, 0
	s_ashr_i32 s23, s15, 31
	s_mov_b32 s22, s15
	v_writelane_b32 v103, s4, 26
	s_mul_i32 s4, s15, 22
	s_lshl_b64 s[64:65], s[22:23], 2
	s_lshl_b32 s3, s15, 1
	s_lshl_b32 s68, s15, 2
	;; [unrolled: 1-line block ×4, first 2 shown]
	v_writelane_b32 v103, s4, 27
	s_mul_i32 s87, s15, 23
	s_mul_i32 s88, s15, 24
	;; [unrolled: 1-line block ×5, first 2 shown]
	v_accvgpr_write_b32 a15, 0
	v_accvgpr_write_b32 a14, 0
	;; [unrolled: 1-line block ×16, first 2 shown]
	s_mul_i32 s92, s15, 28
	s_mul_i32 s93, s15, 29
	;; [unrolled: 1-line block ×4, first 2 shown]
	s_lshl_b32 s96, s15, 5
	s_mul_i32 s97, s15, 33
	s_mul_i32 s98, s15, 34
	;; [unrolled: 1-line block ×31, first 2 shown]
	s_mov_b64 s[4:5], 0
	s_mov_b64 s[66:67], 0x200
	s_branch .LBB102_6
.LBB102_5:                              ;   in Loop: Header=BB102_6 Depth=1
	s_waitcnt vmcnt(0)
	v_cvt_f16_f32_e32 v0, v70
	v_cvt_f16_f32_e32 v70, v71
	;; [unrolled: 1-line block ×6, first 2 shown]
	v_pack_b32_f16 v0, v0, v70
	v_pack_b32_f16 v70, v71, v74
	ds_write2_b32 v101, v0, v70 offset1:66
	v_cvt_f16_f32_e32 v70, v78
	v_cvt_f16_f32_e32 v71, v79
	v_pack_b32_f16 v0, v72, v73
	v_cvt_f16_f32_e32 v72, v76
	v_cvt_f16_f32_e32 v73, v77
	;; [unrolled: 1-line block ×4, first 2 shown]
	v_pack_b32_f16 v70, v70, v71
	ds_write2_b32 v101, v0, v70 offset0:132 offset1:198
	v_pack_b32_f16 v0, v72, v73
	v_cvt_f16_f32_e32 v71, v80
	v_cvt_f16_f32_e32 v72, v81
	v_pack_b32_f16 v70, v74, v75
	v_cvt_f16_f32_e32 v73, v86
	v_cvt_f16_f32_e32 v74, v87
	v_add_u32_e32 v75, 0x400, v101
	ds_write2_b32 v75, v0, v70 offset0:8 offset1:74
	v_pack_b32_f16 v0, v71, v72
	v_cvt_f16_f32_e32 v71, v84
	v_cvt_f16_f32_e32 v72, v85
	v_pack_b32_f16 v70, v73, v74
	ds_write2_b32 v75, v0, v70 offset0:140 offset1:206
	v_cvt_f16_f32_e32 v0, v90
	v_cvt_f16_f32_e32 v70, v91
	v_pack_b32_f16 v71, v71, v72
	v_cvt_f16_f32_e32 v72, v88
	v_cvt_f16_f32_e32 v73, v89
	v_pack_b32_f16 v0, v0, v70
	v_add_u32_e32 v70, 0x800, v101
	ds_write2_b32 v70, v71, v0 offset0:16 offset1:82
	v_pack_b32_f16 v0, v72, v73
	v_cvt_f16_f32_e32 v71, v94
	v_cvt_f16_f32_e32 v72, v95
	;; [unrolled: 1-line block ×6, first 2 shown]
	v_pack_b32_f16 v71, v71, v72
	ds_write2_b32 v70, v0, v71 offset0:148 offset1:214
	v_pack_b32_f16 v0, v73, v74
	v_pack_b32_f16 v70, v75, v76
	v_add_u32_e32 v71, 0xc00, v101
	ds_write2_b32 v71, v0, v70 offset0:24 offset1:90
	ds_write2_b32 v71, v1, v1 offset0:156 offset1:222
	ds_read2_b64 v[70:73], v102 offset1:4
	s_waitcnt lgkmcnt(0)
	v_mfma_f32_16x16x16_f16 a[0:3], v[12:13], v[70:71], a[0:3]
	v_add_u32_e32 v100, 0x80, v100
	v_cmp_le_i32_e32 vcc, s12, v100
	v_lshl_add_u64 v[4:5], v[4:5], 0, s[66:67]
	v_mfma_f32_16x16x16_f16 a[4:7], v[38:39], v[70:71], a[4:7]
	s_or_b64 s[4:5], vcc, s[4:5]
	v_mfma_f32_16x16x16_f16 a[8:11], v[52:53], v[70:71], a[8:11]
	v_mfma_f32_16x16x16_f16 a[12:15], v[68:69], v[70:71], a[12:15]
	;; [unrolled: 1-line block ×3, first 2 shown]
	ds_read2_b64 v[10:13], v102 offset0:8 offset1:12
	v_mfma_f32_16x16x16_f16 a[4:7], v[34:35], v[72:73], a[4:7]
	v_mfma_f32_16x16x16_f16 a[8:11], v[50:51], v[72:73], a[8:11]
	;; [unrolled: 1-line block ×3, first 2 shown]
	s_waitcnt lgkmcnt(0)
	v_mfma_f32_16x16x16_f16 a[0:3], v[8:9], v[10:11], a[0:3]
	v_mfma_f32_16x16x16_f16 a[4:7], v[32:33], v[10:11], a[4:7]
	;; [unrolled: 1-line block ×5, first 2 shown]
	ds_read2_b64 v[6:9], v102 offset0:16 offset1:20
	v_mfma_f32_16x16x16_f16 a[4:7], v[30:31], v[12:13], a[4:7]
	v_mfma_f32_16x16x16_f16 a[8:11], v[46:47], v[12:13], a[8:11]
	;; [unrolled: 1-line block ×3, first 2 shown]
	s_waitcnt lgkmcnt(0)
	v_mfma_f32_16x16x16_f16 a[0:3], v[20:21], v[6:7], a[0:3]
	v_mfma_f32_16x16x16_f16 a[4:7], v[28:29], v[6:7], a[4:7]
	;; [unrolled: 1-line block ×8, first 2 shown]
	ds_read2_b64 v[6:9], v102 offset0:24 offset1:28
	s_waitcnt lgkmcnt(0)
	v_mfma_f32_16x16x16_f16 a[0:3], v[16:17], v[6:7], a[0:3]
	v_mfma_f32_16x16x16_f16 a[4:7], v[24:25], v[6:7], a[4:7]
	;; [unrolled: 1-line block ×8, first 2 shown]
	s_andn2_b64 exec, exec, s[4:5]
	s_cbranch_execz .LBB102_48
.LBB102_6:                              ; =>This Inner Loop Header: Depth=1
	v_readlane_b32 s86, v103, 11
	v_lshl_add_u64 v[6:7], v[4:5], 0, s[64:65]
	global_load_dword v0, v[4:5], off
	global_load_dword v22, v[6:7], off
	v_add_u32_e32 v8, s86, v100
	v_readlane_b32 s86, v103, 12
	v_add_u32_e32 v6, s3, v100
	v_add_u32_e32 v18, s72, v100
	;; [unrolled: 1-line block ×3, first 2 shown]
	v_readlane_b32 s86, v103, 13
	v_ashrrev_i32_e32 v7, 31, v6
	v_add_u32_e32 v10, s68, v100
	v_add_u32_e32 v14, s86, v100
	v_readlane_b32 s86, v103, 14
	v_ashrrev_i32_e32 v19, 31, v18
	v_lshl_add_u64 v[6:7], v[6:7], 2, s[0:1]
	v_add_u32_e32 v16, s86, v100
	v_readlane_b32 s86, v103, 15
	v_ashrrev_i32_e32 v9, 31, v8
	v_ashrrev_i32_e32 v11, 31, v10
	v_add_u32_e32 v20, s86, v100
	v_ashrrev_i32_e32 v13, 31, v12
	v_ashrrev_i32_e32 v15, 31, v14
	;; [unrolled: 1-line block ×3, first 2 shown]
	v_lshl_add_u64 v[18:19], v[18:19], 2, s[0:1]
	v_ashrrev_i32_e32 v21, 31, v20
	v_readlane_b32 s86, v103, 16
	v_lshl_add_u64 v[8:9], v[8:9], 2, s[0:1]
	v_lshl_add_u64 v[10:11], v[10:11], 2, s[0:1]
	;; [unrolled: 1-line block ×6, first 2 shown]
	global_load_dword v23, v[6:7], off
	global_load_dword v24, v[8:9], off
	global_load_dword v25, v[10:11], off
	global_load_dword v26, v[12:13], off
	global_load_dword v27, v[14:15], off
	global_load_dword v28, v[16:17], off
	s_nop 0
	global_load_dword v18, v[18:19], off
	s_nop 0
	global_load_dword v19, v[20:21], off
	v_add_u32_e32 v6, s86, v100
	v_readlane_b32 s86, v103, 17
	v_ashrrev_i32_e32 v7, 31, v6
	v_lshl_add_u64 v[6:7], v[6:7], 2, s[0:1]
	v_add_u32_e32 v8, s86, v100
	v_readlane_b32 s86, v103, 18
	v_ashrrev_i32_e32 v9, 31, v8
	v_lshl_add_u64 v[8:9], v[8:9], 2, s[0:1]
	;; [unrolled: 4-line block ×5, first 2 shown]
	v_add_u32_e32 v16, s86, v100
	v_ashrrev_i32_e32 v17, 31, v16
	v_lshl_add_u64 v[16:17], v[16:17], 2, s[0:1]
	global_load_dword v20, v[6:7], off
	global_load_dword v21, v[8:9], off
	s_nop 0
	global_load_dword v10, v[10:11], off
	s_nop 0
	;; [unrolled: 2-line block ×3, first 2 shown]
	global_load_dword v12, v[14:15], off
	global_load_dword v13, v[16:17], off
	v_readlane_b32 s86, v103, 22
	v_add_u32_e32 v6, s80, v100
	v_ashrrev_i32_e32 v7, 31, v6
	v_add_u32_e32 v8, s86, v100
	v_readlane_b32 s86, v103, 23
	v_ashrrev_i32_e32 v9, 31, v8
	v_lshl_add_u64 v[6:7], v[6:7], 2, s[0:1]
	v_add_u32_e32 v14, s86, v100
	v_readlane_b32 s86, v103, 24
	v_lshl_add_u64 v[8:9], v[8:9], 2, s[0:1]
	global_load_dword v30, v[6:7], off
	global_load_dword v31, v[8:9], off
	v_add_u32_e32 v16, s86, v100
	v_readlane_b32 s86, v103, 25
	v_ashrrev_i32_e32 v15, 31, v14
	v_lshl_add_u64 v[14:15], v[14:15], 2, s[0:1]
	v_ashrrev_i32_e32 v17, 31, v16
	v_lshl_add_u64 v[16:17], v[16:17], 2, s[0:1]
	s_andn2_b64 vcc, exec, s[34:35]
	s_waitcnt vmcnt(17)
	ds_write_b32 v101, v0
	s_waitcnt vmcnt(16)
	ds_write_b32 v101, v22 offset:264
	s_waitcnt vmcnt(15)
	ds_write_b32 v101, v23 offset:528
	;; [unrolled: 2-line block ×15, first 2 shown]
	v_add_u32_e32 v18, s86, v100
	v_readlane_b32 s86, v103, 26
	v_add_u32_e32 v24, s87, v100
	v_add_u32_e32 v26, s88, v100
	;; [unrolled: 1-line block ×3, first 2 shown]
	v_readlane_b32 s86, v103, 27
	v_add_u32_e32 v28, s89, v100
	v_ashrrev_i32_e32 v19, 31, v18
	v_add_u32_e32 v22, s86, v100
	v_ashrrev_i32_e32 v21, 31, v20
	v_ashrrev_i32_e32 v23, 31, v22
	;; [unrolled: 1-line block ×5, first 2 shown]
	ds_read_b64 v[12:13], v102
	ds_read_b64 v[10:11], v102 offset:32
	ds_read_b64 v[8:9], v102 offset:64
	;; [unrolled: 1-line block ×3, first 2 shown]
	v_lshl_add_u64 v[18:19], v[18:19], 2, s[0:1]
	v_lshl_add_u64 v[20:21], v[20:21], 2, s[0:1]
	v_lshl_add_u64 v[22:23], v[22:23], 2, s[0:1]
	v_lshl_add_u64 v[24:25], v[24:25], 2, s[0:1]
	v_lshl_add_u64 v[26:27], v[26:27], 2, s[0:1]
	v_lshl_add_u64 v[28:29], v[28:29], 2, s[0:1]
	global_load_dword v0, v[14:15], off
	global_load_dword v32, v[16:17], off
	global_load_dword v33, v[18:19], off
	global_load_dword v34, v[20:21], off
	global_load_dword v35, v[22:23], off
	global_load_dword v36, v[24:25], off
	global_load_dword v37, v[26:27], off
	global_load_dword v38, v[28:29], off
	v_add_u32_e32 v14, s90, v100
	v_ashrrev_i32_e32 v15, 31, v14
	v_add_u32_e32 v16, s91, v100
	v_add_u32_e32 v18, s92, v100
	v_add_u32_e32 v20, s93, v100
	v_add_u32_e32 v22, s94, v100
	v_add_u32_e32 v24, s95, v100
	v_add_u32_e32 v26, s96, v100
	v_add_u32_e32 v28, s97, v100
	v_lshl_add_u64 v[14:15], v[14:15], 2, s[0:1]
	v_ashrrev_i32_e32 v17, 31, v16
	v_ashrrev_i32_e32 v19, 31, v18
	v_ashrrev_i32_e32 v21, 31, v20
	v_ashrrev_i32_e32 v23, 31, v22
	v_ashrrev_i32_e32 v25, 31, v24
	v_ashrrev_i32_e32 v27, 31, v26
	v_ashrrev_i32_e32 v29, 31, v28
	v_lshl_add_u64 v[16:17], v[16:17], 2, s[0:1]
	v_lshl_add_u64 v[18:19], v[18:19], 2, s[0:1]
	v_lshl_add_u64 v[20:21], v[20:21], 2, s[0:1]
	v_lshl_add_u64 v[22:23], v[22:23], 2, s[0:1]
	v_lshl_add_u64 v[24:25], v[24:25], 2, s[0:1]
	v_lshl_add_u64 v[26:27], v[26:27], 2, s[0:1]
	v_lshl_add_u64 v[28:29], v[28:29], 2, s[0:1]
	global_load_dword v39, v[14:15], off
	global_load_dword v40, v[16:17], off
	global_load_dword v41, v[18:19], off
	global_load_dword v42, v[20:21], off
	global_load_dword v43, v[22:23], off
	global_load_dword v44, v[24:25], off
	global_load_dword v45, v[26:27], off
	global_load_dword v46, v[28:29], off
	v_add_u32_e32 v14, s98, v100
	v_ashrrev_i32_e32 v15, 31, v14
	v_add_u32_e32 v16, s99, v100
	v_add_u32_e32 v18, s24, v100
	v_add_u32_e32 v20, s25, v100
	v_add_u32_e32 v22, s28, v100
	v_add_u32_e32 v24, s29, v100
	v_add_u32_e32 v26, s11, v100
	v_add_u32_e32 v28, s22, v100
	v_lshl_add_u64 v[14:15], v[14:15], 2, s[0:1]
	v_ashrrev_i32_e32 v17, 31, v16
	v_ashrrev_i32_e32 v19, 31, v18
	v_ashrrev_i32_e32 v21, 31, v20
	v_ashrrev_i32_e32 v23, 31, v22
	v_ashrrev_i32_e32 v25, 31, v24
	v_ashrrev_i32_e32 v27, 31, v26
	v_ashrrev_i32_e32 v29, 31, v28
	v_lshl_add_u64 v[16:17], v[16:17], 2, s[0:1]
	v_lshl_add_u64 v[18:19], v[18:19], 2, s[0:1]
	v_lshl_add_u64 v[20:21], v[20:21], 2, s[0:1]
	v_lshl_add_u64 v[22:23], v[22:23], 2, s[0:1]
	v_lshl_add_u64 v[24:25], v[24:25], 2, s[0:1]
	v_lshl_add_u64 v[26:27], v[26:27], 2, s[0:1]
	v_lshl_add_u64 v[28:29], v[28:29], 2, s[0:1]
	global_load_dword v47, v[14:15], off
	global_load_dword v48, v[16:17], off
	global_load_dword v49, v[18:19], off
	global_load_dword v50, v[20:21], off
	global_load_dword v51, v[22:23], off
	global_load_dword v52, v[24:25], off
	global_load_dword v53, v[26:27], off
	global_load_dword v54, v[28:29], off
	v_add_u32_e32 v14, s23, v100
	v_ashrrev_i32_e32 v15, 31, v14
	v_add_u32_e32 v16, s30, v100
	v_add_u32_e32 v18, s31, v100
	v_add_u32_e32 v20, s26, v100
	v_add_u32_e32 v22, s27, v100
	v_add_u32_e32 v24, s8, v100
	v_add_u32_e32 v26, s69, v100
	v_add_u32_e32 v28, s70, v100
	v_lshl_add_u64 v[14:15], v[14:15], 2, s[0:1]
	v_ashrrev_i32_e32 v17, 31, v16
	v_ashrrev_i32_e32 v19, 31, v18
	v_ashrrev_i32_e32 v21, 31, v20
	v_ashrrev_i32_e32 v23, 31, v22
	v_ashrrev_i32_e32 v25, 31, v24
	v_ashrrev_i32_e32 v27, 31, v26
	v_ashrrev_i32_e32 v29, 31, v28
	v_lshl_add_u64 v[16:17], v[16:17], 2, s[0:1]
	v_lshl_add_u64 v[18:19], v[18:19], 2, s[0:1]
	v_lshl_add_u64 v[20:21], v[20:21], 2, s[0:1]
	v_lshl_add_u64 v[22:23], v[22:23], 2, s[0:1]
	v_lshl_add_u64 v[24:25], v[24:25], 2, s[0:1]
	v_lshl_add_u64 v[26:27], v[26:27], 2, s[0:1]
	v_lshl_add_u64 v[28:29], v[28:29], 2, s[0:1]
	global_load_dword v55, v[14:15], off
	global_load_dword v56, v[16:17], off
	global_load_dword v57, v[18:19], off
	global_load_dword v58, v[20:21], off
	global_load_dword v59, v[22:23], off
	global_load_dword v60, v[24:25], off
	global_load_dword v61, v[26:27], off
	global_load_dword v62, v[28:29], off
	v_add_u32_e32 v14, s71, v100
	v_ashrrev_i32_e32 v15, 31, v14
	v_add_u32_e32 v16, s73, v100
	v_add_u32_e32 v18, s74, v100
	v_add_u32_e32 v20, s75, v100
	v_add_u32_e32 v22, s76, v100
	v_add_u32_e32 v24, s77, v100
	v_add_u32_e32 v26, s78, v100
	v_add_u32_e32 v28, s79, v100
	v_lshl_add_u64 v[14:15], v[14:15], 2, s[0:1]
	v_ashrrev_i32_e32 v17, 31, v16
	v_ashrrev_i32_e32 v19, 31, v18
	v_ashrrev_i32_e32 v21, 31, v20
	v_ashrrev_i32_e32 v23, 31, v22
	v_ashrrev_i32_e32 v25, 31, v24
	v_ashrrev_i32_e32 v27, 31, v26
	v_ashrrev_i32_e32 v29, 31, v28
	v_lshl_add_u64 v[16:17], v[16:17], 2, s[0:1]
	v_lshl_add_u64 v[18:19], v[18:19], 2, s[0:1]
	v_lshl_add_u64 v[20:21], v[20:21], 2, s[0:1]
	v_lshl_add_u64 v[22:23], v[22:23], 2, s[0:1]
	v_lshl_add_u64 v[24:25], v[24:25], 2, s[0:1]
	v_lshl_add_u64 v[26:27], v[26:27], 2, s[0:1]
	v_lshl_add_u64 v[28:29], v[28:29], 2, s[0:1]
	global_load_dword v63, v[14:15], off
	global_load_dword v64, v[16:17], off
	global_load_dword v65, v[18:19], off
	global_load_dword v66, v[20:21], off
	global_load_dword v67, v[22:23], off
	global_load_dword v68, v[24:25], off
	global_load_dword v69, v[26:27], off
	global_load_dword v70, v[28:29], off
	v_add_u32_e32 v14, s81, v100
	v_ashrrev_i32_e32 v15, 31, v14
	v_add_u32_e32 v16, s82, v100
	v_add_u32_e32 v18, s83, v100
	;; [unrolled: 1-line block ×5, first 2 shown]
	v_lshl_add_u64 v[14:15], v[14:15], 2, s[0:1]
	v_ashrrev_i32_e32 v17, 31, v16
	v_ashrrev_i32_e32 v19, 31, v18
	;; [unrolled: 1-line block ×5, first 2 shown]
	v_lshl_add_u64 v[16:17], v[16:17], 2, s[0:1]
	v_lshl_add_u64 v[18:19], v[18:19], 2, s[0:1]
	;; [unrolled: 1-line block ×5, first 2 shown]
	global_load_dword v71, v[14:15], off
	global_load_dword v72, v[16:17], off
	;; [unrolled: 1-line block ×6, first 2 shown]
	ds_read_b64 v[20:21], v102 offset:128
	ds_read_b64 v[18:19], v102 offset:160
	ds_read_b64 v[16:17], v102 offset:192
	ds_read_b64 v[14:15], v102 offset:224
	s_waitcnt vmcnt(47)
	ds_write_b32 v101, v30
	s_waitcnt vmcnt(46)
	ds_write_b32 v101, v31 offset:264
	s_waitcnt vmcnt(45)
	ds_write_b32 v101, v0 offset:528
	s_waitcnt vmcnt(44)
	ds_write_b32 v101, v32 offset:792
	s_waitcnt vmcnt(43)
	ds_write_b32 v101, v33 offset:1056
	s_waitcnt vmcnt(42)
	ds_write_b32 v101, v34 offset:1320
	s_waitcnt vmcnt(41)
	ds_write_b32 v101, v35 offset:1584
	s_waitcnt vmcnt(40)
	ds_write_b32 v101, v36 offset:1848
	s_waitcnt vmcnt(39)
	ds_write_b32 v101, v37 offset:2112
	s_waitcnt vmcnt(38)
	ds_write_b32 v101, v38 offset:2376
	s_waitcnt vmcnt(37)
	ds_write_b32 v101, v39 offset:2640
	s_waitcnt vmcnt(36)
	ds_write_b32 v101, v40 offset:2904
	s_waitcnt vmcnt(35)
	ds_write_b32 v101, v41 offset:3168
	s_waitcnt vmcnt(34)
	ds_write_b32 v101, v42 offset:3432
	s_waitcnt vmcnt(33)
	ds_write_b32 v101, v43 offset:3696
	s_waitcnt vmcnt(32)
	ds_write_b32 v101, v44 offset:3960
	ds_read_b64 v[38:39], v102
	ds_read_b64 v[34:35], v102 offset:32
	ds_read_b64 v[32:33], v102 offset:64
	ds_read_b64 v[30:31], v102 offset:96
	ds_read_b64 v[28:29], v102 offset:128
	ds_read_b64 v[26:27], v102 offset:160
	ds_read_b64 v[24:25], v102 offset:192
	ds_read_b64 v[22:23], v102 offset:224
	s_waitcnt vmcnt(31)
	ds_write_b32 v101, v45
	s_waitcnt vmcnt(30)
	ds_write_b32 v101, v46 offset:264
	s_waitcnt vmcnt(29)
	ds_write_b32 v101, v47 offset:528
	s_waitcnt vmcnt(28)
	ds_write_b32 v101, v48 offset:792
	s_waitcnt vmcnt(27)
	ds_write_b32 v101, v49 offset:1056
	s_waitcnt vmcnt(26)
	ds_write_b32 v101, v50 offset:1320
	s_waitcnt vmcnt(25)
	ds_write_b32 v101, v51 offset:1584
	s_waitcnt vmcnt(24)
	ds_write_b32 v101, v52 offset:1848
	s_waitcnt vmcnt(23)
	ds_write_b32 v101, v53 offset:2112
	s_waitcnt vmcnt(22)
	ds_write_b32 v101, v54 offset:2376
	s_waitcnt vmcnt(21)
	ds_write_b32 v101, v55 offset:2640
	s_waitcnt vmcnt(20)
	ds_write_b32 v101, v56 offset:2904
	s_waitcnt vmcnt(19)
	ds_write_b32 v101, v57 offset:3168
	s_waitcnt vmcnt(18)
	ds_write_b32 v101, v58 offset:3432
	s_waitcnt vmcnt(17)
	ds_write_b32 v101, v59 offset:3696
	s_waitcnt vmcnt(16)
	ds_write_b32 v101, v60 offset:3960
	ds_read_b64 v[52:53], v102
	ds_read_b64 v[50:51], v102 offset:32
	ds_read_b64 v[48:49], v102 offset:64
	ds_read_b64 v[46:47], v102 offset:96
	;; [unrolled: 40-line block ×3, first 2 shown]
	ds_read_b64 v[64:65], v102 offset:128
	ds_read_b64 v[60:61], v102 offset:160
	;; [unrolled: 1-line block ×4, first 2 shown]
	v_mov_b32_e32 v70, 0
	v_mov_b32_e32 v71, 0
	s_cbranch_vccnz .LBB102_9
; %bb.7:                                ;   in Loop: Header=BB102_6 Depth=1
	s_load_dword vcc_lo, s[36:37], 0x0
	v_mov_b32_e32 v71, 0
	v_mov_b32_e32 v70, 0
	s_waitcnt lgkmcnt(0)
	s_mul_hi_u32 vcc_hi, vcc_lo, s16
	s_add_i32 vcc_hi, vcc_lo, vcc_hi
	s_lshr_b32 s86, vcc_hi, s17
	s_cmp_ge_i32 s86, s13
	s_cbranch_scc1 .LBB102_9
; %bb.8:                                ;   in Loop: Header=BB102_6 Depth=1
	s_mul_i32 vcc_hi, s86, s18
	s_sub_i32 vcc_lo, vcc_lo, vcc_hi
	s_mul_i32 s86, s86, s20
	s_mul_i32 vcc_lo, vcc_lo, s9
	v_add_u32_e32 v0, s86, v100
	v_lshl_add_u32 v70, v0, 1, vcc_lo
	v_ashrrev_i32_e32 v71, 31, v70
	v_lshl_add_u64 v[70:71], v[70:71], 2, s[6:7]
	global_load_dwordx2 v[70:71], v[70:71], off
.LBB102_9:                              ;   in Loop: Header=BB102_6 Depth=1
	s_andn2_b64 vcc, exec, s[38:39]
	v_mov_b32_e32 v72, 0
	v_mov_b32_e32 v74, 0
	v_mov_b32_e32 v75, 0
	s_cbranch_vccnz .LBB102_12
; %bb.10:                               ;   in Loop: Header=BB102_6 Depth=1
	s_load_dword vcc_lo, s[36:37], 0x4
	v_mov_b32_e32 v75, 0
	v_mov_b32_e32 v74, 0
	s_waitcnt lgkmcnt(0)
	s_mul_hi_u32 s86, vcc_lo, s16
	s_add_i32 s86, vcc_lo, s86
	s_lshr_b32 vcc_hi, s86, s17
	s_cmp_ge_i32 vcc_hi, s13
	s_cbranch_scc1 .LBB102_12
; %bb.11:                               ;   in Loop: Header=BB102_6 Depth=1
	s_mul_i32 s86, vcc_hi, s18
	s_sub_i32 s86, vcc_lo, s86
	s_mul_i32 vcc_hi, vcc_hi, s20
	s_mul_i32 s86, s86, s9
	v_add_u32_e32 v0, vcc_hi, v100
	v_lshl_add_u32 v74, v0, 1, s86
	v_ashrrev_i32_e32 v75, 31, v74
	v_lshl_add_u64 v[74:75], v[74:75], 2, s[6:7]
	global_load_dwordx2 v[74:75], v[74:75], off
.LBB102_12:                             ;   in Loop: Header=BB102_6 Depth=1
	s_andn2_b64 vcc, exec, s[40:41]
	v_mov_b32_e32 v73, 0
	s_cbranch_vccnz .LBB102_15
; %bb.13:                               ;   in Loop: Header=BB102_6 Depth=1
	s_load_dword vcc_lo, s[36:37], 0x8
	v_mov_b32_e32 v73, 0
	v_mov_b32_e32 v72, 0
	s_waitcnt lgkmcnt(0)
	s_mul_hi_u32 s86, vcc_lo, s16
	s_add_i32 s86, vcc_lo, s86
	s_lshr_b32 vcc_hi, s86, s17
	s_cmp_ge_i32 vcc_hi, s13
	s_cbranch_scc1 .LBB102_15
; %bb.14:                               ;   in Loop: Header=BB102_6 Depth=1
	s_mul_i32 s86, vcc_hi, s18
	s_sub_i32 s86, vcc_lo, s86
	s_mul_i32 vcc_hi, vcc_hi, s20
	s_mul_i32 s86, s86, s9
	v_add_u32_e32 v0, vcc_hi, v100
	v_lshl_add_u32 v72, v0, 1, s86
	v_ashrrev_i32_e32 v73, 31, v72
	v_lshl_add_u64 v[72:73], v[72:73], 2, s[6:7]
	global_load_dwordx2 v[72:73], v[72:73], off
.LBB102_15:                             ;   in Loop: Header=BB102_6 Depth=1
	s_andn2_b64 vcc, exec, s[42:43]
	v_mov_b32_e32 v76, 0
	v_mov_b32_e32 v78, 0
	v_mov_b32_e32 v79, 0
	s_cbranch_vccnz .LBB102_18
; %bb.16:                               ;   in Loop: Header=BB102_6 Depth=1
	s_load_dword vcc_lo, s[36:37], 0xc
	v_mov_b32_e32 v79, 0
	v_mov_b32_e32 v78, 0
	s_waitcnt lgkmcnt(0)
	s_mul_hi_u32 s86, vcc_lo, s16
	s_add_i32 s86, vcc_lo, s86
	s_lshr_b32 vcc_hi, s86, s17
	s_cmp_ge_i32 vcc_hi, s13
	s_cbranch_scc1 .LBB102_18
; %bb.17:                               ;   in Loop: Header=BB102_6 Depth=1
	s_mul_i32 s86, vcc_hi, s18
	s_sub_i32 s86, vcc_lo, s86
	s_mul_i32 vcc_hi, vcc_hi, s20
	s_mul_i32 s86, s86, s9
	v_add_u32_e32 v0, vcc_hi, v100
	v_lshl_add_u32 v78, v0, 1, s86
	v_ashrrev_i32_e32 v79, 31, v78
	v_lshl_add_u64 v[78:79], v[78:79], 2, s[6:7]
	global_load_dwordx2 v[78:79], v[78:79], off
.LBB102_18:                             ;   in Loop: Header=BB102_6 Depth=1
	s_andn2_b64 vcc, exec, s[44:45]
	v_mov_b32_e32 v77, 0
	s_cbranch_vccnz .LBB102_21
; %bb.19:                               ;   in Loop: Header=BB102_6 Depth=1
	s_load_dword vcc_lo, s[36:37], 0x10
	v_mov_b32_e32 v77, 0
	v_mov_b32_e32 v76, 0
	s_waitcnt lgkmcnt(0)
	s_mul_hi_u32 s86, vcc_lo, s16
	s_add_i32 s86, vcc_lo, s86
	s_lshr_b32 vcc_hi, s86, s17
	s_cmp_ge_i32 vcc_hi, s13
	s_cbranch_scc1 .LBB102_21
; %bb.20:                               ;   in Loop: Header=BB102_6 Depth=1
	s_mul_i32 s86, vcc_hi, s18
	s_sub_i32 s86, vcc_lo, s86
	s_mul_i32 vcc_hi, vcc_hi, s20
	s_mul_i32 s86, s86, s9
	v_add_u32_e32 v0, vcc_hi, v100
	v_lshl_add_u32 v76, v0, 1, s86
	v_ashrrev_i32_e32 v77, 31, v76
	v_lshl_add_u64 v[76:77], v[76:77], 2, s[6:7]
	global_load_dwordx2 v[76:77], v[76:77], off
.LBB102_21:                             ;   in Loop: Header=BB102_6 Depth=1
	;; [unrolled: 50-line block ×6, first 2 shown]
	s_andn2_b64 vcc, exec, s[62:63]
	v_mov_b32_e32 v96, 0
	v_mov_b32_e32 v97, 0
	s_cbranch_vccnz .LBB102_5
; %bb.46:                               ;   in Loop: Header=BB102_6 Depth=1
	s_load_dword vcc_lo, s[36:37], 0x34
	v_mov_b32_e32 v97, 0
	v_mov_b32_e32 v96, 0
	s_waitcnt lgkmcnt(0)
	s_mul_hi_u32 s86, vcc_lo, s16
	s_add_i32 s86, vcc_lo, s86
	s_lshr_b32 vcc_hi, s86, s17
	s_cmp_ge_i32 vcc_hi, s13
	s_cbranch_scc1 .LBB102_5
; %bb.47:                               ;   in Loop: Header=BB102_6 Depth=1
	s_mul_i32 s86, vcc_hi, s18
	s_sub_i32 s86, vcc_lo, s86
	s_mul_i32 vcc_hi, vcc_hi, s20
	s_mul_i32 s86, s86, s9
	v_add_u32_e32 v0, vcc_hi, v100
	v_lshl_add_u32 v96, v0, 1, s86
	v_ashrrev_i32_e32 v97, 31, v96
	v_lshl_add_u64 v[96:97], v[96:97], 2, s[6:7]
	global_load_dwordx2 v[96:97], v[96:97], off
	s_branch .LBB102_5
.LBB102_48:
	s_or_b64 exec, exec, s[4:5]
	v_readlane_b32 s24, v103, 6
	v_readlane_b32 s26, v103, 9
	;; [unrolled: 1-line block ×9, first 2 shown]
.LBB102_49:
	s_or_b64 exec, exec, s[28:29]
	s_lshl_b64 s[0:1], s[26:27], 2
	v_mul_u32_u24_e32 v0, 0x208, v99
	v_lshlrev_b32_e32 v1, 2, v98
	v_or_b32_e32 v4, 12, v3
	s_add_u32 s4, s22, s0
	v_add3_u32 v0, 0, v0, v1
	v_and_b32_e32 v1, 0x3f0, v3
	v_and_b32_e32 v4, 0x3fc, v4
	s_addc_u32 s5, s23, s1
	v_add_u32_e32 v1, v0, v1
	v_add_u32_e32 v0, v0, v4
	s_barrier
	ds_write2_b32 v1, a0, a1 offset1:1
	ds_write_b32 v1, a2 offset:8
	ds_write_b32 v0, a3
	ds_write2_b32 v1, a4, a5 offset0:16 offset1:17
	ds_write_b32 v1, a6 offset:72
	ds_write_b32 v0, a7 offset:64
	ds_write2_b32 v1, a8, a9 offset0:32 offset1:33
	ds_write_b32 v1, a10 offset:136
	ds_write_b32 v0, a11 offset:128
	ds_write2_b32 v1, a12, a13 offset0:48 offset1:49
	ds_write_b32 v1, a14 offset:200
	ds_write_b32 v0, a15 offset:192
	s_cmp_gt_i32 s14, 0
	v_add_u32_e32 v0, s2, v2
	s_cselect_b64 s[6:7], -1, 0
	v_cmp_gt_i32_e64 s[0:1], s33, v0
	v_cmp_gt_u32_e32 vcc, 14, v2
	s_and_b64 s[0:1], s[6:7], s[0:1]
	v_lshl_add_u32 v5, v3, 2, 0
	v_add_u32_e32 v4, s11, v3
	v_mul_u32_u24_e32 v6, 0x208, v2
	s_and_b64 s[8:9], vcc, s[0:1]
	s_waitcnt lgkmcnt(0)
	s_barrier
	s_and_saveexec_b64 s[0:1], s[8:9]
	v_readlane_b32 s14, v103, 0
	v_readlane_b32 s15, v103, 1
	s_cbranch_execz .LBB102_52
; %bb.50:
	v_ashrrev_i32_e32 v1, 31, v0
	v_lshl_add_u64 v[8:9], v[0:1], 2, s[4:5]
	global_load_dword v1, v[8:9], off
	s_waitcnt vmcnt(0)
	v_mul_hi_u32 v3, v1, s19
	v_add_u32_e32 v3, v1, v3
	v_lshrrev_b32_e32 v3, s24, v3
	v_cmp_gt_i32_e32 vcc, s13, v3
	s_and_b64 exec, exec, vcc
	s_cbranch_execz .LBB102_52
; %bb.51:
	v_add_u32_e32 v7, v5, v6
	ds_read2st64_b32 v[8:9], v7 offset1:1
	v_mul_lo_u32 v7, v3, s25
	v_sub_u32_e32 v1, v1, v7
	v_mul_lo_u32 v3, v3, s21
	v_mul_lo_u32 v1, v1, s10
	s_waitcnt lgkmcnt(0)
	v_add_f32_e32 v7, 0, v8
	v_add_f32_e32 v7, v7, v9
	v_add3_u32 v8, v4, v3, v1
	v_mov_b32_e32 v9, 0
	v_lshl_add_u64 v[8:9], v[8:9], 2, s[14:15]
	global_store_dword v[8:9], v7, off
.LBB102_52:
	s_or_b64 exec, exec, s[0:1]
	v_add_u32_e32 v1, 2, v0
	v_cmp_gt_i32_e64 s[0:1], s33, v1
	v_cmp_gt_u32_e32 vcc, 12, v2
	s_and_b64 s[0:1], s[6:7], s[0:1]
	s_and_b64 s[8:9], vcc, s[0:1]
	s_and_saveexec_b64 s[0:1], s[8:9]
	s_cbranch_execz .LBB102_55
; %bb.53:
	s_ashr_i32 s3, s2, 31
	v_mov_b32_e32 v3, 0
	v_lshl_add_u64 v[8:9], v[2:3], 0, s[2:3]
	v_lshl_add_u64 v[8:9], v[8:9], 2, s[4:5]
	global_load_dword v1, v[8:9], off offset:8
	s_waitcnt vmcnt(0)
	v_mul_hi_u32 v7, v1, s19
	v_add_u32_e32 v7, v1, v7
	v_lshrrev_b32_e32 v7, s24, v7
	v_cmp_gt_i32_e32 vcc, s13, v7
	s_and_b64 exec, exec, vcc
	s_cbranch_execz .LBB102_55
; %bb.54:
	v_add_u32_e32 v8, v6, v5
	v_add_u32_e32 v8, 16, v8
	ds_read2st64_b32 v[8:9], v8 offset0:4 offset1:5
	v_mul_lo_u32 v10, v7, s25
	v_sub_u32_e32 v1, v1, v10
	v_mul_lo_u32 v7, v7, s21
	v_mul_lo_u32 v1, v1, s10
	s_waitcnt lgkmcnt(0)
	v_add_f32_e32 v8, 0, v8
	v_add_f32_e32 v10, v8, v9
	v_add3_u32 v8, v4, v7, v1
	v_mov_b32_e32 v9, v3
	v_lshl_add_u64 v[8:9], v[8:9], 2, s[14:15]
	global_store_dword v[8:9], v10, off
.LBB102_55:
	s_or_b64 exec, exec, s[0:1]
	v_add_u32_e32 v1, 4, v0
	v_cmp_gt_i32_e64 s[0:1], s33, v1
	v_cmp_gt_u32_e32 vcc, 10, v2
	s_and_b64 s[0:1], s[6:7], s[0:1]
	s_and_b64 s[8:9], vcc, s[0:1]
	s_and_saveexec_b64 s[0:1], s[8:9]
	s_cbranch_execz .LBB102_58
; %bb.56:
	s_ashr_i32 s3, s2, 31
	v_mov_b32_e32 v3, 0
	v_lshl_add_u64 v[8:9], v[2:3], 0, s[2:3]
	v_lshl_add_u64 v[8:9], v[8:9], 2, s[4:5]
	global_load_dword v1, v[8:9], off offset:16
	s_waitcnt vmcnt(0)
	v_mul_hi_u32 v7, v1, s19
	v_add_u32_e32 v7, v1, v7
	v_lshrrev_b32_e32 v7, s24, v7
	v_cmp_gt_i32_e32 vcc, s13, v7
	s_and_b64 exec, exec, vcc
	s_cbranch_execz .LBB102_58
; %bb.57:
	v_add_u32_e32 v8, v5, v6
	v_add_u32_e32 v8, 32, v8
	ds_read2st64_b32 v[8:9], v8 offset0:8 offset1:9
	v_mul_lo_u32 v10, v7, s25
	v_sub_u32_e32 v1, v1, v10
	v_mul_lo_u32 v7, v7, s21
	v_mul_lo_u32 v1, v1, s10
	s_waitcnt lgkmcnt(0)
	v_add_f32_e32 v8, 0, v8
	v_add_f32_e32 v10, v8, v9
	v_add3_u32 v8, v4, v7, v1
	v_mov_b32_e32 v9, v3
	v_lshl_add_u64 v[8:9], v[8:9], 2, s[14:15]
	global_store_dword v[8:9], v10, off
.LBB102_58:
	;; [unrolled: 37-line block ×5, first 2 shown]
	s_or_b64 exec, exec, s[0:1]
	v_add_u32_e32 v0, 12, v0
	v_cmp_gt_i32_e64 s[0:1], s33, v0
	v_cmp_gt_u32_e32 vcc, 2, v2
	s_and_b64 s[0:1], s[6:7], s[0:1]
	s_and_b64 s[0:1], vcc, s[0:1]
	s_and_saveexec_b64 s[6:7], s[0:1]
	s_cbranch_execz .LBB102_70
; %bb.68:
	s_ashr_i32 s3, s2, 31
	v_mov_b32_e32 v3, 0
	v_lshl_add_u64 v[0:1], v[2:3], 0, s[2:3]
	v_lshl_add_u64 v[0:1], v[0:1], 2, s[4:5]
	global_load_dword v0, v[0:1], off offset:48
	s_waitcnt vmcnt(0)
	v_mul_hi_u32 v1, v0, s19
	v_add_u32_e32 v1, v0, v1
	v_lshrrev_b32_e32 v1, s24, v1
	v_cmp_gt_i32_e32 vcc, s13, v1
	s_and_b64 exec, exec, vcc
	s_cbranch_execz .LBB102_70
; %bb.69:
	v_add_u32_e32 v2, v5, v6
	v_add_u32_e32 v2, 0x60, v2
	ds_read2st64_b32 v[6:7], v2 offset0:24 offset1:25
	v_mul_lo_u32 v2, v1, s25
	v_sub_u32_e32 v0, v0, v2
	v_mul_lo_u32 v1, v1, s21
	v_mul_lo_u32 v0, v0, s10
	s_waitcnt lgkmcnt(0)
	v_add_f32_e32 v2, 0, v6
	v_add_f32_e32 v5, v2, v7
	v_add3_u32 v2, v4, v1, v0
	v_lshl_add_u64 v[0:1], v[2:3], 2, s[14:15]
	global_store_dword v[0:1], v5, off
.LBB102_70:
	s_endpgm
	.section	.rodata,"a",@progbits
	.p2align	6, 0x0
	.amdhsa_kernel _ZL13mul_mat_f_idsI7__half2Li64ELi14ELi2EEvPKT_PKfPKiS7_S7_Pfiiiiiiiiiiiiii15HIP_vector_typeIjLj3EESA_
		.amdhsa_group_segment_fixed_size 0
		.amdhsa_private_segment_fixed_size 0
		.amdhsa_kernarg_size 128
		.amdhsa_user_sgpr_count 2
		.amdhsa_user_sgpr_dispatch_ptr 0
		.amdhsa_user_sgpr_queue_ptr 0
		.amdhsa_user_sgpr_kernarg_segment_ptr 1
		.amdhsa_user_sgpr_dispatch_id 0
		.amdhsa_user_sgpr_kernarg_preload_length 0
		.amdhsa_user_sgpr_kernarg_preload_offset 0
		.amdhsa_user_sgpr_private_segment_size 0
		.amdhsa_uses_dynamic_stack 0
		.amdhsa_enable_private_segment 0
		.amdhsa_system_sgpr_workgroup_id_x 1
		.amdhsa_system_sgpr_workgroup_id_y 1
		.amdhsa_system_sgpr_workgroup_id_z 1
		.amdhsa_system_sgpr_workgroup_info 0
		.amdhsa_system_vgpr_workitem_id 1
		.amdhsa_next_free_vgpr 120
		.amdhsa_next_free_sgpr 100
		.amdhsa_accum_offset 104
		.amdhsa_reserve_vcc 1
		.amdhsa_float_round_mode_32 0
		.amdhsa_float_round_mode_16_64 0
		.amdhsa_float_denorm_mode_32 3
		.amdhsa_float_denorm_mode_16_64 3
		.amdhsa_dx10_clamp 1
		.amdhsa_ieee_mode 1
		.amdhsa_fp16_overflow 0
		.amdhsa_tg_split 0
		.amdhsa_exception_fp_ieee_invalid_op 0
		.amdhsa_exception_fp_denorm_src 0
		.amdhsa_exception_fp_ieee_div_zero 0
		.amdhsa_exception_fp_ieee_overflow 0
		.amdhsa_exception_fp_ieee_underflow 0
		.amdhsa_exception_fp_ieee_inexact 0
		.amdhsa_exception_int_div_zero 0
	.end_amdhsa_kernel
	.section	.text._ZL13mul_mat_f_idsI7__half2Li64ELi14ELi2EEvPKT_PKfPKiS7_S7_Pfiiiiiiiiiiiiii15HIP_vector_typeIjLj3EESA_,"axG",@progbits,_ZL13mul_mat_f_idsI7__half2Li64ELi14ELi2EEvPKT_PKfPKiS7_S7_Pfiiiiiiiiiiiiii15HIP_vector_typeIjLj3EESA_,comdat
.Lfunc_end102:
	.size	_ZL13mul_mat_f_idsI7__half2Li64ELi14ELi2EEvPKT_PKfPKiS7_S7_Pfiiiiiiiiiiiiii15HIP_vector_typeIjLj3EESA_, .Lfunc_end102-_ZL13mul_mat_f_idsI7__half2Li64ELi14ELi2EEvPKT_PKfPKiS7_S7_Pfiiiiiiiiiiiiii15HIP_vector_typeIjLj3EESA_
                                        ; -- End function
	.section	.AMDGPU.csdata,"",@progbits
; Kernel info:
; codeLenInByte = 7684
; NumSgprs: 106
; NumVgprs: 104
; NumAgprs: 16
; TotalNumVgprs: 120
; ScratchSize: 0
; MemoryBound: 0
; FloatMode: 240
; IeeeMode: 1
; LDSByteSize: 0 bytes/workgroup (compile time only)
; SGPRBlocks: 13
; VGPRBlocks: 14
; NumSGPRsForWavesPerEU: 106
; NumVGPRsForWavesPerEU: 120
; AccumOffset: 104
; Occupancy: 4
; WaveLimiterHint : 1
; COMPUTE_PGM_RSRC2:SCRATCH_EN: 0
; COMPUTE_PGM_RSRC2:USER_SGPR: 2
; COMPUTE_PGM_RSRC2:TRAP_HANDLER: 0
; COMPUTE_PGM_RSRC2:TGID_X_EN: 1
; COMPUTE_PGM_RSRC2:TGID_Y_EN: 1
; COMPUTE_PGM_RSRC2:TGID_Z_EN: 1
; COMPUTE_PGM_RSRC2:TIDIG_COMP_CNT: 1
; COMPUTE_PGM_RSRC3_GFX90A:ACCUM_OFFSET: 25
; COMPUTE_PGM_RSRC3_GFX90A:TG_SPLIT: 0
	.section	.text._ZL9mul_mat_fI7__half2Li64ELi14ELi2ELb1EEvPKT_PKfPKiPfiiiiiiiiiiiiiiii,"axG",@progbits,_ZL9mul_mat_fI7__half2Li64ELi14ELi2ELb1EEvPKT_PKfPKiPfiiiiiiiiiiiiiiii,comdat
	.globl	_ZL9mul_mat_fI7__half2Li64ELi14ELi2ELb1EEvPKT_PKfPKiPfiiiiiiiiiiiiiiii ; -- Begin function _ZL9mul_mat_fI7__half2Li64ELi14ELi2ELb1EEvPKT_PKfPKiPfiiiiiiiiiiiiiiii
	.p2align	8
	.type	_ZL9mul_mat_fI7__half2Li64ELi14ELi2ELb1EEvPKT_PKfPKiPfiiiiiiiiiiiiiiii,@function
_ZL9mul_mat_fI7__half2Li64ELi14ELi2ELb1EEvPKT_PKfPKiPfiiiiiiiiiiiiiiii: ; @_ZL9mul_mat_fI7__half2Li64ELi14ELi2ELb1EEvPKT_PKfPKiPfiiiiiiiiiiiiiiii
; %bb.0:
	s_load_dwordx8 s[52:59], s[0:1], 0x20
	s_mov_b32 s28, s4
	s_load_dwordx2 s[8:9], s[0:1], 0x10
	v_bfe_u32 v78, v0, 10, 10
	s_waitcnt lgkmcnt(0)
	s_add_i32 s4, s53, 13
	s_mul_hi_i32 s5, s4, 0x92492493
	s_add_i32 s5, s5, s4
	s_lshr_b32 s4, s5, 31
	s_ashr_i32 s5, s5, 3
	s_add_i32 s5, s5, s4
	v_cvt_f32_u32_e32 v1, s5
	s_load_dword s4, s[0:1], 0x64
	s_add_u32 s18, s0, 0x60
	s_addc_u32 s19, s1, 0
	v_rcp_iflag_f32_e32 v1, v1
	s_sub_i32 s6, 0, s5
	v_mul_f32_e32 v1, 0x4f7ffffe, v1
	v_cvt_u32_f32_e32 v1, v1
	v_mul_lo_u32 v2, s6, v1
	v_mul_hi_u32 v2, v1, v2
	v_add_u32_e32 v1, v1, v2
	s_waitcnt lgkmcnt(0)
	v_mul_hi_u32 v1, s4, v1
	v_mul_lo_u32 v2, v1, s5
	v_sub_u32_e32 v2, s4, v2
	v_add_u32_e32 v3, 1, v1
	v_subrev_u32_e32 v4, s5, v2
	v_cmp_le_u32_e32 vcc, s5, v2
	s_nop 1
	v_cndmask_b32_e32 v1, v1, v3, vcc
	v_cndmask_b32_e32 v2, v2, v4, vcc
	v_add_u32_e32 v3, 1, v1
	v_cmp_le_u32_e32 vcc, s5, v2
	s_nop 1
	v_cndmask_b32_e32 v1, v1, v3, vcc
	v_cvt_f32_u32_e32 v2, v1
	v_sub_u32_e32 v4, 0, v1
	v_rcp_iflag_f32_e32 v2, v2
	s_nop 0
	v_mul_f32_e32 v2, 0x4f7ffffe, v2
	v_cvt_u32_f32_e32 v3, v2
	v_and_b32_e32 v2, 0x3ff, v0
	v_cmp_eq_u32_e32 vcc, 0, v2
	v_mul_lo_u32 v4, v4, v3
	v_mul_hi_u32 v4, v3, v4
	v_add_u32_e32 v3, v3, v4
	v_mul_hi_u32 v3, s3, v3
	s_and_saveexec_b64 s[6:7], vcc
	s_cbranch_execz .LBB103_2
; %bb.1:
	v_mov_b32_e32 v4, 0x100
	v_lshl_add_u32 v4, v78, 2, v4
	v_mov_b32_e32 v5, -1
	ds_write_b32 v4, v5
.LBB103_2:
	s_or_b64 exec, exec, s[6:7]
	v_mul_lo_u32 v4, v3, v1
	v_sub_u32_e32 v4, s3, v4
	v_add_u32_e32 v5, 1, v3
	v_sub_u32_e32 v6, v4, v1
	v_cmp_ge_u32_e64 s[6:7], v4, v1
	v_cmp_gt_i32_e64 s[14:15], s54, v2
	s_nop 0
	v_cndmask_b32_e64 v3, v3, v5, s[6:7]
	v_cndmask_b32_e64 v4, v4, v6, s[6:7]
	v_add_u32_e32 v5, 1, v3
	v_cmp_ge_u32_e64 s[6:7], v4, v1
	s_nop 1
	v_cndmask_b32_e64 v3, v3, v5, s[6:7]
	v_mul_lo_u32 v1, v3, v1
	v_mul_lo_u32 v3, v3, 14
	v_mul_hi_i32 v5, v3, s59
	v_mul_lo_u32 v4, v3, s59
	v_sub_u32_e32 v10, s3, v1
	v_lshlrev_b64 v[4:5], 2, v[4:5]
	v_add_u32_e32 v1, v78, v3
	v_lshl_add_u64 v[4:5], s[8:9], 0, v[4:5]
	v_cmp_gt_i32_e64 s[30:31], s53, v1
	v_mov_b32_e32 v1, 0
	s_and_saveexec_b64 s[10:11], s[30:31]
	s_cbranch_execz .LBB103_10
; %bb.3:
	v_mov_b32_e32 v1, 0
	s_and_saveexec_b64 s[12:13], s[14:15]
	s_cbranch_execz .LBB103_9
; %bb.4:
	v_mul_lo_u32 v6, v78, s59
	v_ashrrev_i32_e32 v7, 31, v6
	v_mov_b32_e32 v1, 0x100
	v_lshl_add_u64 v[6:7], v[6:7], 2, v[4:5]
	v_lshl_add_u32 v11, v78, 2, v1
	v_mul_lo_u32 v8, v2, s58
	s_lshl_b32 s3, s58, 6
	s_mov_b64 s[16:17], 0
	v_mov_b32_e32 v1, 0
	v_mov_b32_e32 v12, v2
	s_branch .LBB103_6
.LBB103_5:                              ;   in Loop: Header=BB103_6 Depth=1
	s_or_b64 exec, exec, s[20:21]
	v_add_u32_e32 v12, 64, v12
	v_cmp_le_i32_e64 s[8:9], s54, v12
	s_xor_b64 s[4:5], s[6:7], -1
	s_or_b64 s[4:5], s[4:5], s[8:9]
	s_and_b64 s[4:5], exec, s[4:5]
	s_or_b64 s[16:17], s[4:5], s[16:17]
	v_add_u32_e32 v8, s3, v8
	s_andn2_b64 exec, exec, s[16:17]
	s_cbranch_execz .LBB103_8
.LBB103_6:                              ; =>This Inner Loop Header: Depth=1
	v_ashrrev_i32_e32 v9, 31, v8
	v_lshl_add_u64 v[14:15], v[8:9], 2, v[6:7]
	global_load_dword v9, v[14:15], off
	s_waitcnt vmcnt(0)
	v_cmp_ne_u32_e64 s[6:7], v9, v10
	v_cmp_eq_u32_e64 s[8:9], v9, v10
	s_and_saveexec_b64 s[20:21], s[8:9]
	s_cbranch_execz .LBB103_5
; %bb.7:                                ;   in Loop: Header=BB103_6 Depth=1
	v_mov_b32_e32 v1, 1
	ds_write_b32 v11, v12
	s_branch .LBB103_5
.LBB103_8:
	s_or_b64 exec, exec, s[16:17]
.LBB103_9:
	s_or_b64 exec, exec, s[12:13]
.LBB103_10:
	s_or_b64 exec, exec, s[10:11]
	s_and_saveexec_b64 s[6:7], vcc
	s_cbranch_execz .LBB103_12
; %bb.11:
	v_mov_b32_e32 v6, 0x100
	v_lshl_add_u32 v6, v78, 2, v6
	v_mov_b32_e32 v7, -1
	ds_write_b32 v6, v7 offset:8
.LBB103_12:
	s_or_b64 exec, exec, s[6:7]
	v_add_u32_e32 v79, 2, v78
	v_add_u32_e32 v6, v79, v3
	v_cmp_gt_i32_e64 s[4:5], s53, v6
	s_mov_b64 s[10:11], exec
                                        ; implicit-def: $vgpr95 : SGPR spill to VGPR lane
	s_nop 0
	v_writelane_b32 v95, s4, 0
	s_nop 1
	v_writelane_b32 v95, s5, 1
	s_and_b64 s[4:5], s[10:11], s[4:5]
	s_mov_b64 exec, s[4:5]
	s_cbranch_execz .LBB103_20
; %bb.13:
	s_and_saveexec_b64 s[12:13], s[14:15]
	s_cbranch_execz .LBB103_19
; %bb.14:
	v_mul_lo_u32 v6, v79, s59
	v_ashrrev_i32_e32 v7, 31, v6
	v_mov_b32_e32 v8, 0x100
	v_lshl_add_u64 v[6:7], v[6:7], 2, v[4:5]
	v_lshl_add_u32 v11, v78, 2, v8
	v_mul_lo_u32 v8, v2, s58
	s_lshl_b32 s3, s58, 6
	s_mov_b64 s[16:17], 0
	v_mov_b32_e32 v12, v2
	s_branch .LBB103_16
.LBB103_15:                             ;   in Loop: Header=BB103_16 Depth=1
	s_or_b64 exec, exec, s[20:21]
	v_add_u32_e32 v12, 64, v12
	v_cmp_le_i32_e64 s[8:9], s54, v12
	s_xor_b64 s[4:5], s[6:7], -1
	s_or_b64 s[4:5], s[4:5], s[8:9]
	s_and_b64 s[4:5], exec, s[4:5]
	s_or_b64 s[16:17], s[4:5], s[16:17]
	v_add_u32_e32 v8, s3, v8
	s_andn2_b64 exec, exec, s[16:17]
	s_cbranch_execz .LBB103_18
.LBB103_16:                             ; =>This Inner Loop Header: Depth=1
	v_ashrrev_i32_e32 v9, 31, v8
	v_lshl_add_u64 v[14:15], v[8:9], 2, v[6:7]
	global_load_dword v9, v[14:15], off
	s_waitcnt vmcnt(0)
	v_cmp_ne_u32_e64 s[6:7], v9, v10
	v_cmp_eq_u32_e64 s[8:9], v9, v10
	s_and_saveexec_b64 s[20:21], s[8:9]
	s_cbranch_execz .LBB103_15
; %bb.17:                               ;   in Loop: Header=BB103_16 Depth=1
	v_mov_b32_e32 v1, 1
	ds_write_b32 v11, v12 offset:8
	s_branch .LBB103_15
.LBB103_18:
	s_or_b64 exec, exec, s[16:17]
.LBB103_19:
	s_or_b64 exec, exec, s[12:13]
.LBB103_20:
	s_or_b64 exec, exec, s[10:11]
	s_load_dwordx4 s[60:63], s[0:1], 0x44
	s_and_saveexec_b64 s[6:7], vcc
	s_cbranch_execz .LBB103_22
; %bb.21:
	v_mov_b32_e32 v6, 0x100
	v_lshl_add_u32 v6, v78, 2, v6
	v_mov_b32_e32 v7, -1
	ds_write_b32 v6, v7 offset:16
.LBB103_22:
	s_or_b64 exec, exec, s[6:7]
	v_add_u32_e32 v80, 4, v78
	v_add_u32_e32 v6, v80, v3
	v_cmp_gt_i32_e64 s[4:5], s53, v6
	s_mov_b64 s[10:11], exec
	s_nop 0
	v_writelane_b32 v95, s4, 2
	s_nop 1
	v_writelane_b32 v95, s5, 3
	s_and_b64 s[4:5], s[10:11], s[4:5]
	s_mov_b64 exec, s[4:5]
	s_cbranch_execz .LBB103_30
; %bb.23:
	s_and_saveexec_b64 s[12:13], s[14:15]
	s_cbranch_execz .LBB103_29
; %bb.24:
	v_mul_lo_u32 v6, v80, s59
	v_ashrrev_i32_e32 v7, 31, v6
	v_mov_b32_e32 v8, 0x100
	v_lshl_add_u64 v[6:7], v[6:7], 2, v[4:5]
	v_lshl_add_u32 v11, v78, 2, v8
	v_mul_lo_u32 v8, v2, s58
	s_lshl_b32 s3, s58, 6
	s_mov_b64 s[16:17], 0
	v_mov_b32_e32 v12, v2
	s_branch .LBB103_26
.LBB103_25:                             ;   in Loop: Header=BB103_26 Depth=1
	s_or_b64 exec, exec, s[20:21]
	v_add_u32_e32 v12, 64, v12
	v_cmp_le_i32_e64 s[8:9], s54, v12
	s_xor_b64 s[4:5], s[6:7], -1
	s_or_b64 s[4:5], s[4:5], s[8:9]
	s_and_b64 s[4:5], exec, s[4:5]
	s_or_b64 s[16:17], s[4:5], s[16:17]
	v_add_u32_e32 v8, s3, v8
	s_andn2_b64 exec, exec, s[16:17]
	s_cbranch_execz .LBB103_28
.LBB103_26:                             ; =>This Inner Loop Header: Depth=1
	v_ashrrev_i32_e32 v9, 31, v8
	v_lshl_add_u64 v[14:15], v[8:9], 2, v[6:7]
	global_load_dword v9, v[14:15], off
	s_waitcnt vmcnt(0)
	v_cmp_ne_u32_e64 s[6:7], v9, v10
	v_cmp_eq_u32_e64 s[8:9], v9, v10
	s_and_saveexec_b64 s[20:21], s[8:9]
	s_cbranch_execz .LBB103_25
; %bb.27:                               ;   in Loop: Header=BB103_26 Depth=1
	v_mov_b32_e32 v1, 1
	ds_write_b32 v11, v12 offset:16
	s_branch .LBB103_25
.LBB103_28:
	s_or_b64 exec, exec, s[16:17]
.LBB103_29:
	s_or_b64 exec, exec, s[12:13]
.LBB103_30:
	s_or_b64 exec, exec, s[10:11]
	s_waitcnt lgkmcnt(0)
	s_abs_i32 s3, s63
	s_and_saveexec_b64 s[6:7], vcc
	s_cbranch_execz .LBB103_32
; %bb.31:
	v_mov_b32_e32 v6, 0x100
	v_lshl_add_u32 v6, v78, 2, v6
	v_mov_b32_e32 v7, -1
	ds_write_b32 v6, v7 offset:24
.LBB103_32:
	s_or_b64 exec, exec, s[6:7]
	v_cvt_f32_u32_e32 v11, s3
	v_add_u32_e32 v81, 6, v78
	v_add_u32_e32 v6, v81, v3
	v_cmp_gt_i32_e64 s[4:5], s53, v6
	s_mov_b64 s[12:13], exec
	s_nop 0
	v_writelane_b32 v95, s4, 4
	s_nop 1
	v_writelane_b32 v95, s5, 5
	s_and_b64 s[4:5], s[12:13], s[4:5]
	s_mov_b64 exec, s[4:5]
	s_cbranch_execz .LBB103_40
; %bb.33:
	s_and_saveexec_b64 s[16:17], s[14:15]
	s_cbranch_execz .LBB103_39
; %bb.34:
	v_mul_lo_u32 v6, v81, s59
	v_ashrrev_i32_e32 v7, 31, v6
	v_mov_b32_e32 v8, 0x100
	v_lshl_add_u64 v[6:7], v[6:7], 2, v[4:5]
	v_lshl_add_u32 v12, v78, 2, v8
	v_mul_lo_u32 v8, v2, s58
	s_lshl_b32 s4, s58, 6
	s_mov_b64 s[20:21], 0
	v_mov_b32_e32 v13, v2
	s_branch .LBB103_36
.LBB103_35:                             ;   in Loop: Header=BB103_36 Depth=1
	s_or_b64 exec, exec, s[22:23]
	v_add_u32_e32 v13, 64, v13
	v_cmp_le_i32_e64 s[10:11], s54, v13
	s_xor_b64 s[6:7], s[8:9], -1
	s_or_b64 s[6:7], s[6:7], s[10:11]
	s_and_b64 s[6:7], exec, s[6:7]
	s_or_b64 s[20:21], s[6:7], s[20:21]
	v_add_u32_e32 v8, s4, v8
	s_andn2_b64 exec, exec, s[20:21]
	s_cbranch_execz .LBB103_38
.LBB103_36:                             ; =>This Inner Loop Header: Depth=1
	v_ashrrev_i32_e32 v9, 31, v8
	v_lshl_add_u64 v[14:15], v[8:9], 2, v[6:7]
	global_load_dword v9, v[14:15], off
	s_waitcnt vmcnt(0)
	v_cmp_ne_u32_e64 s[8:9], v9, v10
	v_cmp_eq_u32_e64 s[10:11], v9, v10
	s_and_saveexec_b64 s[22:23], s[10:11]
	s_cbranch_execz .LBB103_35
; %bb.37:                               ;   in Loop: Header=BB103_36 Depth=1
	v_mov_b32_e32 v1, 1
	ds_write_b32 v12, v13 offset:24
	s_branch .LBB103_35
.LBB103_38:
	s_or_b64 exec, exec, s[20:21]
.LBB103_39:
	s_or_b64 exec, exec, s[16:17]
.LBB103_40:
	s_or_b64 exec, exec, s[12:13]
	v_rcp_iflag_f32_e32 v6, v11
	s_and_saveexec_b64 s[8:9], vcc
	s_cbranch_execz .LBB103_42
; %bb.41:
	v_mov_b32_e32 v7, 0x100
	v_lshl_add_u32 v7, v78, 2, v7
	v_mov_b32_e32 v8, -1
	ds_write_b32 v7, v8 offset:32
.LBB103_42:
	s_or_b64 exec, exec, s[8:9]
	v_add_u32_e32 v82, 8, v78
	v_mul_f32_e32 v11, 0x4f7ffffe, v6
	v_add_u32_e32 v6, v82, v3
	v_cmp_gt_i32_e64 s[4:5], s53, v6
	s_mov_b64 s[16:17], exec
	s_nop 0
	v_writelane_b32 v95, s4, 6
	s_nop 1
	v_writelane_b32 v95, s5, 7
	s_and_b64 s[4:5], s[16:17], s[4:5]
	s_mov_b64 exec, s[4:5]
	s_cbranch_execz .LBB103_50
; %bb.43:
	s_and_saveexec_b64 s[20:21], s[14:15]
	s_cbranch_execz .LBB103_49
; %bb.44:
	v_mul_lo_u32 v6, v82, s59
	v_ashrrev_i32_e32 v7, 31, v6
	v_mov_b32_e32 v8, 0x100
	v_lshl_add_u64 v[6:7], v[6:7], 2, v[4:5]
	v_lshl_add_u32 v12, v78, 2, v8
	v_mul_lo_u32 v8, v2, s58
	s_lshl_b32 s4, s58, 6
	s_mov_b64 s[22:23], 0
	v_mov_b32_e32 v13, v2
	s_branch .LBB103_46
.LBB103_45:                             ;   in Loop: Header=BB103_46 Depth=1
	s_or_b64 exec, exec, s[24:25]
	v_add_u32_e32 v13, 64, v13
	v_cmp_le_i32_e64 s[12:13], s54, v13
	s_xor_b64 s[6:7], s[10:11], -1
	s_or_b64 s[6:7], s[6:7], s[12:13]
	s_and_b64 s[6:7], exec, s[6:7]
	s_or_b64 s[22:23], s[6:7], s[22:23]
	v_add_u32_e32 v8, s4, v8
	s_andn2_b64 exec, exec, s[22:23]
	s_cbranch_execz .LBB103_48
.LBB103_46:                             ; =>This Inner Loop Header: Depth=1
	v_ashrrev_i32_e32 v9, 31, v8
	v_lshl_add_u64 v[14:15], v[8:9], 2, v[6:7]
	global_load_dword v9, v[14:15], off
	s_waitcnt vmcnt(0)
	v_cmp_ne_u32_e64 s[10:11], v9, v10
	v_cmp_eq_u32_e64 s[12:13], v9, v10
	s_and_saveexec_b64 s[24:25], s[12:13]
	s_cbranch_execz .LBB103_45
; %bb.47:                               ;   in Loop: Header=BB103_46 Depth=1
	v_mov_b32_e32 v1, 1
	ds_write_b32 v12, v13 offset:32
	s_branch .LBB103_45
.LBB103_48:
	s_or_b64 exec, exec, s[22:23]
.LBB103_49:
	s_or_b64 exec, exec, s[20:21]
.LBB103_50:
	s_or_b64 exec, exec, s[16:17]
	v_cvt_u32_f32_e32 v11, v11
	s_sub_i32 s4, 0, s3
	s_and_saveexec_b64 s[10:11], vcc
	s_cbranch_execz .LBB103_52
; %bb.51:
	v_mov_b32_e32 v6, 0x100
	v_lshl_add_u32 v6, v78, 2, v6
	v_mov_b32_e32 v7, -1
	ds_write_b32 v6, v7 offset:40
.LBB103_52:
	s_or_b64 exec, exec, s[10:11]
	v_add_u32_e32 v83, 10, v78
	v_mul_lo_u32 v12, s4, v11
	v_add_u32_e32 v6, v83, v3
	v_cmp_gt_i32_e64 s[4:5], s53, v6
	s_mov_b64 s[20:21], exec
	s_nop 0
	v_writelane_b32 v95, s4, 8
	s_nop 1
	v_writelane_b32 v95, s5, 9
	s_and_b64 s[4:5], s[20:21], s[4:5]
	s_mov_b64 exec, s[4:5]
	s_cbranch_execz .LBB103_60
; %bb.53:
	s_and_saveexec_b64 s[22:23], s[14:15]
	s_cbranch_execz .LBB103_59
; %bb.54:
	v_mul_lo_u32 v6, v83, s59
	v_ashrrev_i32_e32 v7, 31, v6
	v_mov_b32_e32 v8, 0x100
	v_lshl_add_u64 v[6:7], v[6:7], 2, v[4:5]
	v_lshl_add_u32 v13, v78, 2, v8
	v_mul_lo_u32 v8, v2, s58
	s_lshl_b32 s4, s58, 6
	s_mov_b64 s[24:25], 0
	v_mov_b32_e32 v14, v2
	s_branch .LBB103_56
.LBB103_55:                             ;   in Loop: Header=BB103_56 Depth=1
	s_or_b64 exec, exec, s[26:27]
	v_add_u32_e32 v14, 64, v14
	v_cmp_le_i32_e64 s[16:17], s54, v14
	s_xor_b64 s[6:7], s[12:13], -1
	s_or_b64 s[6:7], s[6:7], s[16:17]
	s_and_b64 s[6:7], exec, s[6:7]
	s_or_b64 s[24:25], s[6:7], s[24:25]
	v_add_u32_e32 v8, s4, v8
	s_andn2_b64 exec, exec, s[24:25]
	s_cbranch_execz .LBB103_58
.LBB103_56:                             ; =>This Inner Loop Header: Depth=1
	v_ashrrev_i32_e32 v9, 31, v8
	v_lshl_add_u64 v[16:17], v[8:9], 2, v[6:7]
	global_load_dword v9, v[16:17], off
	s_waitcnt vmcnt(0)
	v_cmp_ne_u32_e64 s[12:13], v9, v10
	v_cmp_eq_u32_e64 s[16:17], v9, v10
	s_and_saveexec_b64 s[26:27], s[16:17]
	s_cbranch_execz .LBB103_55
; %bb.57:                               ;   in Loop: Header=BB103_56 Depth=1
	v_mov_b32_e32 v1, 1
	ds_write_b32 v13, v14 offset:40
	s_branch .LBB103_55
.LBB103_58:
	s_or_b64 exec, exec, s[24:25]
.LBB103_59:
	s_or_b64 exec, exec, s[22:23]
.LBB103_60:
	s_or_b64 exec, exec, s[20:21]
	v_mul_hi_u32 v6, v11, v12
	s_and_saveexec_b64 s[12:13], vcc
	s_cbranch_execz .LBB103_62
; %bb.61:
	v_mov_b32_e32 v7, 0x100
	v_lshl_add_u32 v7, v78, 2, v7
	v_mov_b32_e32 v8, -1
	ds_write_b32 v7, v8 offset:48
.LBB103_62:
	s_or_b64 exec, exec, s[12:13]
	s_load_dwordx4 s[36:39], s[0:1], 0x54
	v_add_u32_e32 v84, 12, v78
	s_abs_i32 s4, s28
	v_add_u32_e32 v8, v11, v6
	v_add_u32_e32 v6, v84, v3
	v_cmp_gt_i32_e64 s[6:7], s53, v6
	s_mov_b64 s[16:17], exec
	s_nop 0
	v_writelane_b32 v95, s6, 10
	s_nop 1
	v_writelane_b32 v95, s7, 11
	s_and_b64 s[6:7], s[16:17], s[6:7]
	s_mov_b64 exec, s[6:7]
	s_cbranch_execz .LBB103_70
; %bb.63:
	s_and_saveexec_b64 s[20:21], s[14:15]
	s_cbranch_execz .LBB103_69
; %bb.64:
	v_mul_lo_u32 v6, v84, s59
	v_ashrrev_i32_e32 v7, 31, v6
	v_lshl_add_u64 v[4:5], v[6:7], 2, v[4:5]
	v_mov_b32_e32 v6, 0x100
	v_lshl_add_u32 v9, v78, 2, v6
	v_mul_lo_u32 v6, v2, s58
	s_lshl_b32 s5, s58, 6
	s_mov_b64 s[22:23], 0
	v_mov_b32_e32 v11, v2
	s_branch .LBB103_66
.LBB103_65:                             ;   in Loop: Header=BB103_66 Depth=1
	s_or_b64 exec, exec, s[24:25]
	v_add_u32_e32 v11, 64, v11
	v_cmp_le_i32_e64 s[14:15], s54, v11
	s_xor_b64 s[6:7], vcc, -1
	s_or_b64 s[6:7], s[6:7], s[14:15]
	s_and_b64 s[6:7], exec, s[6:7]
	s_or_b64 s[22:23], s[6:7], s[22:23]
	v_add_u32_e32 v6, s5, v6
	s_andn2_b64 exec, exec, s[22:23]
	s_cbranch_execz .LBB103_68
.LBB103_66:                             ; =>This Inner Loop Header: Depth=1
	v_ashrrev_i32_e32 v7, 31, v6
	v_lshl_add_u64 v[12:13], v[6:7], 2, v[4:5]
	global_load_dword v7, v[12:13], off
	s_waitcnt vmcnt(0)
	v_cmp_ne_u32_e32 vcc, v7, v10
	v_cmp_eq_u32_e64 s[14:15], v7, v10
	s_and_saveexec_b64 s[24:25], s[14:15]
	s_cbranch_execz .LBB103_65
; %bb.67:                               ;   in Loop: Header=BB103_66 Depth=1
	v_mov_b32_e32 v1, 1
	ds_write_b32 v9, v11 offset:48
	s_branch .LBB103_65
.LBB103_68:
	s_or_b64 exec, exec, s[22:23]
.LBB103_69:
	s_or_b64 exec, exec, s[20:21]
.LBB103_70:
	s_or_b64 exec, exec, s[16:17]
	s_load_dwordx2 s[6:7], s[18:19], 0xc
	s_load_dwordx2 s[16:17], s[0:1], 0x8
	;; [unrolled: 1-line block ×3, first 2 shown]
	v_cmp_ne_u32_e32 vcc, 0, v1
	v_mul_hi_u32 v4, s4, v8
	s_waitcnt lgkmcnt(0)
	s_and_b32 s5, s7, 0xffff
	v_cndmask_b32_e64 v1, 0, 1, vcc
	v_writelane_b32 v95, s8, 12
	s_lshr_b32 s7, s6, 16
	v_or_b32_dpp v1, v1, v1 row_shl:1 row_mask:0xf bank_mask:0xf bound_ctrl:1
	s_and_b32 s6, s6, 0xffff
	v_writelane_b32 v95, s9, 13
	v_or_b32_dpp v1, v1, v1 row_shl:2 row_mask:0xf bank_mask:0xf bound_ctrl:1
	s_mul_i32 s8, s7, s6
	s_bfe_i32 s8, s8, 0x180000
	v_or_b32_dpp v1, v1, v1 row_shl:4 row_mask:0xf bank_mask:0xf bound_ctrl:1
	s_mul_i32 s5, s8, s5
	s_add_i32 s8, s5, 63
	v_or_b32_dpp v1, v1, v1 row_shl:8 row_mask:0xf bank_mask:0xf bound_ctrl:1
	s_bitcmp1_b32 exec_hi, 0
                                        ; kill: killed $sgpr18 killed $sgpr19
	s_nop 0
	v_mov_b32_dpp v5, v1 wave_shl:1 row_mask:0xf bank_mask:0xf bound_ctrl:1
	s_nop 1
	v_or_b32_dpp v1, v5, v1 row_mirror row_mask:0xf bank_mask:0xf bound_ctrl:1
	s_nop 0
	v_readlane_b32 s5, v1, 32
	s_cselect_b32 s5, s5, 0
	v_readlane_b32 s9, v1, 0
	s_or_b32 s5, s5, s9
	s_andn2_b32 s8, s8, 63
	s_cmp_lg_u32 s8, 64
	v_mov_b32_e32 v1, s5
	s_cbranch_scc0 .LBB103_77
; %bb.71:
	v_bfe_u32 v0, v0, 20, 10
	v_mbcnt_lo_u32_b32 v1, -1, 0
	v_mad_u32_u24 v0, v0, s7, v78
	v_mbcnt_hi_u32_b32 v5, -1, v1
	v_mad_u64_u32 v[0:1], s[6:7], v0, s6, v[2:3]
	v_lshrrev_b32_e32 v1, 6, v0
	v_or_b32_e32 v1, v5, v1
	v_cmp_eq_u32_e32 vcc, 0, v1
	s_and_saveexec_b64 s[14:15], vcc
	s_cbranch_execz .LBB103_73
; %bb.72:
	v_mov_b32_e32 v1, 0
	v_mov_b32_e32 v6, s5
	ds_write_b32 v1, v6
.LBB103_73:
	s_or_b64 exec, exec, s[14:15]
	v_cmp_eq_u32_e32 vcc, 0, v5
	v_cmp_lt_u32_e64 s[14:15], 63, v0
	s_and_b64 s[6:7], s[14:15], vcc
	s_waitcnt lgkmcnt(0)
	s_barrier
	s_and_saveexec_b64 s[14:15], s[6:7]
	s_cbranch_execz .LBB103_76
; %bb.74:
	v_mbcnt_lo_u32_b32 v0, exec_lo, 0
	v_mbcnt_hi_u32_b32 v0, exec_hi, v0
	v_cmp_eq_u32_e32 vcc, 0, v0
	s_and_b64 exec, exec, vcc
	s_cbranch_execz .LBB103_76
; %bb.75:
	v_mov_b32_e32 v0, 0
	v_mov_b32_e32 v1, s5
	ds_or_b32 v0, v1
.LBB103_76:
	s_or_b64 exec, exec, s[14:15]
	v_mov_b32_e32 v0, 0
	s_waitcnt lgkmcnt(0)
	s_barrier
	ds_read_b32 v1, v0
	s_waitcnt lgkmcnt(0)
	s_barrier
.LBB103_77:
	s_load_dwordx2 s[14:15], s[0:1], 0x0
	v_cmp_ne_u32_e32 vcc, 0, v1
	s_ashr_i32 s5, s28, 31
	s_ashr_i32 s6, s63, 31
	s_cbranch_vccz .LBB103_154
; %bb.78:
	v_lshlrev_b32_e32 v85, 6, v78
	v_add_u32_e32 v87, v85, v2
	v_cmp_le_i32_e32 vcc, s52, v87
	v_and_b32_e32 v86, 15, v2
                                        ; implicit-def: $sgpr7
	s_and_saveexec_b64 s[0:1], vcc
	s_xor_b64 s[0:1], exec, s[0:1]
; %bb.79:
	v_and_b32_e32 v86, 15, v2
	s_mov_b32 s7, 0
                                        ; implicit-def: $vgpr87
                                        ; implicit-def: $vgpr4
                                        ; implicit-def: $vgpr10
; %bb.80:
	s_or_saveexec_b64 s[0:1], s[0:1]
	s_lshl_b32 s8, s2, 6
	v_accvgpr_write_b32 a0, s7
	v_accvgpr_write_b32 a1, s7
	v_accvgpr_write_b32 a2, s7
	v_accvgpr_write_b32 a3, s7
	v_accvgpr_write_b32 a4, s7
	v_accvgpr_write_b32 a5, s7
	v_accvgpr_write_b32 a6, s7
	v_accvgpr_write_b32 a7, s7
	v_accvgpr_write_b32 a8, s7
	v_accvgpr_write_b32 a9, s7
	v_accvgpr_write_b32 a10, s7
	v_accvgpr_write_b32 a11, s7
	v_accvgpr_write_b32 a12, s7
	v_accvgpr_write_b32 a13, s7
	v_accvgpr_write_b32 a14, s7
	v_accvgpr_write_b32 a15, s7
	v_writelane_b32 v95, s0, 14
	s_nop 1
	v_writelane_b32 v95, s1, 15
	s_xor_b64 exec, exec, s[0:1]
	s_cbranch_execz .LBB103_126
; %bb.81:
	v_mul_lo_u32 v0, v4, s3
	v_sub_u32_e32 v0, s4, v0
	v_add_u32_e32 v1, 1, v4
	v_subrev_u32_e32 v5, s3, v0
	v_cmp_le_u32_e32 vcc, s3, v0
	v_writelane_b32 v95, s30, 16
	s_xor_b32 s0, s5, s6
	v_cndmask_b32_e32 v1, v4, v1, vcc
	v_cndmask_b32_e32 v0, v0, v5, vcc
	v_add_u32_e32 v4, 1, v1
	v_cmp_le_u32_e32 vcc, s3, v0
	v_writelane_b32 v95, s31, 17
	v_writelane_b32 v95, s8, 18
	v_cndmask_b32_e32 v0, v1, v4, vcc
	v_xor_b32_e32 v0, s0, v0
	v_subrev_u32_e32 v0, s0, v0
	s_mul_i32 s0, s8, s55
	s_movk_i32 s2, 0x1080
	v_mov_b32_e32 v88, 0x100
	v_writelane_b32 v95, s28, 19
	v_mul_hi_i32 v1, v0, s36
	v_mul_lo_u32 v0, v0, s36
	v_mul_lo_u32 v4, v10, s60
	s_ashr_i32 s1, s0, 31
	v_mad_u32_u24 v10, v78, s2, v88
	s_mul_hi_i32 s3, s37, s28
	v_writelane_b32 v95, s36, 20
	s_mul_i32 s2, s37, s28
	v_ashrrev_i32_e32 v5, 31, v4
	s_lshl_b64 s[0:1], s[0:1], 2
	s_lshl_b64 s[2:3], s[2:3], 2
	v_lshlrev_b64 v[8:9], 2, v[4:5]
	v_writelane_b32 v95, s37, 21
	v_mul_hi_i32 v5, s56, v3
	v_mul_lo_u32 v4, s56, v3
	s_add_u32 s2, s16, s2
	v_writelane_b32 v95, s38, 22
	v_lshlrev_b64 v[4:5], 3, v[4:5]
	s_addc_u32 s3, s17, s3
	v_writelane_b32 v95, s39, 23
	v_lshl_add_u64 v[4:5], s[2:3], 0, v[4:5]
	s_lshl_b32 s2, s56, 3
	v_writelane_b32 v95, s2, 24
	s_mul_i32 s2, s56, 6
	v_lshlrev_b64 v[6:7], 2, v[0:1]
	v_writelane_b32 v95, s2, 25
	s_lshl_b32 s2, s56, 4
	s_waitcnt lgkmcnt(0)
	v_lshl_add_u64 v[0:1], s[14:15], 0, v[6:7]
	v_writelane_b32 v95, s2, 26
	s_mul_i32 s2, s56, 10
	v_lshl_add_u64 v[0:1], v[0:1], 0, v[8:9]
	v_writelane_b32 v95, s2, 27
	s_mul_i32 s2, s56, 12
	v_lshl_add_u64 v[0:1], v[0:1], 0, s[0:1]
	v_writelane_b32 v95, s2, 28
	v_lshl_add_u64 v[6:7], v[6:7], 0, s[0:1]
	s_mul_i32 s0, s56, 26
	v_writelane_b32 v95, s0, 29
	s_mul_i32 s0, s56, 24
	v_writelane_b32 v95, s0, 30
	;; [unrolled: 2-line block ×5, first 2 shown]
	s_mul_i32 s0, s56, 14
	v_lshrrev_b32_e32 v12, 1, v2
	v_writelane_b32 v95, s0, 34
	s_lshl_b32 s0, s56, 1
	v_mul_u32_u24_e32 v11, 0x108, v86
	v_and_b32_e32 v12, 0x1f8, v12
	v_lshl_add_u64 v[8:9], v[6:7], 0, v[8:9]
	v_writelane_b32 v95, s0, 35
	s_mul_i32 s0, s55, 3
	v_lshl_add_u32 v89, v2, 2, v10
	v_add3_u32 v90, v10, v11, v12
	v_or_b32_e32 v10, 1, v3
	v_add_u32_e32 v11, 2, v3
	s_lshl_b32 s54, s56, 2
	v_add_u32_e32 v12, 3, v3
	v_add_u32_e32 v13, 4, v3
	;; [unrolled: 1-line block ×11, first 2 shown]
	s_ashr_i32 s3, s55, 31
	s_mov_b32 s2, s55
	v_lshlrev_b32_e32 v23, 1, v2
	v_lshlrev_b32_e32 v6, 2, v87
	v_mov_b32_e32 v7, 0
	v_lshl_add_u64 v[8:9], s[14:15], 0, v[8:9]
	v_writelane_b32 v95, s0, 36
	s_mul_i32 s0, s55, 5
	v_lshl_add_u32 v91, v78, 7, v23
	s_lshl_b64 s[2:3], s[2:3], 2
	v_lshl_add_u64 v[8:9], v[8:9], 0, v[6:7]
	s_lshl_b32 s74, s55, 1
	s_lshl_b32 s76, s55, 2
	v_writelane_b32 v95, s0, 37
	s_mul_i32 s78, s55, 6
	s_mul_i32 s79, s55, 7
	s_lshl_b32 s80, s55, 3
	s_mul_i32 s81, s55, 9
	s_mul_i32 s82, s55, 10
	;; [unrolled: 1-line block ×7, first 2 shown]
	s_lshl_b32 s88, s55, 4
	s_mul_i32 s89, s55, 17
	s_mul_i32 s90, s55, 18
	;; [unrolled: 1-line block ×15, first 2 shown]
	s_lshl_b32 s44, s55, 5
	s_mul_i32 s45, s55, 33
	s_mul_i32 s48, s55, 34
	;; [unrolled: 1-line block ×10, first 2 shown]
	v_cmp_gt_i32_e64 s[14:15], s53, v3
	s_mul_i32 s65, s55, 43
	s_mul_i32 s67, s55, 44
	v_accvgpr_write_b32 a15, 0
	v_accvgpr_write_b32 a14, 0
	;; [unrolled: 1-line block ×16, first 2 shown]
	s_mul_i32 s8, s55, 45
	s_mul_i32 s9, s55, 46
	;; [unrolled: 1-line block ×19, first 2 shown]
	v_cmp_gt_i32_e64 s[16:17], s53, v10
	v_cmp_gt_i32_e64 s[18:19], s53, v11
	;; [unrolled: 1-line block ×13, first 2 shown]
	s_mov_b32 s53, s54
	s_mov_b64 s[54:55], 0
	s_mov_b64 s[58:59], 0x200
	s_branch .LBB103_83
.LBB103_82:                             ;   in Loop: Header=BB103_83 Depth=1
	s_waitcnt vmcnt(0)
	v_cvt_f16_f32_e32 v6, v74
	v_cvt_f16_f32_e32 v74, v75
	v_add_u32_e32 v75, 0xc00, v89
	ds_write_b32 v89, v7 offset:4024
	v_add_u32_e32 v87, 0x80, v87
	v_pack_b32_f16 v6, v6, v74
	ds_write2_b32 v75, v6, v7 offset0:106 offset1:172
	ds_read2_b64 v[74:77], v90 offset0:8 offset1:12
	v_cmp_le_i32_e32 vcc, s52, v87
	v_add_u32_e32 v91, 0x100, v91
	v_lshl_add_u64 v[8:9], v[8:9], 0, s[58:59]
	s_waitcnt lgkmcnt(0)
	v_mfma_f32_16x16x16_f16 a[12:15], v[16:17], v[74:75], a[12:15]
	s_or_b64 s[54:55], vcc, s[54:55]
	v_mfma_f32_16x16x16_f16 a[8:11], v[42:43], v[74:75], a[8:11]
	v_mfma_f32_16x16x16_f16 a[4:7], v[56:57], v[74:75], a[4:7]
	;; [unrolled: 1-line block ×4, first 2 shown]
	ds_read2_b64 v[14:17], v90 offset0:16 offset1:20
	v_mfma_f32_16x16x16_f16 a[8:11], v[40:41], v[76:77], a[8:11]
	v_mfma_f32_16x16x16_f16 a[4:7], v[54:55], v[76:77], a[4:7]
	;; [unrolled: 1-line block ×3, first 2 shown]
	s_waitcnt lgkmcnt(0)
	v_mfma_f32_16x16x16_f16 a[12:15], v[12:13], v[14:15], a[12:15]
	v_mfma_f32_16x16x16_f16 a[8:11], v[36:37], v[14:15], a[8:11]
	;; [unrolled: 1-line block ×5, first 2 shown]
	ds_read2_b64 v[10:13], v90 offset0:24 offset1:28
	v_mfma_f32_16x16x16_f16 a[8:11], v[34:35], v[16:17], a[8:11]
	v_mfma_f32_16x16x16_f16 a[4:7], v[50:51], v[16:17], a[4:7]
	;; [unrolled: 1-line block ×3, first 2 shown]
	s_waitcnt lgkmcnt(0)
	v_mfma_f32_16x16x16_f16 a[12:15], v[24:25], v[10:11], a[12:15]
	v_mfma_f32_16x16x16_f16 a[8:11], v[32:33], v[10:11], a[8:11]
	;; [unrolled: 1-line block ×8, first 2 shown]
	ds_read2_b64 v[10:13], v90 offset0:32 offset1:36
	s_waitcnt lgkmcnt(0)
	v_mfma_f32_16x16x16_f16 a[12:15], v[20:21], v[10:11], a[12:15]
	v_mfma_f32_16x16x16_f16 a[8:11], v[28:29], v[10:11], a[8:11]
	;; [unrolled: 1-line block ×8, first 2 shown]
	s_andn2_b64 exec, exec, s[54:55]
	s_cbranch_execz .LBB103_125
.LBB103_83:                             ; =>This Inner Loop Header: Depth=1
	v_readlane_b32 vcc_lo, v95, 36
	v_lshl_add_u64 v[10:11], v[8:9], 0, s[2:3]
	global_load_dword v6, v[8:9], off
	global_load_dword v26, v[10:11], off
	v_add_u32_e32 v12, vcc_lo, v87
	v_readlane_b32 vcc_lo, v95, 37
	v_add_u32_e32 v10, s74, v87
	v_add_u32_e32 v14, s76, v87
	v_add_u32_e32 v16, vcc_lo, v87
	v_add_u32_e32 v22, s80, v87
	v_ashrrev_i32_e32 v11, 31, v10
	v_ashrrev_i32_e32 v15, 31, v14
	;; [unrolled: 1-line block ×3, first 2 shown]
	v_add_u32_e32 v18, s78, v87
	v_add_u32_e32 v20, s79, v87
	v_ashrrev_i32_e32 v23, 31, v22
	v_add_u32_e32 v24, s81, v87
	v_lshl_add_u64 v[10:11], v[10:11], 2, v[0:1]
	v_ashrrev_i32_e32 v13, 31, v12
	v_lshl_add_u64 v[14:15], v[14:15], 2, v[0:1]
	v_lshl_add_u64 v[16:17], v[16:17], 2, v[0:1]
	v_ashrrev_i32_e32 v19, 31, v18
	v_ashrrev_i32_e32 v21, 31, v20
	v_lshl_add_u64 v[22:23], v[22:23], 2, v[0:1]
	v_ashrrev_i32_e32 v25, 31, v24
	v_lshl_add_u64 v[12:13], v[12:13], 2, v[0:1]
	v_lshl_add_u64 v[18:19], v[18:19], 2, v[0:1]
	v_lshl_add_u64 v[20:21], v[20:21], 2, v[0:1]
	v_lshl_add_u64 v[24:25], v[24:25], 2, v[0:1]
	global_load_dword v27, v[10:11], off
	global_load_dword v28, v[12:13], off
	;; [unrolled: 1-line block ×6, first 2 shown]
	s_nop 0
	global_load_dword v22, v[22:23], off
	s_nop 0
	global_load_dword v23, v[24:25], off
	v_add_u32_e32 v10, s82, v87
	v_add_u32_e32 v14, s84, v87
	;; [unrolled: 1-line block ×3, first 2 shown]
	v_ashrrev_i32_e32 v11, 31, v10
	v_add_u32_e32 v12, s83, v87
	v_ashrrev_i32_e32 v15, 31, v14
	v_ashrrev_i32_e32 v17, 31, v16
	v_add_u32_e32 v18, s86, v87
	v_add_u32_e32 v20, s87, v87
	v_lshl_add_u64 v[10:11], v[10:11], 2, v[0:1]
	v_ashrrev_i32_e32 v13, 31, v12
	v_lshl_add_u64 v[14:15], v[14:15], 2, v[0:1]
	v_lshl_add_u64 v[16:17], v[16:17], 2, v[0:1]
	v_ashrrev_i32_e32 v19, 31, v18
	v_ashrrev_i32_e32 v21, 31, v20
	v_lshl_add_u64 v[12:13], v[12:13], 2, v[0:1]
	v_lshl_add_u64 v[18:19], v[18:19], 2, v[0:1]
	;; [unrolled: 1-line block ×3, first 2 shown]
	global_load_dword v24, v[10:11], off
	global_load_dword v25, v[12:13], off
	s_nop 0
	global_load_dword v14, v[14:15], off
	s_nop 0
	;; [unrolled: 2-line block ×3, first 2 shown]
	global_load_dword v16, v[18:19], off
	global_load_dword v17, v[20:21], off
	v_add_u32_e32 v10, s88, v87
	v_add_u32_e32 v12, s89, v87
	v_ashrrev_i32_e32 v11, 31, v10
	v_ashrrev_i32_e32 v13, 31, v12
	v_lshl_add_u64 v[10:11], v[10:11], 2, v[0:1]
	v_add_u32_e32 v18, s90, v87
	v_lshl_add_u64 v[12:13], v[12:13], 2, v[0:1]
	global_load_dword v34, v[10:11], off
	global_load_dword v35, v[12:13], off
	v_ashrrev_i32_e32 v19, 31, v18
	v_add_u32_e32 v20, s91, v87
	v_lshl_add_u64 v[18:19], v[18:19], 2, v[0:1]
	v_ashrrev_i32_e32 v21, 31, v20
	v_lshl_add_u64 v[20:21], v[20:21], 2, v[0:1]
	s_andn2_b64 vcc, exec, s[14:15]
	s_waitcnt vmcnt(17)
	ds_write_b32 v89, v6 offset:64
	s_waitcnt vmcnt(16)
	ds_write_b32 v89, v26 offset:328
	;; [unrolled: 2-line block ×16, first 2 shown]
	v_add_u32_e32 v22, s92, v87
	v_add_u32_e32 v24, s93, v87
	;; [unrolled: 1-line block ×6, first 2 shown]
	v_ashrrev_i32_e32 v23, 31, v22
	v_ashrrev_i32_e32 v25, 31, v24
	;; [unrolled: 1-line block ×6, first 2 shown]
	ds_read_b64 v[16:17], v90 offset:64
	ds_read_b64 v[14:15], v90 offset:96
	;; [unrolled: 1-line block ×4, first 2 shown]
	v_lshl_add_u64 v[22:23], v[22:23], 2, v[0:1]
	v_lshl_add_u64 v[24:25], v[24:25], 2, v[0:1]
	v_lshl_add_u64 v[26:27], v[26:27], 2, v[0:1]
	v_lshl_add_u64 v[28:29], v[28:29], 2, v[0:1]
	v_lshl_add_u64 v[30:31], v[30:31], 2, v[0:1]
	v_lshl_add_u64 v[32:33], v[32:33], 2, v[0:1]
	global_load_dword v6, v[18:19], off
	global_load_dword v36, v[20:21], off
	global_load_dword v37, v[22:23], off
	global_load_dword v38, v[24:25], off
	global_load_dword v39, v[26:27], off
	global_load_dword v40, v[28:29], off
	global_load_dword v41, v[30:31], off
	global_load_dword v42, v[32:33], off
	v_add_u32_e32 v18, s98, v87
	v_ashrrev_i32_e32 v19, 31, v18
	v_add_u32_e32 v20, s99, v87
	v_add_u32_e32 v22, s50, v87
	v_add_u32_e32 v24, s51, v87
	v_add_u32_e32 v26, s66, v87
	v_add_u32_e32 v28, s5, v87
	v_add_u32_e32 v30, s44, v87
	v_add_u32_e32 v32, s45, v87
	v_lshl_add_u64 v[18:19], v[18:19], 2, v[0:1]
	v_ashrrev_i32_e32 v21, 31, v20
	v_ashrrev_i32_e32 v23, 31, v22
	v_ashrrev_i32_e32 v25, 31, v24
	v_ashrrev_i32_e32 v27, 31, v26
	v_ashrrev_i32_e32 v29, 31, v28
	v_ashrrev_i32_e32 v31, 31, v30
	v_ashrrev_i32_e32 v33, 31, v32
	v_lshl_add_u64 v[20:21], v[20:21], 2, v[0:1]
	v_lshl_add_u64 v[22:23], v[22:23], 2, v[0:1]
	v_lshl_add_u64 v[24:25], v[24:25], 2, v[0:1]
	v_lshl_add_u64 v[26:27], v[26:27], 2, v[0:1]
	v_lshl_add_u64 v[28:29], v[28:29], 2, v[0:1]
	v_lshl_add_u64 v[30:31], v[30:31], 2, v[0:1]
	v_lshl_add_u64 v[32:33], v[32:33], 2, v[0:1]
	global_load_dword v43, v[18:19], off
	global_load_dword v44, v[20:21], off
	global_load_dword v45, v[22:23], off
	global_load_dword v46, v[24:25], off
	global_load_dword v47, v[26:27], off
	global_load_dword v48, v[28:29], off
	global_load_dword v49, v[30:31], off
	global_load_dword v50, v[32:33], off
	v_add_u32_e32 v18, s48, v87
	v_ashrrev_i32_e32 v19, 31, v18
	v_add_u32_e32 v20, s49, v87
	v_add_u32_e32 v22, s46, v87
	v_add_u32_e32 v24, s47, v87
	v_add_u32_e32 v26, s6, v87
	v_add_u32_e32 v28, s7, v87
	v_add_u32_e32 v30, s63, v87
	v_add_u32_e32 v32, s0, v87
	v_lshl_add_u64 v[18:19], v[18:19], 2, v[0:1]
	v_ashrrev_i32_e32 v21, 31, v20
	v_ashrrev_i32_e32 v23, 31, v22
	v_ashrrev_i32_e32 v25, 31, v24
	v_ashrrev_i32_e32 v27, 31, v26
	v_ashrrev_i32_e32 v29, 31, v28
	v_ashrrev_i32_e32 v31, 31, v30
	v_ashrrev_i32_e32 v33, 31, v32
	v_lshl_add_u64 v[20:21], v[20:21], 2, v[0:1]
	;; [unrolled: 32-line block ×4, first 2 shown]
	v_lshl_add_u64 v[22:23], v[22:23], 2, v[0:1]
	v_lshl_add_u64 v[24:25], v[24:25], 2, v[0:1]
	;; [unrolled: 1-line block ×6, first 2 shown]
	global_load_dword v67, v[18:19], off
	global_load_dword v68, v[20:21], off
	;; [unrolled: 1-line block ×8, first 2 shown]
	v_add_u32_e32 v18, s4, v87
	v_ashrrev_i32_e32 v19, 31, v18
	v_add_u32_e32 v20, s60, v87
	v_add_u32_e32 v22, s64, v87
	;; [unrolled: 1-line block ×5, first 2 shown]
	v_lshl_add_u64 v[18:19], v[18:19], 2, v[0:1]
	v_ashrrev_i32_e32 v21, 31, v20
	v_ashrrev_i32_e32 v23, 31, v22
	;; [unrolled: 1-line block ×5, first 2 shown]
	v_lshl_add_u64 v[20:21], v[20:21], 2, v[0:1]
	v_lshl_add_u64 v[22:23], v[22:23], 2, v[0:1]
	;; [unrolled: 1-line block ×5, first 2 shown]
	global_load_dword v75, v[18:19], off
	global_load_dword v76, v[20:21], off
	;; [unrolled: 1-line block ×6, first 2 shown]
	ds_read_b64 v[24:25], v90 offset:192
	ds_read_b64 v[22:23], v90 offset:224
	ds_read_b64 v[20:21], v90 offset:256
	ds_read_b64 v[18:19], v90 offset:288
	s_waitcnt vmcnt(47)
	ds_write_b32 v89, v34 offset:64
	s_waitcnt vmcnt(46)
	ds_write_b32 v89, v35 offset:328
	s_waitcnt vmcnt(45)
	ds_write_b32 v89, v6 offset:592
	s_waitcnt vmcnt(44)
	ds_write_b32 v89, v36 offset:856
	s_waitcnt vmcnt(43)
	ds_write_b32 v89, v37 offset:1120
	s_waitcnt vmcnt(42)
	ds_write_b32 v89, v38 offset:1384
	s_waitcnt vmcnt(41)
	ds_write_b32 v89, v39 offset:1648
	s_waitcnt vmcnt(40)
	ds_write_b32 v89, v40 offset:1912
	s_waitcnt vmcnt(39)
	ds_write_b32 v89, v41 offset:2176
	s_waitcnt vmcnt(38)
	ds_write_b32 v89, v42 offset:2440
	s_waitcnt vmcnt(37)
	ds_write_b32 v89, v43 offset:2704
	s_waitcnt vmcnt(36)
	ds_write_b32 v89, v44 offset:2968
	s_waitcnt vmcnt(35)
	ds_write_b32 v89, v45 offset:3232
	s_waitcnt vmcnt(34)
	ds_write_b32 v89, v46 offset:3496
	s_waitcnt vmcnt(33)
	ds_write_b32 v89, v47 offset:3760
	s_waitcnt vmcnt(32)
	ds_write_b32 v89, v48 offset:4024
	ds_read_b64 v[42:43], v90 offset:64
	ds_read_b64 v[40:41], v90 offset:96
	ds_read_b64 v[36:37], v90 offset:128
	ds_read_b64 v[34:35], v90 offset:160
	ds_read_b64 v[32:33], v90 offset:192
	ds_read_b64 v[30:31], v90 offset:224
	ds_read_b64 v[28:29], v90 offset:256
	ds_read_b64 v[26:27], v90 offset:288
	s_waitcnt vmcnt(31)
	ds_write_b32 v89, v49 offset:64
	s_waitcnt vmcnt(30)
	ds_write_b32 v89, v50 offset:328
	s_waitcnt vmcnt(29)
	ds_write_b32 v89, v51 offset:592
	s_waitcnt vmcnt(28)
	ds_write_b32 v89, v52 offset:856
	s_waitcnt vmcnt(27)
	ds_write_b32 v89, v53 offset:1120
	s_waitcnt vmcnt(26)
	ds_write_b32 v89, v54 offset:1384
	s_waitcnt vmcnt(25)
	ds_write_b32 v89, v55 offset:1648
	s_waitcnt vmcnt(24)
	ds_write_b32 v89, v56 offset:1912
	s_waitcnt vmcnt(23)
	ds_write_b32 v89, v57 offset:2176
	s_waitcnt vmcnt(22)
	ds_write_b32 v89, v58 offset:2440
	s_waitcnt vmcnt(21)
	ds_write_b32 v89, v59 offset:2704
	s_waitcnt vmcnt(20)
	ds_write_b32 v89, v60 offset:2968
	s_waitcnt vmcnt(19)
	ds_write_b32 v89, v61 offset:3232
	s_waitcnt vmcnt(18)
	ds_write_b32 v89, v62 offset:3496
	s_waitcnt vmcnt(17)
	ds_write_b32 v89, v63 offset:3760
	s_waitcnt vmcnt(16)
	ds_write_b32 v89, v64 offset:4024
	ds_read_b64 v[56:57], v90 offset:64
	ds_read_b64 v[54:55], v90 offset:96
	ds_read_b64 v[52:53], v90 offset:128
	ds_read_b64 v[50:51], v90 offset:160
	ds_read_b64 v[48:49], v90 offset:192
	ds_read_b64 v[46:47], v90 offset:224
	ds_read_b64 v[44:45], v90 offset:256
	ds_read_b64 v[38:39], v90 offset:288
	s_waitcnt vmcnt(15)
	ds_write_b32 v89, v65 offset:64
	s_waitcnt vmcnt(14)
	ds_write_b32 v89, v66 offset:328
	s_waitcnt vmcnt(13)
	ds_write_b32 v89, v67 offset:592
	s_waitcnt vmcnt(12)
	ds_write_b32 v89, v68 offset:856
	s_waitcnt vmcnt(11)
	ds_write_b32 v89, v69 offset:1120
	s_waitcnt vmcnt(10)
	ds_write_b32 v89, v70 offset:1384
	s_waitcnt vmcnt(9)
	ds_write_b32 v89, v71 offset:1648
	s_waitcnt vmcnt(8)
	ds_write_b32 v89, v72 offset:1912
	s_waitcnt vmcnt(7)
	ds_write_b32 v89, v73 offset:2176
	s_waitcnt vmcnt(6)
	ds_write_b32 v89, v74 offset:2440
	s_waitcnt vmcnt(5)
	ds_write_b32 v89, v75 offset:2704
	s_waitcnt vmcnt(4)
	ds_write_b32 v89, v76 offset:2968
	s_waitcnt vmcnt(3)
	ds_write_b32 v89, v77 offset:3232
	s_waitcnt vmcnt(2)
	ds_write_b32 v89, v92 offset:3496
	s_waitcnt vmcnt(1)
	ds_write_b32 v89, v93 offset:3760
	s_waitcnt vmcnt(0)
	ds_write_b32 v89, v94 offset:4024
	ds_read_b64 v[72:73], v90 offset:64
	ds_read_b64 v[70:71], v90 offset:96
	ds_read_b64 v[66:67], v90 offset:128
	ds_read_b64 v[62:63], v90 offset:160
	ds_read_b64 v[68:69], v90 offset:192
	ds_read_b64 v[64:65], v90 offset:224
	;; [unrolled: 1-line block ×4, first 2 shown]
	v_mov_b32_e32 v74, 0
	v_mov_b32_e32 v75, 0
	s_cbranch_vccnz .LBB103_86
; %bb.84:                               ;   in Loop: Header=BB103_83 Depth=1
	ds_read_b32 v6, v88
	v_mov_b32_e32 v75, 0
	v_mov_b32_e32 v74, 0
	s_waitcnt lgkmcnt(0)
	v_cmp_gt_i32_e32 vcc, 0, v6
	s_cbranch_vccnz .LBB103_86
; %bb.85:                               ;   in Loop: Header=BB103_83 Depth=1
	v_mul_lo_u32 v6, v6, s61
	v_add_u32_e32 v74, v91, v6
	v_ashrrev_i32_e32 v75, 31, v74
	v_lshl_add_u64 v[74:75], v[74:75], 2, v[4:5]
	global_load_dwordx2 v[74:75], v[74:75], off
.LBB103_86:                             ;   in Loop: Header=BB103_83 Depth=1
	s_waitcnt vmcnt(0)
	v_cvt_f16_f32_e32 v6, v74
	v_cvt_f16_f32_e32 v74, v75
	s_andn2_b64 vcc, exec, s[16:17]
	v_mov_b32_e32 v76, 0
	v_mov_b32_e32 v77, 0
	v_pack_b32_f16 v6, v6, v74
	v_mov_b32_e32 v74, 0
	ds_write_b32 v89, v6 offset:64
	s_cbranch_vccnz .LBB103_89
; %bb.87:                               ;   in Loop: Header=BB103_83 Depth=1
	ds_read_b32 v6, v88 offset:4
	v_mov_b32_e32 v77, 0
	v_mov_b32_e32 v76, 0
	s_waitcnt lgkmcnt(0)
	v_cmp_gt_i32_e32 vcc, 0, v6
	s_cbranch_vccnz .LBB103_89
; %bb.88:                               ;   in Loop: Header=BB103_83 Depth=1
	v_mul_lo_u32 v6, v6, s61
	v_readlane_b32 vcc_lo, v95, 35
	s_nop 1
	v_add_u32_e32 v6, vcc_lo, v6
	v_add_u32_e32 v76, v6, v91
	v_ashrrev_i32_e32 v77, 31, v76
	v_lshl_add_u64 v[76:77], v[76:77], 2, v[4:5]
	global_load_dwordx2 v[76:77], v[76:77], off
.LBB103_89:                             ;   in Loop: Header=BB103_83 Depth=1
	s_waitcnt vmcnt(0)
	v_cvt_f16_f32_e32 v6, v76
	v_cvt_f16_f32_e32 v75, v77
	s_andn2_b64 vcc, exec, s[18:19]
	v_pack_b32_f16 v6, v6, v75
	v_mov_b32_e32 v75, 0
	ds_write_b32 v89, v6 offset:328
	s_cbranch_vccnz .LBB103_92
; %bb.90:                               ;   in Loop: Header=BB103_83 Depth=1
	ds_read_b32 v6, v88 offset:8
	v_mov_b32_e32 v75, 0
	v_mov_b32_e32 v74, 0
	s_waitcnt lgkmcnt(0)
	v_cmp_gt_i32_e32 vcc, 0, v6
	s_cbranch_vccnz .LBB103_92
; %bb.91:                               ;   in Loop: Header=BB103_83 Depth=1
	v_mul_lo_u32 v6, v6, s61
	v_add_u32_e32 v6, s53, v6
	v_add_u32_e32 v74, v6, v91
	v_ashrrev_i32_e32 v75, 31, v74
	v_lshl_add_u64 v[74:75], v[74:75], 2, v[4:5]
	global_load_dwordx2 v[74:75], v[74:75], off
.LBB103_92:                             ;   in Loop: Header=BB103_83 Depth=1
	s_waitcnt vmcnt(0)
	v_cvt_f16_f32_e32 v6, v74
	v_cvt_f16_f32_e32 v74, v75
	s_andn2_b64 vcc, exec, s[20:21]
	v_mov_b32_e32 v76, 0
	v_mov_b32_e32 v77, 0
	v_pack_b32_f16 v6, v6, v74
	v_mov_b32_e32 v74, 0
	ds_write_b32 v89, v6 offset:592
	s_cbranch_vccnz .LBB103_95
; %bb.93:                               ;   in Loop: Header=BB103_83 Depth=1
	ds_read_b32 v6, v88 offset:12
	v_mov_b32_e32 v77, 0
	v_mov_b32_e32 v76, 0
	s_waitcnt lgkmcnt(0)
	v_cmp_gt_i32_e32 vcc, 0, v6
	s_cbranch_vccnz .LBB103_95
; %bb.94:                               ;   in Loop: Header=BB103_83 Depth=1
	v_mul_lo_u32 v6, v6, s61
	v_readlane_b32 vcc_lo, v95, 25
	s_nop 1
	v_add_u32_e32 v6, vcc_lo, v6
	v_add_u32_e32 v76, v6, v91
	v_ashrrev_i32_e32 v77, 31, v76
	v_lshl_add_u64 v[76:77], v[76:77], 2, v[4:5]
	global_load_dwordx2 v[76:77], v[76:77], off
.LBB103_95:                             ;   in Loop: Header=BB103_83 Depth=1
	s_waitcnt vmcnt(0)
	v_cvt_f16_f32_e32 v6, v76
	v_cvt_f16_f32_e32 v75, v77
	s_andn2_b64 vcc, exec, s[22:23]
	v_pack_b32_f16 v6, v6, v75
	v_mov_b32_e32 v75, 0
	ds_write_b32 v89, v6 offset:856
	s_cbranch_vccnz .LBB103_98
; %bb.96:                               ;   in Loop: Header=BB103_83 Depth=1
	ds_read_b32 v6, v88 offset:16
	v_mov_b32_e32 v75, 0
	v_mov_b32_e32 v74, 0
	s_waitcnt lgkmcnt(0)
	v_cmp_gt_i32_e32 vcc, 0, v6
	s_cbranch_vccnz .LBB103_98
; %bb.97:                               ;   in Loop: Header=BB103_83 Depth=1
	v_mul_lo_u32 v6, v6, s61
	v_readlane_b32 vcc_lo, v95, 24
	s_nop 1
	v_add_u32_e32 v6, vcc_lo, v6
	v_add_u32_e32 v74, v6, v91
	v_ashrrev_i32_e32 v75, 31, v74
	v_lshl_add_u64 v[74:75], v[74:75], 2, v[4:5]
	global_load_dwordx2 v[74:75], v[74:75], off
.LBB103_98:                             ;   in Loop: Header=BB103_83 Depth=1
	s_waitcnt vmcnt(0)
	v_cvt_f16_f32_e32 v6, v74
	v_cvt_f16_f32_e32 v74, v75
	s_andn2_b64 vcc, exec, s[24:25]
	v_mov_b32_e32 v76, 0
	v_mov_b32_e32 v77, 0
	v_pack_b32_f16 v6, v6, v74
	v_mov_b32_e32 v74, 0
	ds_write_b32 v89, v6 offset:1120
	s_cbranch_vccnz .LBB103_101
; %bb.99:                               ;   in Loop: Header=BB103_83 Depth=1
	ds_read_b32 v6, v88 offset:20
	v_mov_b32_e32 v77, 0
	v_mov_b32_e32 v76, 0
	s_waitcnt lgkmcnt(0)
	v_cmp_gt_i32_e32 vcc, 0, v6
	s_cbranch_vccnz .LBB103_101
; %bb.100:                              ;   in Loop: Header=BB103_83 Depth=1
	v_mul_lo_u32 v6, v6, s61
	v_readlane_b32 vcc_lo, v95, 27
	s_nop 1
	v_add_u32_e32 v6, vcc_lo, v6
	v_add_u32_e32 v76, v6, v91
	v_ashrrev_i32_e32 v77, 31, v76
	v_lshl_add_u64 v[76:77], v[76:77], 2, v[4:5]
	global_load_dwordx2 v[76:77], v[76:77], off
.LBB103_101:                            ;   in Loop: Header=BB103_83 Depth=1
	s_waitcnt vmcnt(0)
	v_cvt_f16_f32_e32 v6, v76
	v_cvt_f16_f32_e32 v75, v77
	s_andn2_b64 vcc, exec, s[26:27]
	v_pack_b32_f16 v6, v6, v75
	v_mov_b32_e32 v75, 0
	ds_write_b32 v89, v6 offset:1384
	s_cbranch_vccnz .LBB103_104
; %bb.102:                              ;   in Loop: Header=BB103_83 Depth=1
	ds_read_b32 v6, v88 offset:24
	v_mov_b32_e32 v75, 0
	v_mov_b32_e32 v74, 0
	s_waitcnt lgkmcnt(0)
	v_cmp_gt_i32_e32 vcc, 0, v6
	s_cbranch_vccnz .LBB103_104
; %bb.103:                              ;   in Loop: Header=BB103_83 Depth=1
	v_mul_lo_u32 v6, v6, s61
	v_readlane_b32 vcc_lo, v95, 28
	s_nop 1
	v_add_u32_e32 v6, vcc_lo, v6
	v_add_u32_e32 v74, v6, v91
	v_ashrrev_i32_e32 v75, 31, v74
	v_lshl_add_u64 v[74:75], v[74:75], 2, v[4:5]
	global_load_dwordx2 v[74:75], v[74:75], off
.LBB103_104:                            ;   in Loop: Header=BB103_83 Depth=1
	s_waitcnt vmcnt(0)
	v_cvt_f16_f32_e32 v6, v74
	v_cvt_f16_f32_e32 v74, v75
	s_andn2_b64 vcc, exec, s[28:29]
	v_mov_b32_e32 v76, 0
	v_mov_b32_e32 v77, 0
	v_pack_b32_f16 v6, v6, v74
	v_mov_b32_e32 v74, 0
	ds_write_b32 v89, v6 offset:1648
	s_cbranch_vccnz .LBB103_107
; %bb.105:                              ;   in Loop: Header=BB103_83 Depth=1
	ds_read_b32 v6, v88 offset:28
	v_mov_b32_e32 v77, 0
	v_mov_b32_e32 v76, 0
	s_waitcnt lgkmcnt(0)
	v_cmp_gt_i32_e32 vcc, 0, v6
	s_cbranch_vccnz .LBB103_107
; %bb.106:                              ;   in Loop: Header=BB103_83 Depth=1
	v_mul_lo_u32 v6, v6, s61
	v_readlane_b32 vcc_lo, v95, 34
	s_nop 1
	v_add_u32_e32 v6, vcc_lo, v6
	v_add_u32_e32 v76, v6, v91
	v_ashrrev_i32_e32 v77, 31, v76
	v_lshl_add_u64 v[76:77], v[76:77], 2, v[4:5]
	global_load_dwordx2 v[76:77], v[76:77], off
.LBB103_107:                            ;   in Loop: Header=BB103_83 Depth=1
	s_waitcnt vmcnt(0)
	v_cvt_f16_f32_e32 v6, v76
	v_cvt_f16_f32_e32 v75, v77
	s_andn2_b64 vcc, exec, s[30:31]
	v_pack_b32_f16 v6, v6, v75
	v_mov_b32_e32 v75, 0
	ds_write_b32 v89, v6 offset:1912
	s_cbranch_vccnz .LBB103_110
; %bb.108:                              ;   in Loop: Header=BB103_83 Depth=1
	ds_read_b32 v6, v88 offset:32
	v_mov_b32_e32 v75, 0
	v_mov_b32_e32 v74, 0
	s_waitcnt lgkmcnt(0)
	v_cmp_gt_i32_e32 vcc, 0, v6
	s_cbranch_vccnz .LBB103_110
; %bb.109:                              ;   in Loop: Header=BB103_83 Depth=1
	v_mul_lo_u32 v6, v6, s61
	v_readlane_b32 vcc_lo, v95, 26
	s_nop 1
	v_add_u32_e32 v6, vcc_lo, v6
	v_add_u32_e32 v74, v6, v91
	v_ashrrev_i32_e32 v75, 31, v74
	v_lshl_add_u64 v[74:75], v[74:75], 2, v[4:5]
	global_load_dwordx2 v[74:75], v[74:75], off
.LBB103_110:                            ;   in Loop: Header=BB103_83 Depth=1
	s_waitcnt vmcnt(0)
	v_cvt_f16_f32_e32 v6, v74
	v_cvt_f16_f32_e32 v74, v75
	s_andn2_b64 vcc, exec, s[34:35]
	v_mov_b32_e32 v76, 0
	v_mov_b32_e32 v77, 0
	v_pack_b32_f16 v6, v6, v74
	v_mov_b32_e32 v74, 0
	ds_write_b32 v89, v6 offset:2176
	s_cbranch_vccnz .LBB103_113
; %bb.111:                              ;   in Loop: Header=BB103_83 Depth=1
	ds_read_b32 v6, v88 offset:36
	v_mov_b32_e32 v77, 0
	v_mov_b32_e32 v76, 0
	s_waitcnt lgkmcnt(0)
	v_cmp_gt_i32_e32 vcc, 0, v6
	s_cbranch_vccnz .LBB103_113
; %bb.112:                              ;   in Loop: Header=BB103_83 Depth=1
	v_mul_lo_u32 v6, v6, s61
	v_readlane_b32 vcc_lo, v95, 33
	s_nop 1
	v_add_u32_e32 v6, vcc_lo, v6
	v_add_u32_e32 v76, v6, v91
	v_ashrrev_i32_e32 v77, 31, v76
	v_lshl_add_u64 v[76:77], v[76:77], 2, v[4:5]
	global_load_dwordx2 v[76:77], v[76:77], off
.LBB103_113:                            ;   in Loop: Header=BB103_83 Depth=1
	;; [unrolled: 52-line block ×3, first 2 shown]
	s_waitcnt vmcnt(0)
	v_cvt_f16_f32_e32 v6, v76
	v_cvt_f16_f32_e32 v75, v77
	s_andn2_b64 vcc, exec, s[40:41]
	v_pack_b32_f16 v6, v6, v75
	v_mov_b32_e32 v75, 0
	ds_write_b32 v89, v6 offset:2968
	s_cbranch_vccnz .LBB103_122
; %bb.120:                              ;   in Loop: Header=BB103_83 Depth=1
	ds_read_b32 v6, v88 offset:48
	v_mov_b32_e32 v75, 0
	v_mov_b32_e32 v74, 0
	s_waitcnt lgkmcnt(0)
	v_cmp_gt_i32_e32 vcc, 0, v6
	s_cbranch_vccnz .LBB103_122
; %bb.121:                              ;   in Loop: Header=BB103_83 Depth=1
	v_mul_lo_u32 v6, v6, s61
	v_readlane_b32 vcc_lo, v95, 30
	s_nop 1
	v_add_u32_e32 v6, vcc_lo, v6
	v_add_u32_e32 v74, v6, v91
	v_ashrrev_i32_e32 v75, 31, v74
	v_lshl_add_u64 v[74:75], v[74:75], 2, v[4:5]
	global_load_dwordx2 v[74:75], v[74:75], off
.LBB103_122:                            ;   in Loop: Header=BB103_83 Depth=1
	s_waitcnt vmcnt(0)
	v_cvt_f16_f32_e32 v6, v74
	v_cvt_f16_f32_e32 v74, v75
	s_andn2_b64 vcc, exec, s[42:43]
	v_mov_b32_e32 v75, 0
	v_pack_b32_f16 v6, v6, v74
	v_mov_b32_e32 v74, 0
	ds_write_b32 v89, v6 offset:3232
	s_cbranch_vccnz .LBB103_82
; %bb.123:                              ;   in Loop: Header=BB103_83 Depth=1
	ds_read_b32 v6, v88 offset:52
	v_mov_b32_e32 v75, 0
	v_mov_b32_e32 v74, 0
	s_waitcnt lgkmcnt(0)
	v_cmp_gt_i32_e32 vcc, 0, v6
	s_cbranch_vccnz .LBB103_82
; %bb.124:                              ;   in Loop: Header=BB103_83 Depth=1
	v_mul_lo_u32 v6, v6, s61
	v_readlane_b32 vcc_lo, v95, 29
	s_nop 1
	v_add_u32_e32 v6, vcc_lo, v6
	v_add_u32_e32 v74, v6, v91
	v_ashrrev_i32_e32 v75, 31, v74
	v_lshl_add_u64 v[74:75], v[74:75], 2, v[4:5]
	global_load_dwordx2 v[74:75], v[74:75], off
	s_branch .LBB103_82
.LBB103_125:
	s_or_b64 exec, exec, s[54:55]
	v_readlane_b32 s30, v95, 16
	v_readlane_b32 s36, v95, 20
	v_readlane_b32 s28, v95, 19
	v_readlane_b32 s31, v95, 17
	v_readlane_b32 s38, v95, 22
	v_readlane_b32 s8, v95, 18
	v_readlane_b32 s37, v95, 21
	v_readlane_b32 s39, v95, 23
.LBB103_126:
	v_readlane_b32 s0, v95, 14
	v_readlane_b32 s1, v95, 15
	s_or_b64 exec, exec, s[0:1]
	v_mul_u32_u24_e32 v0, 0x208, v86
	s_movk_i32 s1, 0x100
	v_lshlrev_b32_e32 v1, 2, v85
	v_add3_u32 v0, s1, v0, v1
	v_and_b32_e32 v4, 0x3f0, v2
	v_add_u32_e32 v5, v0, v4
	s_waitcnt lgkmcnt(0)
	s_barrier
	ds_write2_b32 v5, a12, a13 offset0:16 offset1:17
	v_or_b32_e32 v5, 12, v2
	v_add_u32_e32 v1, 64, v0
	v_and_b32_e32 v5, 0x3fc, v5
	v_add_u32_e32 v4, v1, v4
	v_add_u32_e32 v0, v0, v5
	ds_write_b32 v4, a14 offset:8
	ds_write_b32 v0, a15 offset:64
	ds_write2_b32 v4, a8, a9 offset0:16 offset1:17
	ds_write_b32 v4, a10 offset:72
	v_add_u32_e32 v0, v1, v5
	ds_write_b32 v0, a11 offset:64
	ds_write2_b32 v4, a4, a5 offset0:32 offset1:33
	ds_write_b32 v4, a6 offset:136
	ds_write_b32 v0, a7 offset:128
	ds_write2_b32 v4, a0, a1 offset0:48 offset1:49
	ds_write_b32 v4, a2 offset:200
	ds_write_b32 v0, a3 offset:192
	v_mov_b32_e32 v0, 0x100
	s_movk_i32 s0, 0x208
	v_lshl_add_u32 v7, v2, 2, v0
	v_mad_u32_u24 v1, v78, s0, v7
	s_waitcnt lgkmcnt(0)
	s_barrier
	ds_read2_b32 v[4:5], v1 offset0:16 offset1:80
	v_cmp_gt_u32_e32 vcc, 14, v78
	v_mov_b32_e32 v8, -1
	s_and_saveexec_b64 s[0:1], vcc
	s_cbranch_execz .LBB103_128
; %bb.127:
	v_lshl_add_u32 v0, v78, 2, v0
	ds_read_b32 v8, v0
.LBB103_128:
	s_or_b64 exec, exec, s[0:1]
	s_mul_hi_i32 s1, s38, s28
	s_mul_i32 s0, s38, s28
	s_lshl_b64 s[0:1], s[0:1], 2
	v_readlane_b32 s2, v95, 12
	v_mul_hi_i32 v1, v3, s57
	v_mul_lo_u32 v0, v3, s57
	v_readlane_b32 s3, v95, 13
	s_add_u32 s0, s2, s0
	s_addc_u32 s1, s3, s1
	v_lshlrev_b64 v[0:1], 2, v[0:1]
	s_waitcnt lgkmcnt(0)
	v_cmp_lt_i32_e32 vcc, -1, v8
	v_mul_u32_u24_e32 v9, 0x208, v78
	v_add_u32_e32 v6, s8, v2
	v_lshl_add_u64 v[0:1], s[0:1], 0, v[0:1]
	s_and_b64 s[2:3], vcc, s[30:31]
	s_and_saveexec_b64 s[0:1], s[2:3]
	s_cbranch_execz .LBB103_130
; %bb.129:
	v_add_f32_e32 v2, 0, v4
	v_add_f32_e32 v4, v2, v5
	v_mul_lo_u32 v2, v8, s62
	v_mul_lo_u32 v3, v78, s57
	v_add3_u32 v2, v6, v3, v2
	v_mov_b32_e32 v3, 0
	v_lshl_add_u64 v[2:3], v[2:3], 2, v[0:1]
	global_store_dword v[2:3], v4, off
.LBB103_130:
	s_or_b64 exec, exec, s[0:1]
	v_add_u32_e32 v4, v9, v7
	v_add_u32_e32 v2, 0x50, v4
	ds_read2st64_b32 v[2:3], v2 offset0:4 offset1:5
	v_cmp_gt_u32_e32 vcc, 12, v78
	v_mov_b32_e32 v5, -1
	s_and_saveexec_b64 s[0:1], vcc
	s_cbranch_execz .LBB103_132
; %bb.131:
	v_mov_b32_e32 v5, 0x100
	v_lshl_add_u32 v5, v78, 2, v5
	ds_read_b32 v5, v5 offset:8
.LBB103_132:
	s_or_b64 exec, exec, s[0:1]
	v_readlane_b32 s0, v95, 0
	s_waitcnt lgkmcnt(0)
	v_cmp_lt_i32_e32 vcc, -1, v5
	v_readlane_b32 s1, v95, 1
	s_and_b64 s[2:3], vcc, s[0:1]
	s_and_saveexec_b64 s[0:1], s[2:3]
	s_cbranch_execz .LBB103_134
; %bb.133:
	v_add_f32_e32 v2, 0, v2
	v_add_f32_e32 v7, v2, v3
	v_mul_lo_u32 v2, v5, s62
	v_mul_lo_u32 v3, v79, s57
	v_add3_u32 v2, v6, v3, v2
	v_mov_b32_e32 v3, 0
	v_lshl_add_u64 v[2:3], v[2:3], 2, v[0:1]
	global_store_dword v[2:3], v7, off
.LBB103_134:
	s_or_b64 exec, exec, s[0:1]
	v_add_u32_e32 v2, 0x60, v4
	ds_read2st64_b32 v[2:3], v2 offset0:8 offset1:9
	v_cmp_gt_u32_e32 vcc, 10, v78
	v_mov_b32_e32 v5, -1
	s_and_saveexec_b64 s[0:1], vcc
	s_cbranch_execz .LBB103_136
; %bb.135:
	v_mov_b32_e32 v5, 0x100
	v_lshl_add_u32 v5, v78, 2, v5
	ds_read_b32 v5, v5 offset:16
.LBB103_136:
	s_or_b64 exec, exec, s[0:1]
	v_readlane_b32 s0, v95, 2
	s_waitcnt lgkmcnt(0)
	v_cmp_lt_i32_e32 vcc, -1, v5
	v_readlane_b32 s1, v95, 3
	s_and_b64 s[2:3], vcc, s[0:1]
	s_and_saveexec_b64 s[0:1], s[2:3]
	s_cbranch_execz .LBB103_138
; %bb.137:
	v_add_f32_e32 v2, 0, v2
	v_add_f32_e32 v7, v2, v3
	v_mul_lo_u32 v2, v5, s62
	v_mul_lo_u32 v3, v80, s57
	v_add3_u32 v2, v6, v3, v2
	v_mov_b32_e32 v3, 0
	v_lshl_add_u64 v[2:3], v[2:3], 2, v[0:1]
	global_store_dword v[2:3], v7, off
.LBB103_138:
	s_or_b64 exec, exec, s[0:1]
	;; [unrolled: 30-line block ×5, first 2 shown]
	v_add_u32_e32 v2, 0xa0, v4
	ds_read2st64_b32 v[2:3], v2 offset0:24 offset1:25
	v_cmp_gt_u32_e32 vcc, 2, v78
	v_mov_b32_e32 v4, -1
	s_and_saveexec_b64 s[0:1], vcc
	s_cbranch_execz .LBB103_152
; %bb.151:
	v_mov_b32_e32 v4, 0x100
	v_lshl_add_u32 v4, v78, 2, v4
	ds_read_b32 v4, v4 offset:48
.LBB103_152:
	s_or_b64 exec, exec, s[0:1]
	v_readlane_b32 s0, v95, 10
	s_waitcnt lgkmcnt(0)
	v_cmp_lt_i32_e32 vcc, -1, v4
	v_readlane_b32 s1, v95, 11
	s_and_b64 s[0:1], vcc, s[0:1]
	s_and_saveexec_b64 s[2:3], s[0:1]
	s_cbranch_execz .LBB103_154
; %bb.153:
	v_add_f32_e32 v2, 0, v2
	v_add_f32_e32 v5, v2, v3
	v_mul_lo_u32 v2, v4, s62
	v_mul_lo_u32 v3, v84, s57
	v_add3_u32 v2, v6, v3, v2
	v_mov_b32_e32 v3, 0
	v_lshl_add_u64 v[0:1], v[2:3], 2, v[0:1]
	global_store_dword v[0:1], v5, off
.LBB103_154:
	s_endpgm
	.section	.rodata,"a",@progbits
	.p2align	6, 0x0
	.amdhsa_kernel _ZL9mul_mat_fI7__half2Li64ELi14ELi2ELb1EEvPKT_PKfPKiPfiiiiiiiiiiiiiiii
		.amdhsa_group_segment_fixed_size 256
		.amdhsa_private_segment_fixed_size 0
		.amdhsa_kernarg_size 352
		.amdhsa_user_sgpr_count 2
		.amdhsa_user_sgpr_dispatch_ptr 0
		.amdhsa_user_sgpr_queue_ptr 0
		.amdhsa_user_sgpr_kernarg_segment_ptr 1
		.amdhsa_user_sgpr_dispatch_id 0
		.amdhsa_user_sgpr_kernarg_preload_length 0
		.amdhsa_user_sgpr_kernarg_preload_offset 0
		.amdhsa_user_sgpr_private_segment_size 0
		.amdhsa_uses_dynamic_stack 0
		.amdhsa_enable_private_segment 0
		.amdhsa_system_sgpr_workgroup_id_x 1
		.amdhsa_system_sgpr_workgroup_id_y 1
		.amdhsa_system_sgpr_workgroup_id_z 1
		.amdhsa_system_sgpr_workgroup_info 0
		.amdhsa_system_vgpr_workitem_id 2
		.amdhsa_next_free_vgpr 112
		.amdhsa_next_free_sgpr 100
		.amdhsa_accum_offset 96
		.amdhsa_reserve_vcc 1
		.amdhsa_float_round_mode_32 0
		.amdhsa_float_round_mode_16_64 0
		.amdhsa_float_denorm_mode_32 3
		.amdhsa_float_denorm_mode_16_64 3
		.amdhsa_dx10_clamp 1
		.amdhsa_ieee_mode 1
		.amdhsa_fp16_overflow 0
		.amdhsa_tg_split 0
		.amdhsa_exception_fp_ieee_invalid_op 0
		.amdhsa_exception_fp_denorm_src 0
		.amdhsa_exception_fp_ieee_div_zero 0
		.amdhsa_exception_fp_ieee_overflow 0
		.amdhsa_exception_fp_ieee_underflow 0
		.amdhsa_exception_fp_ieee_inexact 0
		.amdhsa_exception_int_div_zero 0
	.end_amdhsa_kernel
	.section	.text._ZL9mul_mat_fI7__half2Li64ELi14ELi2ELb1EEvPKT_PKfPKiPfiiiiiiiiiiiiiiii,"axG",@progbits,_ZL9mul_mat_fI7__half2Li64ELi14ELi2ELb1EEvPKT_PKfPKiPfiiiiiiiiiiiiiiii,comdat
.Lfunc_end103:
	.size	_ZL9mul_mat_fI7__half2Li64ELi14ELi2ELb1EEvPKT_PKfPKiPfiiiiiiiiiiiiiiii, .Lfunc_end103-_ZL9mul_mat_fI7__half2Li64ELi14ELi2ELb1EEvPKT_PKfPKiPfiiiiiiiiiiiiiiii
                                        ; -- End function
	.section	.AMDGPU.csdata,"",@progbits
; Kernel info:
; codeLenInByte = 10132
; NumSgprs: 106
; NumVgprs: 96
; NumAgprs: 16
; TotalNumVgprs: 112
; ScratchSize: 0
; MemoryBound: 0
; FloatMode: 240
; IeeeMode: 1
; LDSByteSize: 256 bytes/workgroup (compile time only)
; SGPRBlocks: 13
; VGPRBlocks: 13
; NumSGPRsForWavesPerEU: 106
; NumVGPRsForWavesPerEU: 112
; AccumOffset: 96
; Occupancy: 4
; WaveLimiterHint : 0
; COMPUTE_PGM_RSRC2:SCRATCH_EN: 0
; COMPUTE_PGM_RSRC2:USER_SGPR: 2
; COMPUTE_PGM_RSRC2:TRAP_HANDLER: 0
; COMPUTE_PGM_RSRC2:TGID_X_EN: 1
; COMPUTE_PGM_RSRC2:TGID_Y_EN: 1
; COMPUTE_PGM_RSRC2:TGID_Z_EN: 1
; COMPUTE_PGM_RSRC2:TIDIG_COMP_CNT: 2
; COMPUTE_PGM_RSRC3_GFX90A:ACCUM_OFFSET: 23
; COMPUTE_PGM_RSRC3_GFX90A:TG_SPLIT: 0
	.section	.text._ZL9mul_mat_fI7__half2Li64ELi14ELi2ELb0EEvPKT_PKfPKiPfiiiiiiiiiiiiiiii,"axG",@progbits,_ZL9mul_mat_fI7__half2Li64ELi14ELi2ELb0EEvPKT_PKfPKiPfiiiiiiiiiiiiiiii,comdat
	.globl	_ZL9mul_mat_fI7__half2Li64ELi14ELi2ELb0EEvPKT_PKfPKiPfiiiiiiiiiiiiiiii ; -- Begin function _ZL9mul_mat_fI7__half2Li64ELi14ELi2ELb0EEvPKT_PKfPKiPfiiiiiiiiiiiiiiii
	.p2align	8
	.type	_ZL9mul_mat_fI7__half2Li64ELi14ELi2ELb0EEvPKT_PKfPKiPfiiiiiiiiiiiiiiii,@function
_ZL9mul_mat_fI7__half2Li64ELi14ELi2ELb0EEvPKT_PKfPKiPfiiiiiiiiiiiiiiii: ; @_ZL9mul_mat_fI7__half2Li64ELi14ELi2ELb0EEvPKT_PKfPKiPfiiiiiiiiiiiiiiii
; %bb.0:
	s_load_dword s5, s[0:1], 0x20
	s_load_dwordx4 s[16:19], s[0:1], 0x2c
	v_bfe_u32 v85, v0, 10, 10
	v_lshlrev_b32_e32 v86, 6, v85
	v_and_b32_e32 v84, 0x3ff, v0
	v_add_u32_e32 v88, v86, v84
	s_mov_b32 s20, 0
	s_waitcnt lgkmcnt(0)
	s_ashr_i32 s19, s4, 31
	v_cmp_le_i32_e32 vcc, s5, v88
	v_and_b32_e32 v87, 15, v84
	s_and_saveexec_b64 s[6:7], vcc
	s_xor_b64 s[6:7], exec, s[6:7]
; %bb.1:
	v_and_b32_e32 v87, 15, v84
                                        ; implicit-def: $vgpr88
; %bb.2:
	s_or_saveexec_b64 s[24:25], s[6:7]
	s_load_dwordx8 s[8:15], s[0:1], 0x40
	s_load_dwordx2 s[6:7], s[0:1], 0x18
	s_lshl_b32 s2, s2, 6
	v_accvgpr_write_b32 a0, s20
	v_accvgpr_write_b32 a1, s20
	;; [unrolled: 1-line block ×16, first 2 shown]
	v_lshlrev_b32_e32 v0, 2, v84
	s_xor_b64 exec, exec, s[24:25]
	s_cbranch_execz .LBB104_6
; %bb.3:
	s_waitcnt lgkmcnt(0)
	s_abs_i32 s26, s8
	v_cvt_f32_u32_e32 v1, s26
	s_abs_i32 s27, s12
	v_cvt_f32_u32_e32 v2, s27
	s_sub_i32 s20, 0, s26
	v_rcp_iflag_f32_e32 v1, v1
	s_abs_i32 s28, s3
	v_rcp_iflag_f32_e32 v2, v2
	s_sub_i32 s21, 0, s27
	v_mul_f32_e32 v1, 0x4f7ffffe, v1
	v_cvt_u32_f32_e32 v1, v1
	v_mul_f32_e32 v2, 0x4f7ffffe, v2
	v_cvt_u32_f32_e32 v2, v2
	s_abs_i32 s29, s4
	v_mul_lo_u32 v3, s20, v1
	v_mul_hi_u32 v3, v1, v3
	v_add_u32_e32 v1, v1, v3
	v_mul_hi_u32 v1, s28, v1
	v_mul_lo_u32 v4, s21, v2
	v_mul_lo_u32 v3, v1, s26
	v_mul_hi_u32 v4, v2, v4
	v_sub_u32_e32 v3, s28, v3
	v_add_u32_e32 v2, v2, v4
	v_subrev_u32_e32 v5, s26, v3
	v_cmp_le_u32_e32 vcc, s26, v3
	v_mul_hi_u32 v2, s29, v2
	v_add_u32_e32 v4, 1, v1
	v_cndmask_b32_e32 v3, v3, v5, vcc
	v_cndmask_b32_e32 v1, v1, v4, vcc
	v_cmp_le_u32_e32 vcc, s26, v3
	v_mul_lo_u32 v3, v2, s27
	v_add_u32_e32 v4, 1, v1
	v_sub_u32_e32 v3, s29, v3
	s_load_dwordx4 s[20:23], s[0:1], 0x0
	s_ashr_i32 s0, s3, 31
	s_ashr_i32 s1, s8, 31
	v_cndmask_b32_e32 v1, v1, v4, vcc
	v_add_u32_e32 v4, 1, v2
	v_subrev_u32_e32 v5, s27, v3
	v_cmp_le_u32_e32 vcc, s27, v3
	s_xor_b32 s0, s0, s1
	s_ashr_i32 s8, s12, 31
	v_cndmask_b32_e32 v2, v2, v4, vcc
	v_cndmask_b32_e32 v3, v3, v5, vcc
	v_xor_b32_e32 v1, s0, v1
	v_add_u32_e32 v4, 1, v2
	v_cmp_le_u32_e32 vcc, s27, v3
	v_subrev_u32_e32 v1, s0, v1
	s_xor_b32 s0, s19, s8
	v_cndmask_b32_e32 v2, v2, v4, vcc
	v_xor_b32_e32 v2, s0, v2
	v_subrev_u32_e32 v2, s0, v2
	v_mul_lo_u32 v4, v1, s9
	s_mul_i32 s0, s2, s16
	v_ashrrev_i32_e32 v5, 31, v4
	s_ashr_i32 s1, s0, 31
	s_mul_hi_i32 s9, s14, s4
	s_mul_i32 s8, s14, s4
	s_mul_i32 s12, s3, s10
	s_lshl_b64 s[0:1], s[0:1], 2
	v_lshlrev_b64 v[4:5], 2, v[4:5]
	v_mul_hi_i32 v3, v2, s13
	v_mul_lo_u32 v2, v2, s13
	v_lshl_add_u64 v[8:9], v[4:5], 0, s[0:1]
	s_ashr_i32 s13, s12, 31
	s_lshl_b64 s[26:27], s[8:9], 2
	s_movk_i32 s8, 0x1080
	v_lshrrev_b32_e32 v5, 1, v84
	v_lshlrev_b64 v[6:7], 2, v[2:3]
	s_lshl_b64 s[0:1], s[12:13], 2
	v_mad_u32_u24 v1, v85, s8, 0
	v_mul_u32_u24_e32 v4, 0x108, v87
	v_and_b32_e32 v5, 0x1f8, v5
	s_waitcnt lgkmcnt(0)
	v_lshl_add_u64 v[2:3], s[20:21], 0, v[6:7]
	s_add_u32 s22, s22, s0
	v_add3_u32 v90, v1, v4, v5
	v_lshlrev_b32_e32 v4, 8, v85
	v_mov_b32_e32 v5, 0
	v_lshl_add_u64 v[6:7], v[8:9], 0, v[6:7]
	s_addc_u32 s23, s23, s1
	v_lshl_add_u64 v[6:7], v[6:7], 0, v[4:5]
	v_lshlrev_b32_e32 v4, 9, v85
	v_lshl_add_u64 v[2:3], v[8:9], 0, v[2:3]
	s_add_u32 s0, s22, s26
	v_add_u32_e32 v89, v1, v0
	v_mov_b32_e32 v1, v5
	v_lshl_add_u64 v[8:9], s[26:27], 0, v[4:5]
	v_lshlrev_b32_e32 v4, 3, v84
	s_addc_u32 s1, s23, s27
	s_ashr_i32 s9, s16, 31
	s_mov_b32 s8, s16
	s_ashr_i32 s13, s17, 31
	s_mov_b32 s12, s17
	v_lshl_add_u64 v[6:7], v[6:7], 0, v[0:1]
	v_lshl_add_u64 v[8:9], v[8:9], 0, v[4:5]
	s_lshl_b64 s[8:9], s[8:9], 2
	v_lshl_add_u64 v[6:7], s[20:21], 0, v[6:7]
	s_lshl_b64 s[12:13], s[12:13], 3
	v_lshl_add_u64 v[8:9], s[22:23], 0, v[8:9]
	s_mul_i32 s10, s16, 63
	s_lshl_b32 s14, s17, 1
	s_mul_i32 s19, s17, 3
	s_lshl_b32 s26, s17, 2
	s_mul_i32 s27, s17, 5
	s_mul_i32 s28, s17, 6
	;; [unrolled: 1-line block ×3, first 2 shown]
	s_lshl_b32 s30, s17, 3
	s_mul_i32 s31, s17, 9
	s_mul_i32 s33, s17, 10
	;; [unrolled: 1-line block ×5, first 2 shown]
	s_lshl_b32 s37, s16, 1
	s_mul_i32 s38, s16, 3
	s_lshl_b32 s39, s16, 2
	s_mul_i32 s40, s16, 5
	s_mul_i32 s41, s16, 6
	;; [unrolled: 1-line block ×3, first 2 shown]
	s_lshl_b32 s43, s16, 3
	s_mul_i32 s44, s16, 9
	s_mul_i32 s45, s16, 10
	;; [unrolled: 1-line block ×7, first 2 shown]
	s_lshl_b32 s51, s16, 4
	s_mul_i32 s52, s16, 17
	s_mul_i32 s53, s16, 18
	;; [unrolled: 1-line block ×15, first 2 shown]
	s_lshl_b32 s67, s16, 5
	s_mul_i32 s68, s16, 33
	s_mul_i32 s69, s16, 34
	;; [unrolled: 1-line block ×11, first 2 shown]
	v_accvgpr_write_b32 a15, 0
	v_accvgpr_write_b32 a14, 0
	;; [unrolled: 1-line block ×16, first 2 shown]
	s_mul_i32 s79, s16, 44
	s_mul_i32 s80, s16, 45
	;; [unrolled: 1-line block ×19, first 2 shown]
	s_mov_b64 s[16:17], 0
	s_mov_b64 s[20:21], 0x200
	;; [unrolled: 1-line block ×3, first 2 shown]
.LBB104_4:                              ; =>This Inner Loop Header: Depth=1
	v_add_u32_e32 v82, s37, v88
	v_add_u32_e32 v34, s38, v88
	;; [unrolled: 1-line block ×22, first 2 shown]
	v_lshl_add_u64 v[32:33], v[6:7], 0, s[8:9]
	v_add_u32_e32 v78, s41, v88
	v_add_u32_e32 v50, s57, v88
	;; [unrolled: 1-line block ×8, first 2 shown]
	v_ashrrev_i32_e32 v83, 31, v82
	v_ashrrev_i32_e32 v35, 31, v34
	;; [unrolled: 1-line block ×22, first 2 shown]
	v_add_u32_e32 v20, s65, v88
	v_add_u32_e32 v12, s68, v88
	;; [unrolled: 1-line block ×3, first 2 shown]
	global_load_dword v94, v[32:33], off
	v_lshl_add_u64 v[32:33], v[82:83], 2, v[2:3]
	v_lshl_add_u64 v[34:35], v[34:35], 2, v[2:3]
	;; [unrolled: 1-line block ×3, first 2 shown]
	v_ashrrev_i32_e32 v79, 31, v78
	v_lshl_add_u64 v[44:45], v[44:45], 2, v[2:3]
	v_lshl_add_u64 v[46:47], v[46:47], 2, v[2:3]
	;; [unrolled: 1-line block ×15, first 2 shown]
	v_ashrrev_i32_e32 v51, 31, v50
	v_lshl_add_u64 v[48:49], v[48:49], 2, v[2:3]
	v_ashrrev_i32_e32 v43, 31, v42
	v_lshl_add_u64 v[40:41], v[40:41], 2, v[2:3]
	v_lshl_add_u64 v[36:37], v[36:37], 2, v[2:3]
	;; [unrolled: 1-line block ×3, first 2 shown]
	v_ashrrev_i32_e32 v27, 31, v26
	v_ashrrev_i32_e32 v31, 31, v30
	;; [unrolled: 1-line block ×5, first 2 shown]
	v_add_u32_e32 v14, s70, v88
	v_add_u32_e32 v28, s71, v88
	global_load_dword v82, v[32:33], off
	global_load_dword v92, v[34:35], off
	s_nop 0
	global_load_dword v80, v[80:81], off
	v_lshl_add_u64 v[96:97], v[78:79], 2, v[2:3]
	global_load_dword v79, v[44:45], off
	global_load_dword v78, v[96:97], off
	global_load_dword v81, v[46:47], off
	s_nop 0
	global_load_dword v76, v[76:77], off
	s_nop 0
	global_load_dword v91, v[58:59], off
	global_load_dword v77, v[74:75], off
	;; [unrolled: 1-line block ×3, first 2 shown]
	s_nop 0
	global_load_dword v75, v[72:73], off
	global_load_dword v83, v[66:67], off
	s_nop 0
	global_load_dword v71, v[70:71], off
	s_nop 0
	global_load_dword v74, v[62:63], off
	global_load_dword v1, v[68:69], off
	;; [unrolled: 1-line block ×3, first 2 shown]
	s_nop 0
	global_load_dword v64, v[64:65], off
	s_nop 0
	global_load_dword v65, v[52:53], off
	global_load_dword v68, v[56:57], off
	v_lshl_add_u64 v[56:57], v[50:51], 2, v[2:3]
	global_load_dword v50, v[48:49], off
	global_load_dword v51, v[56:57], off
	v_lshl_add_u64 v[42:43], v[42:43], 2, v[2:3]
	global_load_dword v69, v[40:41], off
	global_load_dword v70, v[42:43], off
	global_load_dword v72, v[36:37], off
	global_load_dword v73, v[38:39], off
	v_lshl_add_u64 v[26:27], v[26:27], 2, v[2:3]
	v_lshl_add_u64 v[38:39], v[30:31], 2, v[2:3]
	v_ashrrev_i32_e32 v21, 31, v20
	v_lshl_add_u64 v[16:17], v[16:17], 2, v[2:3]
	v_lshl_add_u64 v[10:11], v[10:11], 2, v[2:3]
	;; [unrolled: 1-line block ×3, first 2 shown]
	v_ashrrev_i32_e32 v13, 31, v12
	v_ashrrev_i32_e32 v25, 31, v24
	v_add_u32_e32 v18, s72, v88
	v_add_u32_e32 v32, s73, v88
	global_load_dword v30, v[26:27], off
	global_load_dword v31, v[38:39], off
	v_lshl_add_u64 v[38:39], v[20:21], 2, v[2:3]
	global_load_dword v20, v[16:17], off
	global_load_dword v21, v[38:39], off
	;; [unrolled: 1-line block ×4, first 2 shown]
	v_lshl_add_u64 v[12:13], v[12:13], 2, v[2:3]
	v_lshl_add_u64 v[22:23], v[24:25], 2, v[2:3]
	v_ashrrev_i32_e32 v15, 31, v14
	v_ashrrev_i32_e32 v29, 31, v28
	v_add_u32_e32 v34, s74, v88
	v_add_u32_e32 v44, s75, v88
	global_load_dword v97, v[12:13], off
	global_load_dword v98, v[22:23], off
	v_lshl_add_u64 v[14:15], v[14:15], 2, v[2:3]
	v_lshl_add_u64 v[22:23], v[28:29], 2, v[2:3]
	v_ashrrev_i32_e32 v19, 31, v18
	v_ashrrev_i32_e32 v33, 31, v32
	v_add_u32_e32 v46, s76, v88
	v_add_u32_e32 v58, s77, v88
	global_load_dword v28, v[14:15], off
	global_load_dword v29, v[22:23], off
	;; [unrolled: 8-line block ×4, first 2 shown]
	v_lshl_add_u64 v[24:25], v[46:47], 2, v[2:3]
	v_lshl_add_u64 v[32:33], v[58:59], 2, v[2:3]
	v_ashrrev_i32_e32 v55, 31, v54
	v_ashrrev_i32_e32 v67, 31, v66
	v_add_u32_e32 v52, s82, v88
	v_add_u32_e32 v40, s84, v88
	;; [unrolled: 1-line block ×4, first 2 shown]
	global_load_dword v44, v[24:25], off
	global_load_dword v45, v[32:33], off
	v_lshl_add_u64 v[32:33], v[54:55], 2, v[2:3]
	v_lshl_add_u64 v[38:39], v[66:67], 2, v[2:3]
	v_ashrrev_i32_e32 v63, 31, v62
	v_ashrrev_i32_e32 v61, 31, v60
	v_add_u32_e32 v48, s83, v88
	v_add_u32_e32 v36, s85, v88
	;; [unrolled: 1-line block ×5, first 2 shown]
	global_load_dword v46, v[32:33], off
	global_load_dword v47, v[38:39], off
	v_lshl_add_u64 v[38:39], v[62:63], 2, v[2:3]
	v_lshl_add_u64 v[42:43], v[60:61], 2, v[2:3]
	v_ashrrev_i32_e32 v53, 31, v52
	v_ashrrev_i32_e32 v41, 31, v40
	v_ashrrev_i32_e32 v27, 31, v26
	v_ashrrev_i32_e32 v11, 31, v10
	v_add_u32_e32 v18, s91, v88
	v_add_u32_e32 v22, s92, v88
	global_load_dword v54, v[38:39], off
	global_load_dword v55, v[42:43], off
	v_ashrrev_i32_e32 v49, 31, v48
	v_lshl_add_u64 v[42:43], v[52:53], 2, v[2:3]
	v_ashrrev_i32_e32 v37, 31, v36
	v_lshl_add_u64 v[40:41], v[40:41], 2, v[2:3]
	;; [unrolled: 2-line block ×3, first 2 shown]
	v_lshl_add_u64 v[10:11], v[10:11], 2, v[2:3]
	v_ashrrev_i32_e32 v13, 31, v12
	v_ashrrev_i32_e32 v15, 31, v14
	v_add_u32_e32 v24, s93, v88
	v_add_u32_e32 v32, s94, v88
	v_lshl_add_u64 v[52:53], v[48:49], 2, v[2:3]
	global_load_dword v48, v[42:43], off
	global_load_dword v58, v[52:53], off
	v_lshl_add_u64 v[36:37], v[36:37], 2, v[2:3]
	global_load_dword v40, v[40:41], off
	s_nop 0
	global_load_dword v41, v[36:37], off
	v_lshl_add_u64 v[16:17], v[16:17], 2, v[2:3]
	global_load_dword v59, v[26:27], off
	global_load_dword v66, v[16:17], off
	;; [unrolled: 1-line block ×3, first 2 shown]
	s_nop 0
	global_load_dword v26, v[6:7], off
	v_lshl_add_u64 v[10:11], v[12:13], 2, v[2:3]
	v_lshl_add_u64 v[12:13], v[14:15], 2, v[2:3]
	v_ashrrev_i32_e32 v19, 31, v18
	v_ashrrev_i32_e32 v23, 31, v22
	v_add_u32_e32 v38, s95, v88
	v_add_u32_e32 v42, s96, v88
	global_load_dword v101, v[10:11], off
	global_load_dword v102, v[12:13], off
	s_nop 0
	global_load_dwordx2 v[10:11], v[8:9], off
	v_lshl_add_u64 v[12:13], v[18:19], 2, v[2:3]
	v_lshl_add_u64 v[14:15], v[22:23], 2, v[2:3]
	v_ashrrev_i32_e32 v25, 31, v24
	v_ashrrev_i32_e32 v33, 31, v32
	v_add_u32_e32 v36, s97, v88
	global_load_dword v103, v[12:13], off
	global_load_dword v104, v[14:15], off
	v_lshl_add_u64 v[14:15], v[24:25], 2, v[2:3]
	v_lshl_add_u64 v[18:19], v[32:33], 2, v[2:3]
	v_ashrrev_i32_e32 v39, 31, v38
	v_ashrrev_i32_e32 v43, 31, v42
	v_add_u32_e32 v16, s10, v88
	global_load_dword v105, v[14:15], off
	global_load_dword v106, v[18:19], off
	v_lshl_add_u64 v[18:19], v[38:39], 2, v[2:3]
	v_lshl_add_u64 v[22:23], v[42:43], 2, v[2:3]
	v_ashrrev_i32_e32 v37, 31, v36
	v_lshl_add_u64 v[12:13], v[8:9], 0, s[12:13]
	global_load_dword v107, v[18:19], off
	global_load_dword v108, v[22:23], off
	v_ashrrev_i32_e32 v17, 31, v16
	v_lshl_add_u64 v[22:23], v[36:37], 2, v[2:3]
	v_lshl_add_u64 v[16:17], v[16:17], 2, v[2:3]
	global_load_dword v109, v[22:23], off
	global_load_dword v110, v[16:17], off
	v_add_u32_e32 v14, s14, v88
	global_load_dwordx2 v[12:13], v[12:13], off
	v_add_u32_e32 v18, s19, v88
	v_add_u32_e32 v16, s26, v88
	;; [unrolled: 1-line block ×6, first 2 shown]
	v_ashrrev_i32_e32 v15, 31, v14
	v_ashrrev_i32_e32 v19, 31, v18
	;; [unrolled: 1-line block ×7, first 2 shown]
	s_waitcnt vmcnt(62)
	ds_write_b32 v89, v94 offset:264
	v_lshl_add_u64 v[14:15], v[14:15], 3, s[0:1]
	v_lshl_add_u64 v[18:19], v[18:19], 3, s[0:1]
	;; [unrolled: 1-line block ×9, first 2 shown]
	s_waitcnt vmcnt(12)
	ds_write_b32 v89, v26
	v_add_u32_e32 v26, s31, v88
	v_ashrrev_i32_e32 v27, 31, v26
	ds_write_b32 v89, v82 offset:528
	ds_write_b32 v89, v92 offset:792
	;; [unrolled: 1-line block ×8, first 2 shown]
	s_waitcnt vmcnt(9)
	v_cvt_f16_f32_e32 v49, v10
	v_add_u32_e32 v10, s27, v88
	v_cvt_f16_f32_e32 v52, v11
	v_ashrrev_i32_e32 v11, 31, v10
	ds_write_b32 v89, v77 offset:2640
	ds_write_b32 v89, v93 offset:2904
	;; [unrolled: 1-line block ×4, first 2 shown]
	v_lshl_add_u64 v[10:11], v[10:11], 3, s[0:1]
	v_lshl_add_u64 v[26:27], v[26:27], 3, s[0:1]
	s_waitcnt vmcnt(0)
	v_cvt_f16_f32_e32 v60, v12
	v_add_u32_e32 v12, s28, v88
	v_cvt_f16_f32_e32 v61, v13
	v_ashrrev_i32_e32 v13, 31, v12
	v_lshl_add_u64 v[12:13], v[12:13], 3, s[0:1]
	global_load_dwordx2 v[14:15], v[14:15], off
	s_nop 0
	global_load_dwordx2 v[18:19], v[18:19], off
	s_nop 0
	;; [unrolled: 2-line block ×9, first 2 shown]
	global_load_dwordx2 v[36:37], v[36:37], off
	ds_write_b32 v89, v71 offset:3696
	ds_write_b32 v89, v74 offset:3960
	s_waitcnt vmcnt(9)
	v_cvt_f16_f32_e32 v74, v14
	v_cvt_f16_f32_e32 v75, v15
	s_waitcnt vmcnt(8)
	v_cvt_f16_f32_e32 v76, v18
	s_waitcnt vmcnt(6)
	v_cvt_f16_f32_e32 v80, v10
	v_add_u32_e32 v10, s35, v88
	v_cvt_f16_f32_e32 v81, v11
	v_ashrrev_i32_e32 v11, 31, v10
	v_lshl_add_u64 v[10:11], v[10:11], 3, s[0:1]
	global_load_dwordx2 v[10:11], v[10:11], off
	v_cvt_f16_f32_e32 v77, v19
	v_cvt_f16_f32_e32 v78, v16
	v_cvt_f16_f32_e32 v79, v17
	s_waitcnt vmcnt(6)
	v_cvt_f16_f32_e32 v82, v12
	v_cvt_f16_f32_e32 v83, v13
	s_waitcnt vmcnt(5)
	v_cvt_f16_f32_e32 v91, v22
	v_cvt_f16_f32_e32 v92, v23
	;; [unrolled: 3-line block ×6, first 2 shown]
	s_waitcnt vmcnt(0)
	v_cvt_f16_f32_e32 v117, v10
	v_add_u32_e32 v10, s36, v88
	v_cvt_f16_f32_e32 v118, v11
	v_ashrrev_i32_e32 v11, 31, v10
	v_lshl_add_u64 v[10:11], v[10:11], 3, s[0:1]
	global_load_dwordx2 v[10:11], v[10:11], off
	v_add_u32_e32 v88, 0x80, v88
	v_cmp_le_i32_e32 vcc, s5, v88
	s_or_b64 s[16:17], vcc, s[16:17]
	s_waitcnt vmcnt(0)
	v_cvt_f16_f32_e32 v119, v10
	v_cvt_f16_f32_e32 v120, v11
	ds_read_b64 v[56:57], v90
	ds_read_b64 v[42:43], v90 offset:32
	ds_read_b64 v[38:39], v90 offset:64
	;; [unrolled: 1-line block ×7, first 2 shown]
	ds_write_b32 v89, v1
	ds_write_b32 v89, v4 offset:264
	ds_write_b32 v89, v64 offset:528
	;; [unrolled: 1-line block ×15, first 2 shown]
	v_pack_b32_f16 v1, v49, v52
	ds_read_b64 v[64:65], v90
	ds_read_b64 v[52:53], v90 offset:32
	ds_read_b64 v[50:51], v90 offset:64
	;; [unrolled: 1-line block ×7, first 2 shown]
	ds_write_b32 v89, v95
	ds_write_b32 v89, v97 offset:264
	ds_write_b32 v89, v98 offset:528
	;; [unrolled: 1-line block ×15, first 2 shown]
	v_pack_b32_f16 v4, v60, v61
	ds_read_b64 v[70:71], v90
	ds_read_b64 v[62:63], v90 offset:32
	ds_read_b64 v[60:61], v90 offset:64
	;; [unrolled: 1-line block ×7, first 2 shown]
	ds_write_b32 v89, v58
	ds_write_b32 v89, v40 offset:264
	ds_write_b32 v89, v41 offset:528
	;; [unrolled: 1-line block ×15, first 2 shown]
	ds_read_b64 v[72:73], v90
	ds_read_b64 v[68:69], v90 offset:32
	ds_read_b64 v[66:67], v90 offset:64
	;; [unrolled: 1-line block ×7, first 2 shown]
	ds_write_b32 v89, v1
	ds_write_b32 v89, v4 offset:264
	v_pack_b32_f16 v1, v74, v75
	v_pack_b32_f16 v4, v76, v77
	;; [unrolled: 1-line block ×12, first 2 shown]
	ds_write_b32 v89, v1 offset:528
	ds_write_b32 v89, v4 offset:792
	;; [unrolled: 1-line block ×14, first 2 shown]
	ds_read_b64 v[74:75], v90
	s_waitcnt lgkmcnt(0)
	v_mfma_f32_16x16x16_f16 a[12:15], v[56:57], v[74:75], a[12:15]
	ds_read_b64 v[56:57], v90 offset:32
	s_waitcnt lgkmcnt(0)
	v_mfma_f32_16x16x16_f16 a[12:15], v[42:43], v[56:57], a[12:15]
	ds_read_b64 v[42:43], v90 offset:64
	v_mfma_f32_16x16x16_f16 a[8:11], v[64:65], v[74:75], a[8:11]
	v_mfma_f32_16x16x16_f16 a[4:7], v[70:71], v[74:75], a[4:7]
	;; [unrolled: 1-line block ×3, first 2 shown]
	s_waitcnt lgkmcnt(0)
	v_mfma_f32_16x16x16_f16 a[12:15], v[38:39], v[42:43], a[12:15]
	ds_read_b64 v[38:39], v90 offset:96
	v_mfma_f32_16x16x16_f16 a[8:11], v[52:53], v[56:57], a[8:11]
	v_mfma_f32_16x16x16_f16 a[4:7], v[62:63], v[56:57], a[4:7]
	;; [unrolled: 1-line block ×6, first 2 shown]
	s_waitcnt lgkmcnt(0)
	v_mfma_f32_16x16x16_f16 a[12:15], v[26:27], v[38:39], a[12:15]
	ds_read_b64 v[26:27], v90 offset:128
	v_mfma_f32_16x16x16_f16 a[8:11], v[36:37], v[38:39], a[8:11]
	v_mfma_f32_16x16x16_f16 a[4:7], v[48:49], v[38:39], a[4:7]
	v_mfma_f32_16x16x16_f16 a[0:3], v[58:59], v[38:39], a[0:3]
	s_waitcnt lgkmcnt(0)
	v_mfma_f32_16x16x16_f16 a[12:15], v[22:23], v[26:27], a[12:15]
	ds_read_b64 v[22:23], v90 offset:160
	v_mfma_f32_16x16x16_f16 a[8:11], v[32:33], v[26:27], a[8:11]
	v_mfma_f32_16x16x16_f16 a[4:7], v[46:47], v[26:27], a[4:7]
	v_mfma_f32_16x16x16_f16 a[0:3], v[54:55], v[26:27], a[0:3]
	;; [unrolled: 6-line block ×4, first 2 shown]
	s_waitcnt lgkmcnt(0)
	v_mfma_f32_16x16x16_f16 a[12:15], v[10:11], v[12:13], a[12:15]
	v_mfma_f32_16x16x16_f16 a[8:11], v[14:15], v[12:13], a[8:11]
	v_mfma_f32_16x16x16_f16 a[4:7], v[20:21], v[12:13], a[4:7]
	v_mfma_f32_16x16x16_f16 a[0:3], v[28:29], v[12:13], a[0:3]
	s_andn2_b64 exec, exec, s[16:17]
	s_cbranch_execnz .LBB104_4
; %bb.5:
	s_or_b64 exec, exec, s[16:17]
.LBB104_6:
	s_or_b64 exec, exec, s[24:25]
	v_mul_u32_u24_e32 v1, 0x208, v87
	v_lshlrev_b32_e32 v2, 2, v86
	v_or_b32_e32 v3, 12, v84
	v_add3_u32 v1, 0, v1, v2
	v_and_b32_e32 v2, 0x3f0, v84
	v_and_b32_e32 v3, 0x3fc, v3
	v_add_u32_e32 v2, v1, v2
	v_add_u32_e32 v1, v1, v3
	s_waitcnt lgkmcnt(0)
	s_barrier
	ds_write2_b32 v2, a12, a13 offset1:1
	ds_write_b32 v2, a14 offset:8
	ds_write_b32 v1, a15
	ds_write2_b32 v2, a8, a9 offset0:16 offset1:17
	ds_write_b32 v2, a10 offset:72
	ds_write_b32 v1, a11 offset:64
	ds_write2_b32 v2, a4, a5 offset0:32 offset1:33
	ds_write_b32 v2, a6 offset:136
	ds_write_b32 v1, a7 offset:128
	;; [unrolled: 3-line block ×3, first 2 shown]
	v_mul_u32_u24_e32 v1, 0x208, v85
	v_add3_u32 v6, 0, v0, v1
	s_waitcnt lgkmcnt(0)
	s_barrier
	ds_read2st64_b32 v[0:1], v6 offset1:1
	s_mul_hi_i32 s1, s15, s4
	s_mul_i32 s0, s15, s4
	s_lshl_b64 s[0:1], s[0:1], 2
	s_add_u32 s4, s6, s0
	s_waitcnt lgkmcnt(0)
	v_add_f32_e32 v0, 0, v0
	v_add_f32_e32 v7, v0, v1
	v_add_u32_e32 v0, 16, v6
	s_mul_i32 s0, s3, s11
	ds_read2st64_b32 v[0:1], v0 offset0:4 offset1:5
	s_addc_u32 s5, s7, s1
	s_ashr_i32 s1, s0, 31
	s_lshl_b64 s[0:1], s[0:1], 2
	s_add_u32 s0, s4, s0
	v_mul_lo_u32 v2, v85, s18
	s_addc_u32 s1, s5, s1
	v_add3_u32 v2, s2, v84, v2
	v_mov_b32_e32 v3, 0
	v_lshl_add_u64 v[4:5], v[2:3], 2, s[0:1]
	s_waitcnt lgkmcnt(0)
	v_add_f32_e32 v0, 0, v0
	global_store_dword v[4:5], v7, off
	v_add_f32_e32 v7, v0, v1
	v_add_u32_e32 v0, 32, v6
	ds_read2st64_b32 v[0:1], v0 offset0:8 offset1:9
	s_lshl_b32 s2, s18, 1
	v_add_u32_e32 v2, s2, v2
	v_lshl_add_u64 v[4:5], v[2:3], 2, s[0:1]
	v_add_u32_e32 v2, s2, v2
	s_waitcnt lgkmcnt(0)
	v_add_f32_e32 v0, 0, v0
	global_store_dword v[4:5], v7, off
	v_add_u32_e32 v4, 48, v6
	v_add_f32_e32 v7, v0, v1
	v_lshl_add_u64 v[0:1], v[2:3], 2, s[0:1]
	ds_read2st64_b32 v[4:5], v4 offset0:12 offset1:13
	global_store_dword v[0:1], v7, off
	v_add_u32_e32 v0, 64, v6
	ds_read2st64_b32 v[0:1], v0 offset0:16 offset1:17
	v_add_u32_e32 v2, s2, v2
	s_waitcnt lgkmcnt(1)
	v_add_f32_e32 v4, 0, v4
	v_add_f32_e32 v7, v4, v5
	v_lshl_add_u64 v[4:5], v[2:3], 2, s[0:1]
	s_waitcnt lgkmcnt(0)
	v_add_f32_e32 v0, 0, v0
	v_add_u32_e32 v2, s2, v2
	global_store_dword v[4:5], v7, off
	v_add_u32_e32 v4, 0x50, v6
	v_add_f32_e32 v7, v0, v1
	v_lshl_add_u64 v[0:1], v[2:3], 2, s[0:1]
	ds_read2st64_b32 v[4:5], v4 offset0:20 offset1:21
	global_store_dword v[0:1], v7, off
	v_add_u32_e32 v0, 0x60, v6
	ds_read2st64_b32 v[0:1], v0 offset0:24 offset1:25
	v_add_u32_e32 v2, s2, v2
	s_waitcnt lgkmcnt(1)
	v_add_f32_e32 v4, 0, v4
	v_add_f32_e32 v6, v4, v5
	v_lshl_add_u64 v[4:5], v[2:3], 2, s[0:1]
	s_waitcnt lgkmcnt(0)
	v_add_f32_e32 v0, 0, v0
	v_add_u32_e32 v2, s2, v2
	global_store_dword v[4:5], v6, off
	v_add_f32_e32 v4, v0, v1
	v_lshl_add_u64 v[0:1], v[2:3], 2, s[0:1]
	global_store_dword v[0:1], v4, off
	s_endpgm
	.section	.rodata,"a",@progbits
	.p2align	6, 0x0
	.amdhsa_kernel _ZL9mul_mat_fI7__half2Li64ELi14ELi2ELb0EEvPKT_PKfPKiPfiiiiiiiiiiiiiiii
		.amdhsa_group_segment_fixed_size 0
		.amdhsa_private_segment_fixed_size 0
		.amdhsa_kernarg_size 96
		.amdhsa_user_sgpr_count 2
		.amdhsa_user_sgpr_dispatch_ptr 0
		.amdhsa_user_sgpr_queue_ptr 0
		.amdhsa_user_sgpr_kernarg_segment_ptr 1
		.amdhsa_user_sgpr_dispatch_id 0
		.amdhsa_user_sgpr_kernarg_preload_length 0
		.amdhsa_user_sgpr_kernarg_preload_offset 0
		.amdhsa_user_sgpr_private_segment_size 0
		.amdhsa_uses_dynamic_stack 0
		.amdhsa_enable_private_segment 0
		.amdhsa_system_sgpr_workgroup_id_x 1
		.amdhsa_system_sgpr_workgroup_id_y 1
		.amdhsa_system_sgpr_workgroup_id_z 1
		.amdhsa_system_sgpr_workgroup_info 0
		.amdhsa_system_vgpr_workitem_id 1
		.amdhsa_next_free_vgpr 140
		.amdhsa_next_free_sgpr 98
		.amdhsa_accum_offset 124
		.amdhsa_reserve_vcc 1
		.amdhsa_float_round_mode_32 0
		.amdhsa_float_round_mode_16_64 0
		.amdhsa_float_denorm_mode_32 3
		.amdhsa_float_denorm_mode_16_64 3
		.amdhsa_dx10_clamp 1
		.amdhsa_ieee_mode 1
		.amdhsa_fp16_overflow 0
		.amdhsa_tg_split 0
		.amdhsa_exception_fp_ieee_invalid_op 0
		.amdhsa_exception_fp_denorm_src 0
		.amdhsa_exception_fp_ieee_div_zero 0
		.amdhsa_exception_fp_ieee_overflow 0
		.amdhsa_exception_fp_ieee_underflow 0
		.amdhsa_exception_fp_ieee_inexact 0
		.amdhsa_exception_int_div_zero 0
	.end_amdhsa_kernel
	.section	.text._ZL9mul_mat_fI7__half2Li64ELi14ELi2ELb0EEvPKT_PKfPKiPfiiiiiiiiiiiiiiii,"axG",@progbits,_ZL9mul_mat_fI7__half2Li64ELi14ELi2ELb0EEvPKT_PKfPKiPfiiiiiiiiiiiiiiii,comdat
.Lfunc_end104:
	.size	_ZL9mul_mat_fI7__half2Li64ELi14ELi2ELb0EEvPKT_PKfPKiPfiiiiiiiiiiiiiiii, .Lfunc_end104-_ZL9mul_mat_fI7__half2Li64ELi14ELi2ELb0EEvPKT_PKfPKiPfiiiiiiiiiiiiiiii
                                        ; -- End function
	.section	.AMDGPU.csdata,"",@progbits
; Kernel info:
; codeLenInByte = 5240
; NumSgprs: 104
; NumVgprs: 121
; NumAgprs: 16
; TotalNumVgprs: 140
; ScratchSize: 0
; MemoryBound: 0
; FloatMode: 240
; IeeeMode: 1
; LDSByteSize: 0 bytes/workgroup (compile time only)
; SGPRBlocks: 12
; VGPRBlocks: 17
; NumSGPRsForWavesPerEU: 104
; NumVGPRsForWavesPerEU: 140
; AccumOffset: 124
; Occupancy: 3
; WaveLimiterHint : 0
; COMPUTE_PGM_RSRC2:SCRATCH_EN: 0
; COMPUTE_PGM_RSRC2:USER_SGPR: 2
; COMPUTE_PGM_RSRC2:TRAP_HANDLER: 0
; COMPUTE_PGM_RSRC2:TGID_X_EN: 1
; COMPUTE_PGM_RSRC2:TGID_Y_EN: 1
; COMPUTE_PGM_RSRC2:TGID_Z_EN: 1
; COMPUTE_PGM_RSRC2:TIDIG_COMP_CNT: 1
; COMPUTE_PGM_RSRC3_GFX90A:ACCUM_OFFSET: 30
; COMPUTE_PGM_RSRC3_GFX90A:TG_SPLIT: 0
	.section	.text._ZL13mul_mat_f_idsI7__half2Li64ELi14ELi3EEvPKT_PKfPKiS7_S7_Pfiiiiiiiiiiiiii15HIP_vector_typeIjLj3EESA_,"axG",@progbits,_ZL13mul_mat_f_idsI7__half2Li64ELi14ELi3EEvPKT_PKfPKiS7_S7_Pfiiiiiiiiiiiiii15HIP_vector_typeIjLj3EESA_,comdat
	.globl	_ZL13mul_mat_f_idsI7__half2Li64ELi14ELi3EEvPKT_PKfPKiS7_S7_Pfiiiiiiiiiiiiii15HIP_vector_typeIjLj3EESA_ ; -- Begin function _ZL13mul_mat_f_idsI7__half2Li64ELi14ELi3EEvPKT_PKfPKiS7_S7_Pfiiiiiiiiiiiiii15HIP_vector_typeIjLj3EESA_
	.p2align	8
	.type	_ZL13mul_mat_f_idsI7__half2Li64ELi14ELi3EEvPKT_PKfPKiS7_S7_Pfiiiiiiiiiiiiii15HIP_vector_typeIjLj3EESA_,@function
_ZL13mul_mat_f_idsI7__half2Li64ELi14ELi3EEvPKT_PKfPKiS7_S7_Pfiiiiiiiiiiiiii15HIP_vector_typeIjLj3EESA_: ; @_ZL13mul_mat_f_idsI7__half2Li64ELi14ELi3EEvPKT_PKfPKiS7_S7_Pfiiiiiiiiiiiiii15HIP_vector_typeIjLj3EESA_
; %bb.0:
	s_load_dwordx2 s[6:7], s[0:1], 0x20
	s_mov_b32 s34, s3
	s_ashr_i32 s35, s3, 31
	s_lshl_b64 s[8:9], s[34:35], 2
	s_waitcnt lgkmcnt(0)
	s_add_u32 s6, s6, s8
	s_addc_u32 s7, s7, s9
	s_load_dwordx2 s[26:27], s[6:7], 0x0
	s_waitcnt lgkmcnt(0)
	s_sub_i32 s33, s27, s26
	s_add_i32 s3, s33, 13
	s_mul_hi_i32 s5, s3, 0x92492493
	s_add_i32 s5, s5, s3
	s_lshr_b32 s3, s5, 31
	s_ashr_i32 s5, s5, 3
	s_add_i32 s5, s5, s3
	s_cmp_ge_i32 s4, s5
	s_cbranch_scc1 .LBB105_65
; %bb.1:
	v_bfe_u32 v2, v0, 10, 10
	v_lshlrev_b32_e32 v98, 6, v2
	v_and_b32_e32 v3, 0x3ff, v0
	s_load_dwordx4 s[12:15], s[0:1], 0x30
	s_load_dwordx2 s[20:21], s[0:1], 0x40
	s_load_dwordx4 s[8:11], s[0:1], 0x4c
	s_load_dwordx4 s[16:19], s[0:1], 0x68
	s_load_dwordx2 s[24:25], s[0:1], 0x78
	v_add_u32_e32 v100, v98, v3
	s_ashr_i32 s27, s26, 31
	s_waitcnt lgkmcnt(0)
	v_cmp_le_i32_e32 vcc, s12, v100
	v_and_b32_e32 v99, 15, v3
                                        ; implicit-def: $sgpr3
	s_and_saveexec_b64 s[6:7], vcc
	s_xor_b64 s[6:7], exec, s[6:7]
; %bb.2:
	v_and_b32_e32 v99, 15, v3
	s_mov_b32 s3, 0
                                        ; implicit-def: $vgpr100
; %bb.3:
	s_or_saveexec_b64 s[28:29], s[6:7]
	s_load_dwordx2 s[22:23], s[0:1], 0x18
	s_load_dwordx2 s[6:7], s[0:1], 0x28
                                        ; implicit-def: $vgpr103 : SGPR spill to VGPR lane
	s_lshl_b32 s11, s2, 6
	s_mul_i32 s2, s4, 14
	v_accvgpr_write_b32 a0, s3
	v_accvgpr_write_b32 a1, s3
	s_waitcnt lgkmcnt(0)
	v_writelane_b32 v103, s6, 0
	v_accvgpr_write_b32 a2, s3
	v_accvgpr_write_b32 a3, s3
	;; [unrolled: 1-line block ×14, first 2 shown]
	v_writelane_b32 v103, s7, 1
	s_xor_b64 exec, exec, s[28:29]
	s_cbranch_execz .LBB105_49
; %bb.4:
	v_writelane_b32 v103, s28, 2
	s_movk_i32 s3, 0x1080
	v_mad_u32_u24 v0, v2, s3, 0
	v_writelane_b32 v103, s29, 3
	v_writelane_b32 v103, s22, 4
	v_lshrrev_b32_e32 v6, 1, v3
	v_lshlrev_b32_e32 v4, 2, v3
	v_writelane_b32 v103, s23, 5
	v_writelane_b32 v103, s24, 6
	s_load_dwordx4 s[4:7], s[0:1], 0x0
	s_load_dwordx2 s[22:23], s[0:1], 0x10
	v_writelane_b32 v103, s25, 7
	s_mul_i32 s0, s34, s8
	s_mul_i32 s24, s11, s15
	s_ashr_i32 s1, s0, 31
	s_ashr_i32 s25, s24, 31
	s_lshl_b64 s[24:25], s[24:25], 2
	s_lshl_b64 s[0:1], s[0:1], 2
	s_add_u32 s24, s0, s24
	v_writelane_b32 v103, s11, 8
	s_addc_u32 s25, s1, s25
	s_waitcnt lgkmcnt(0)
	s_add_u32 s0, s24, s4
	v_writelane_b32 v103, s26, 9
	s_addc_u32 s1, s25, s5
	v_mul_u32_u24_e32 v5, 0x108, v99
	v_writelane_b32 v103, s27, 10
	s_lshl_b64 s[26:27], s[26:27], 2
	s_add_u32 s8, s22, s26
	s_addc_u32 s11, s23, s27
	s_cmp_lt_i32 s2, s33
	s_cselect_b64 s[34:35], -1, 0
	s_ashr_i32 s3, s2, 31
	s_lshl_b64 s[22:23], s[2:3], 2
	s_add_u32 s36, s8, s22
	s_addc_u32 s37, s11, s23
	s_or_b32 s3, s2, 1
	s_cmp_lt_i32 s3, s33
	s_cselect_b64 s[38:39], -1, 0
	s_add_i32 s3, s2, 2
	s_cmp_lt_i32 s3, s33
	s_cselect_b64 s[40:41], -1, 0
	s_add_i32 s3, s2, 3
	s_cmp_lt_i32 s3, s33
	v_and_b32_e32 v6, 0x1f8, v6
	s_cselect_b64 s[42:43], -1, 0
	s_add_i32 s3, s2, 4
	v_mov_b32_e32 v1, 0
	v_add_u32_e32 v101, v0, v4
	v_add3_u32 v102, v0, v5, v6
	s_cmp_lt_i32 s3, s33
	v_lshlrev_b32_e32 v0, 8, v2
	s_cselect_b64 s[44:45], -1, 0
	s_add_i32 s3, s2, 5
	v_lshl_add_u64 v[6:7], s[24:25], 0, v[0:1]
	v_mov_b32_e32 v5, v1
	s_cmp_lt_i32 s3, s33
	v_lshl_add_u64 v[4:5], v[6:7], 0, v[4:5]
	s_cselect_b64 s[46:47], -1, 0
	s_add_i32 s3, s2, 6
	v_lshl_add_u64 v[4:5], s[4:5], 0, v[4:5]
	s_mul_i32 s4, s15, 3
	s_cmp_lt_i32 s3, s33
	v_writelane_b32 v103, s4, 11
	s_mul_i32 s4, s15, 5
	s_cselect_b64 s[48:49], -1, 0
	s_add_i32 s3, s2, 7
	v_writelane_b32 v103, s4, 12
	s_mul_i32 s4, s15, 6
	s_cmp_lt_i32 s3, s33
	v_writelane_b32 v103, s4, 13
	s_mul_i32 s4, s15, 7
	s_cselect_b64 s[50:51], -1, 0
	s_add_i32 s3, s2, 8
	v_writelane_b32 v103, s4, 14
	;; [unrolled: 7-line block ×7, first 2 shown]
	s_mul_i32 s4, s15, 20
	s_cmp_lt_i32 s3, s33
	v_writelane_b32 v103, s4, 25
	s_mul_i32 s4, s15, 21
	s_cselect_b64 s[62:63], -1, 0
	s_ashr_i32 s23, s15, 31
	s_mov_b32 s22, s15
	v_writelane_b32 v103, s4, 26
	s_mul_i32 s4, s15, 22
	s_lshl_b64 s[64:65], s[22:23], 2
	s_lshl_b32 s3, s15, 1
	s_lshl_b32 s68, s15, 2
	;; [unrolled: 1-line block ×4, first 2 shown]
	v_writelane_b32 v103, s4, 27
	s_mul_i32 s87, s15, 23
	s_mul_i32 s88, s15, 24
	;; [unrolled: 1-line block ×5, first 2 shown]
	v_accvgpr_write_b32 a15, 0
	v_accvgpr_write_b32 a14, 0
	;; [unrolled: 1-line block ×16, first 2 shown]
	s_mul_i32 s92, s15, 28
	s_mul_i32 s93, s15, 29
	;; [unrolled: 1-line block ×4, first 2 shown]
	s_lshl_b32 s96, s15, 5
	s_mul_i32 s97, s15, 33
	s_mul_i32 s98, s15, 34
	s_mul_i32 s99, s15, 35
	s_mul_i32 s24, s15, 36
	s_mul_i32 s25, s15, 37
	s_mul_i32 s28, s15, 38
	s_mul_i32 s29, s15, 39
	s_mul_i32 s22, s15, 40
	s_mul_i32 s23, s15, 41
	s_mul_i32 s11, s15, 42
	s_mul_i32 s30, s15, 43
	s_mul_i32 s31, s15, 44
	s_mul_i32 s26, s15, 45
	s_mul_i32 s27, s15, 46
	s_mul_i32 s8, s15, 47
	s_mul_i32 s69, s15, 48
	s_mul_i32 s70, s15, 49
	s_mul_i32 s71, s15, 50
	s_mul_i32 s73, s15, 51
	s_mul_i32 s74, s15, 52
	s_mul_i32 s75, s15, 53
	s_mul_i32 s76, s15, 54
	s_mul_i32 s77, s15, 55
	s_mul_i32 s78, s15, 56
	s_mul_i32 s79, s15, 57
	s_mul_i32 s81, s15, 58
	s_mul_i32 s82, s15, 59
	s_mul_i32 s83, s15, 60
	s_mul_i32 s84, s15, 61
	s_mul_i32 s85, s15, 62
	s_mul_i32 s15, s15, 63
	s_mov_b64 s[4:5], 0
	s_mov_b64 s[66:67], 0x300
	s_branch .LBB105_6
.LBB105_5:                              ;   in Loop: Header=BB105_6 Depth=1
	s_waitcnt vmcnt(0)
	v_cvt_f16_f32_e32 v0, v70
	v_cvt_f16_f32_e32 v70, v71
	;; [unrolled: 1-line block ×6, first 2 shown]
	v_pack_b32_f16 v0, v0, v70
	v_pack_b32_f16 v70, v71, v74
	ds_write2_b32 v101, v0, v70 offset1:66
	v_cvt_f16_f32_e32 v70, v78
	v_cvt_f16_f32_e32 v71, v79
	v_pack_b32_f16 v0, v72, v73
	v_cvt_f16_f32_e32 v72, v76
	v_cvt_f16_f32_e32 v73, v77
	;; [unrolled: 1-line block ×4, first 2 shown]
	v_pack_b32_f16 v70, v70, v71
	ds_write2_b32 v101, v0, v70 offset0:132 offset1:198
	v_pack_b32_f16 v0, v72, v73
	v_cvt_f16_f32_e32 v71, v80
	v_cvt_f16_f32_e32 v72, v81
	v_pack_b32_f16 v70, v74, v75
	v_cvt_f16_f32_e32 v73, v86
	v_cvt_f16_f32_e32 v74, v87
	v_add_u32_e32 v75, 0x400, v101
	ds_write2_b32 v75, v0, v70 offset0:8 offset1:74
	v_pack_b32_f16 v0, v71, v72
	v_cvt_f16_f32_e32 v71, v84
	v_cvt_f16_f32_e32 v72, v85
	v_pack_b32_f16 v70, v73, v74
	ds_write2_b32 v75, v0, v70 offset0:140 offset1:206
	v_cvt_f16_f32_e32 v0, v90
	v_cvt_f16_f32_e32 v70, v91
	v_pack_b32_f16 v71, v71, v72
	v_cvt_f16_f32_e32 v72, v88
	v_cvt_f16_f32_e32 v73, v89
	v_pack_b32_f16 v0, v0, v70
	v_add_u32_e32 v70, 0x800, v101
	ds_write2_b32 v70, v71, v0 offset0:16 offset1:82
	v_pack_b32_f16 v0, v72, v73
	v_cvt_f16_f32_e32 v71, v94
	v_cvt_f16_f32_e32 v72, v95
	;; [unrolled: 1-line block ×6, first 2 shown]
	v_pack_b32_f16 v71, v71, v72
	ds_write2_b32 v70, v0, v71 offset0:148 offset1:214
	v_pack_b32_f16 v0, v73, v74
	v_pack_b32_f16 v70, v75, v76
	v_add_u32_e32 v71, 0xc00, v101
	ds_write2_b32 v71, v0, v70 offset0:24 offset1:90
	ds_write2_b32 v71, v1, v1 offset0:156 offset1:222
	ds_read2_b64 v[70:73], v102 offset1:4
	s_waitcnt lgkmcnt(0)
	v_mfma_f32_16x16x16_f16 a[0:3], v[12:13], v[70:71], a[0:3]
	v_add_u32_e32 v100, 0xc0, v100
	v_cmp_le_i32_e32 vcc, s12, v100
	v_lshl_add_u64 v[4:5], v[4:5], 0, s[66:67]
	v_mfma_f32_16x16x16_f16 a[4:7], v[38:39], v[70:71], a[4:7]
	s_or_b64 s[4:5], vcc, s[4:5]
	v_mfma_f32_16x16x16_f16 a[8:11], v[52:53], v[70:71], a[8:11]
	v_mfma_f32_16x16x16_f16 a[12:15], v[68:69], v[70:71], a[12:15]
	;; [unrolled: 1-line block ×3, first 2 shown]
	ds_read2_b64 v[10:13], v102 offset0:8 offset1:12
	v_mfma_f32_16x16x16_f16 a[4:7], v[34:35], v[72:73], a[4:7]
	v_mfma_f32_16x16x16_f16 a[8:11], v[50:51], v[72:73], a[8:11]
	;; [unrolled: 1-line block ×3, first 2 shown]
	s_waitcnt lgkmcnt(0)
	v_mfma_f32_16x16x16_f16 a[0:3], v[8:9], v[10:11], a[0:3]
	v_mfma_f32_16x16x16_f16 a[4:7], v[32:33], v[10:11], a[4:7]
	;; [unrolled: 1-line block ×5, first 2 shown]
	ds_read2_b64 v[6:9], v102 offset0:16 offset1:20
	v_mfma_f32_16x16x16_f16 a[4:7], v[30:31], v[12:13], a[4:7]
	v_mfma_f32_16x16x16_f16 a[8:11], v[46:47], v[12:13], a[8:11]
	v_mfma_f32_16x16x16_f16 a[12:15], v[58:59], v[12:13], a[12:15]
	s_waitcnt lgkmcnt(0)
	v_mfma_f32_16x16x16_f16 a[0:3], v[20:21], v[6:7], a[0:3]
	v_mfma_f32_16x16x16_f16 a[4:7], v[28:29], v[6:7], a[4:7]
	;; [unrolled: 1-line block ×8, first 2 shown]
	ds_read2_b64 v[6:9], v102 offset0:24 offset1:28
	s_waitcnt lgkmcnt(0)
	v_mfma_f32_16x16x16_f16 a[0:3], v[16:17], v[6:7], a[0:3]
	v_mfma_f32_16x16x16_f16 a[4:7], v[24:25], v[6:7], a[4:7]
	;; [unrolled: 1-line block ×8, first 2 shown]
	s_andn2_b64 exec, exec, s[4:5]
	s_cbranch_execz .LBB105_48
.LBB105_6:                              ; =>This Inner Loop Header: Depth=1
	v_readlane_b32 s86, v103, 11
	v_lshl_add_u64 v[6:7], v[4:5], 0, s[64:65]
	global_load_dword v0, v[4:5], off
	global_load_dword v22, v[6:7], off
	v_add_u32_e32 v8, s86, v100
	v_readlane_b32 s86, v103, 12
	v_add_u32_e32 v6, s3, v100
	v_add_u32_e32 v18, s72, v100
	;; [unrolled: 1-line block ×3, first 2 shown]
	v_readlane_b32 s86, v103, 13
	v_ashrrev_i32_e32 v7, 31, v6
	v_add_u32_e32 v10, s68, v100
	v_add_u32_e32 v14, s86, v100
	v_readlane_b32 s86, v103, 14
	v_ashrrev_i32_e32 v19, 31, v18
	v_lshl_add_u64 v[6:7], v[6:7], 2, s[0:1]
	v_add_u32_e32 v16, s86, v100
	v_readlane_b32 s86, v103, 15
	v_ashrrev_i32_e32 v9, 31, v8
	v_ashrrev_i32_e32 v11, 31, v10
	v_add_u32_e32 v20, s86, v100
	v_ashrrev_i32_e32 v13, 31, v12
	v_ashrrev_i32_e32 v15, 31, v14
	;; [unrolled: 1-line block ×3, first 2 shown]
	v_lshl_add_u64 v[18:19], v[18:19], 2, s[0:1]
	v_ashrrev_i32_e32 v21, 31, v20
	v_readlane_b32 s86, v103, 16
	v_lshl_add_u64 v[8:9], v[8:9], 2, s[0:1]
	v_lshl_add_u64 v[10:11], v[10:11], 2, s[0:1]
	;; [unrolled: 1-line block ×6, first 2 shown]
	global_load_dword v23, v[6:7], off
	global_load_dword v24, v[8:9], off
	;; [unrolled: 1-line block ×6, first 2 shown]
	s_nop 0
	global_load_dword v18, v[18:19], off
	s_nop 0
	global_load_dword v19, v[20:21], off
	v_add_u32_e32 v6, s86, v100
	v_readlane_b32 s86, v103, 17
	v_ashrrev_i32_e32 v7, 31, v6
	v_lshl_add_u64 v[6:7], v[6:7], 2, s[0:1]
	v_add_u32_e32 v8, s86, v100
	v_readlane_b32 s86, v103, 18
	v_ashrrev_i32_e32 v9, 31, v8
	v_lshl_add_u64 v[8:9], v[8:9], 2, s[0:1]
	;; [unrolled: 4-line block ×5, first 2 shown]
	v_add_u32_e32 v16, s86, v100
	v_ashrrev_i32_e32 v17, 31, v16
	v_lshl_add_u64 v[16:17], v[16:17], 2, s[0:1]
	global_load_dword v20, v[6:7], off
	global_load_dword v21, v[8:9], off
	s_nop 0
	global_load_dword v10, v[10:11], off
	s_nop 0
	;; [unrolled: 2-line block ×3, first 2 shown]
	global_load_dword v12, v[14:15], off
	global_load_dword v13, v[16:17], off
	v_readlane_b32 s86, v103, 22
	v_add_u32_e32 v6, s80, v100
	v_ashrrev_i32_e32 v7, 31, v6
	v_add_u32_e32 v8, s86, v100
	v_readlane_b32 s86, v103, 23
	v_ashrrev_i32_e32 v9, 31, v8
	v_lshl_add_u64 v[6:7], v[6:7], 2, s[0:1]
	v_add_u32_e32 v14, s86, v100
	v_readlane_b32 s86, v103, 24
	v_lshl_add_u64 v[8:9], v[8:9], 2, s[0:1]
	global_load_dword v30, v[6:7], off
	global_load_dword v31, v[8:9], off
	v_add_u32_e32 v16, s86, v100
	v_readlane_b32 s86, v103, 25
	v_ashrrev_i32_e32 v15, 31, v14
	v_lshl_add_u64 v[14:15], v[14:15], 2, s[0:1]
	v_ashrrev_i32_e32 v17, 31, v16
	v_lshl_add_u64 v[16:17], v[16:17], 2, s[0:1]
	s_andn2_b64 vcc, exec, s[34:35]
	s_waitcnt vmcnt(17)
	ds_write_b32 v101, v0
	s_waitcnt vmcnt(16)
	ds_write_b32 v101, v22 offset:264
	s_waitcnt vmcnt(15)
	ds_write_b32 v101, v23 offset:528
	;; [unrolled: 2-line block ×15, first 2 shown]
	v_add_u32_e32 v18, s86, v100
	v_readlane_b32 s86, v103, 26
	v_add_u32_e32 v24, s87, v100
	v_add_u32_e32 v26, s88, v100
	;; [unrolled: 1-line block ×3, first 2 shown]
	v_readlane_b32 s86, v103, 27
	v_add_u32_e32 v28, s89, v100
	v_ashrrev_i32_e32 v19, 31, v18
	v_add_u32_e32 v22, s86, v100
	v_ashrrev_i32_e32 v21, 31, v20
	v_ashrrev_i32_e32 v23, 31, v22
	;; [unrolled: 1-line block ×5, first 2 shown]
	ds_read_b64 v[12:13], v102
	ds_read_b64 v[10:11], v102 offset:32
	ds_read_b64 v[8:9], v102 offset:64
	;; [unrolled: 1-line block ×3, first 2 shown]
	v_lshl_add_u64 v[18:19], v[18:19], 2, s[0:1]
	v_lshl_add_u64 v[20:21], v[20:21], 2, s[0:1]
	v_lshl_add_u64 v[22:23], v[22:23], 2, s[0:1]
	v_lshl_add_u64 v[24:25], v[24:25], 2, s[0:1]
	v_lshl_add_u64 v[26:27], v[26:27], 2, s[0:1]
	v_lshl_add_u64 v[28:29], v[28:29], 2, s[0:1]
	global_load_dword v0, v[14:15], off
	global_load_dword v32, v[16:17], off
	global_load_dword v33, v[18:19], off
	global_load_dword v34, v[20:21], off
	global_load_dword v35, v[22:23], off
	global_load_dword v36, v[24:25], off
	global_load_dword v37, v[26:27], off
	global_load_dword v38, v[28:29], off
	v_add_u32_e32 v14, s90, v100
	v_ashrrev_i32_e32 v15, 31, v14
	v_add_u32_e32 v16, s91, v100
	v_add_u32_e32 v18, s92, v100
	v_add_u32_e32 v20, s93, v100
	v_add_u32_e32 v22, s94, v100
	v_add_u32_e32 v24, s95, v100
	v_add_u32_e32 v26, s96, v100
	v_add_u32_e32 v28, s97, v100
	v_lshl_add_u64 v[14:15], v[14:15], 2, s[0:1]
	v_ashrrev_i32_e32 v17, 31, v16
	v_ashrrev_i32_e32 v19, 31, v18
	v_ashrrev_i32_e32 v21, 31, v20
	v_ashrrev_i32_e32 v23, 31, v22
	v_ashrrev_i32_e32 v25, 31, v24
	v_ashrrev_i32_e32 v27, 31, v26
	v_ashrrev_i32_e32 v29, 31, v28
	v_lshl_add_u64 v[16:17], v[16:17], 2, s[0:1]
	v_lshl_add_u64 v[18:19], v[18:19], 2, s[0:1]
	v_lshl_add_u64 v[20:21], v[20:21], 2, s[0:1]
	v_lshl_add_u64 v[22:23], v[22:23], 2, s[0:1]
	v_lshl_add_u64 v[24:25], v[24:25], 2, s[0:1]
	v_lshl_add_u64 v[26:27], v[26:27], 2, s[0:1]
	v_lshl_add_u64 v[28:29], v[28:29], 2, s[0:1]
	global_load_dword v39, v[14:15], off
	global_load_dword v40, v[16:17], off
	global_load_dword v41, v[18:19], off
	global_load_dword v42, v[20:21], off
	global_load_dword v43, v[22:23], off
	global_load_dword v44, v[24:25], off
	global_load_dword v45, v[26:27], off
	global_load_dword v46, v[28:29], off
	v_add_u32_e32 v14, s98, v100
	v_ashrrev_i32_e32 v15, 31, v14
	v_add_u32_e32 v16, s99, v100
	v_add_u32_e32 v18, s24, v100
	v_add_u32_e32 v20, s25, v100
	v_add_u32_e32 v22, s28, v100
	v_add_u32_e32 v24, s29, v100
	v_add_u32_e32 v26, s22, v100
	v_add_u32_e32 v28, s23, v100
	v_lshl_add_u64 v[14:15], v[14:15], 2, s[0:1]
	v_ashrrev_i32_e32 v17, 31, v16
	v_ashrrev_i32_e32 v19, 31, v18
	v_ashrrev_i32_e32 v21, 31, v20
	v_ashrrev_i32_e32 v23, 31, v22
	v_ashrrev_i32_e32 v25, 31, v24
	v_ashrrev_i32_e32 v27, 31, v26
	v_ashrrev_i32_e32 v29, 31, v28
	v_lshl_add_u64 v[16:17], v[16:17], 2, s[0:1]
	;; [unrolled: 32-line block ×4, first 2 shown]
	v_lshl_add_u64 v[18:19], v[18:19], 2, s[0:1]
	v_lshl_add_u64 v[20:21], v[20:21], 2, s[0:1]
	;; [unrolled: 1-line block ×6, first 2 shown]
	global_load_dword v63, v[14:15], off
	global_load_dword v64, v[16:17], off
	global_load_dword v65, v[18:19], off
	global_load_dword v66, v[20:21], off
	global_load_dword v67, v[22:23], off
	global_load_dword v68, v[24:25], off
	global_load_dword v69, v[26:27], off
	global_load_dword v70, v[28:29], off
	v_add_u32_e32 v14, s81, v100
	v_ashrrev_i32_e32 v15, 31, v14
	v_add_u32_e32 v16, s82, v100
	v_add_u32_e32 v18, s83, v100
	;; [unrolled: 1-line block ×5, first 2 shown]
	v_lshl_add_u64 v[14:15], v[14:15], 2, s[0:1]
	v_ashrrev_i32_e32 v17, 31, v16
	v_ashrrev_i32_e32 v19, 31, v18
	;; [unrolled: 1-line block ×5, first 2 shown]
	v_lshl_add_u64 v[16:17], v[16:17], 2, s[0:1]
	v_lshl_add_u64 v[18:19], v[18:19], 2, s[0:1]
	;; [unrolled: 1-line block ×5, first 2 shown]
	global_load_dword v71, v[14:15], off
	global_load_dword v72, v[16:17], off
	;; [unrolled: 1-line block ×6, first 2 shown]
	ds_read_b64 v[20:21], v102 offset:128
	ds_read_b64 v[18:19], v102 offset:160
	ds_read_b64 v[16:17], v102 offset:192
	ds_read_b64 v[14:15], v102 offset:224
	s_waitcnt vmcnt(47)
	ds_write_b32 v101, v30
	s_waitcnt vmcnt(46)
	ds_write_b32 v101, v31 offset:264
	s_waitcnt vmcnt(45)
	ds_write_b32 v101, v0 offset:528
	s_waitcnt vmcnt(44)
	ds_write_b32 v101, v32 offset:792
	s_waitcnt vmcnt(43)
	ds_write_b32 v101, v33 offset:1056
	s_waitcnt vmcnt(42)
	ds_write_b32 v101, v34 offset:1320
	s_waitcnt vmcnt(41)
	ds_write_b32 v101, v35 offset:1584
	s_waitcnt vmcnt(40)
	ds_write_b32 v101, v36 offset:1848
	s_waitcnt vmcnt(39)
	ds_write_b32 v101, v37 offset:2112
	s_waitcnt vmcnt(38)
	ds_write_b32 v101, v38 offset:2376
	s_waitcnt vmcnt(37)
	ds_write_b32 v101, v39 offset:2640
	s_waitcnt vmcnt(36)
	ds_write_b32 v101, v40 offset:2904
	s_waitcnt vmcnt(35)
	ds_write_b32 v101, v41 offset:3168
	s_waitcnt vmcnt(34)
	ds_write_b32 v101, v42 offset:3432
	s_waitcnt vmcnt(33)
	ds_write_b32 v101, v43 offset:3696
	s_waitcnt vmcnt(32)
	ds_write_b32 v101, v44 offset:3960
	ds_read_b64 v[38:39], v102
	ds_read_b64 v[34:35], v102 offset:32
	ds_read_b64 v[32:33], v102 offset:64
	ds_read_b64 v[30:31], v102 offset:96
	ds_read_b64 v[28:29], v102 offset:128
	ds_read_b64 v[26:27], v102 offset:160
	ds_read_b64 v[24:25], v102 offset:192
	ds_read_b64 v[22:23], v102 offset:224
	s_waitcnt vmcnt(31)
	ds_write_b32 v101, v45
	s_waitcnt vmcnt(30)
	ds_write_b32 v101, v46 offset:264
	s_waitcnt vmcnt(29)
	ds_write_b32 v101, v47 offset:528
	s_waitcnt vmcnt(28)
	ds_write_b32 v101, v48 offset:792
	s_waitcnt vmcnt(27)
	ds_write_b32 v101, v49 offset:1056
	s_waitcnt vmcnt(26)
	ds_write_b32 v101, v50 offset:1320
	s_waitcnt vmcnt(25)
	ds_write_b32 v101, v51 offset:1584
	s_waitcnt vmcnt(24)
	ds_write_b32 v101, v52 offset:1848
	s_waitcnt vmcnt(23)
	ds_write_b32 v101, v53 offset:2112
	s_waitcnt vmcnt(22)
	ds_write_b32 v101, v54 offset:2376
	s_waitcnt vmcnt(21)
	ds_write_b32 v101, v55 offset:2640
	s_waitcnt vmcnt(20)
	ds_write_b32 v101, v56 offset:2904
	s_waitcnt vmcnt(19)
	ds_write_b32 v101, v57 offset:3168
	s_waitcnt vmcnt(18)
	ds_write_b32 v101, v58 offset:3432
	s_waitcnt vmcnt(17)
	ds_write_b32 v101, v59 offset:3696
	s_waitcnt vmcnt(16)
	ds_write_b32 v101, v60 offset:3960
	ds_read_b64 v[52:53], v102
	ds_read_b64 v[50:51], v102 offset:32
	ds_read_b64 v[48:49], v102 offset:64
	ds_read_b64 v[46:47], v102 offset:96
	;; [unrolled: 40-line block ×3, first 2 shown]
	ds_read_b64 v[64:65], v102 offset:128
	ds_read_b64 v[60:61], v102 offset:160
	;; [unrolled: 1-line block ×4, first 2 shown]
	v_mov_b32_e32 v70, 0
	v_mov_b32_e32 v71, 0
	s_cbranch_vccnz .LBB105_9
; %bb.7:                                ;   in Loop: Header=BB105_6 Depth=1
	s_load_dword vcc_lo, s[36:37], 0x0
	v_mov_b32_e32 v71, 0
	v_mov_b32_e32 v70, 0
	s_waitcnt lgkmcnt(0)
	s_mul_hi_u32 vcc_hi, vcc_lo, s16
	s_add_i32 vcc_hi, vcc_lo, vcc_hi
	s_lshr_b32 s86, vcc_hi, s17
	s_cmp_ge_i32 s86, s13
	s_cbranch_scc1 .LBB105_9
; %bb.8:                                ;   in Loop: Header=BB105_6 Depth=1
	s_mul_i32 vcc_hi, s86, s18
	s_sub_i32 vcc_lo, vcc_lo, vcc_hi
	s_mul_i32 s86, s86, s20
	s_mul_i32 vcc_lo, vcc_lo, s9
	v_add_u32_e32 v0, s86, v100
	v_lshl_add_u32 v70, v0, 1, vcc_lo
	v_ashrrev_i32_e32 v71, 31, v70
	v_lshl_add_u64 v[70:71], v[70:71], 2, s[6:7]
	global_load_dwordx2 v[70:71], v[70:71], off
.LBB105_9:                              ;   in Loop: Header=BB105_6 Depth=1
	s_andn2_b64 vcc, exec, s[38:39]
	v_mov_b32_e32 v72, 0
	v_mov_b32_e32 v74, 0
	v_mov_b32_e32 v75, 0
	s_cbranch_vccnz .LBB105_12
; %bb.10:                               ;   in Loop: Header=BB105_6 Depth=1
	s_load_dword vcc_lo, s[36:37], 0x4
	v_mov_b32_e32 v75, 0
	v_mov_b32_e32 v74, 0
	s_waitcnt lgkmcnt(0)
	s_mul_hi_u32 s86, vcc_lo, s16
	s_add_i32 s86, vcc_lo, s86
	s_lshr_b32 vcc_hi, s86, s17
	s_cmp_ge_i32 vcc_hi, s13
	s_cbranch_scc1 .LBB105_12
; %bb.11:                               ;   in Loop: Header=BB105_6 Depth=1
	s_mul_i32 s86, vcc_hi, s18
	s_sub_i32 s86, vcc_lo, s86
	s_mul_i32 vcc_hi, vcc_hi, s20
	s_mul_i32 s86, s86, s9
	v_add_u32_e32 v0, vcc_hi, v100
	v_lshl_add_u32 v74, v0, 1, s86
	v_ashrrev_i32_e32 v75, 31, v74
	v_lshl_add_u64 v[74:75], v[74:75], 2, s[6:7]
	global_load_dwordx2 v[74:75], v[74:75], off
.LBB105_12:                             ;   in Loop: Header=BB105_6 Depth=1
	s_andn2_b64 vcc, exec, s[40:41]
	v_mov_b32_e32 v73, 0
	s_cbranch_vccnz .LBB105_15
; %bb.13:                               ;   in Loop: Header=BB105_6 Depth=1
	s_load_dword vcc_lo, s[36:37], 0x8
	v_mov_b32_e32 v73, 0
	v_mov_b32_e32 v72, 0
	s_waitcnt lgkmcnt(0)
	s_mul_hi_u32 s86, vcc_lo, s16
	s_add_i32 s86, vcc_lo, s86
	s_lshr_b32 vcc_hi, s86, s17
	s_cmp_ge_i32 vcc_hi, s13
	s_cbranch_scc1 .LBB105_15
; %bb.14:                               ;   in Loop: Header=BB105_6 Depth=1
	s_mul_i32 s86, vcc_hi, s18
	s_sub_i32 s86, vcc_lo, s86
	s_mul_i32 vcc_hi, vcc_hi, s20
	s_mul_i32 s86, s86, s9
	v_add_u32_e32 v0, vcc_hi, v100
	v_lshl_add_u32 v72, v0, 1, s86
	v_ashrrev_i32_e32 v73, 31, v72
	v_lshl_add_u64 v[72:73], v[72:73], 2, s[6:7]
	global_load_dwordx2 v[72:73], v[72:73], off
.LBB105_15:                             ;   in Loop: Header=BB105_6 Depth=1
	s_andn2_b64 vcc, exec, s[42:43]
	v_mov_b32_e32 v76, 0
	v_mov_b32_e32 v78, 0
	v_mov_b32_e32 v79, 0
	s_cbranch_vccnz .LBB105_18
; %bb.16:                               ;   in Loop: Header=BB105_6 Depth=1
	s_load_dword vcc_lo, s[36:37], 0xc
	v_mov_b32_e32 v79, 0
	v_mov_b32_e32 v78, 0
	s_waitcnt lgkmcnt(0)
	s_mul_hi_u32 s86, vcc_lo, s16
	s_add_i32 s86, vcc_lo, s86
	s_lshr_b32 vcc_hi, s86, s17
	s_cmp_ge_i32 vcc_hi, s13
	s_cbranch_scc1 .LBB105_18
; %bb.17:                               ;   in Loop: Header=BB105_6 Depth=1
	s_mul_i32 s86, vcc_hi, s18
	s_sub_i32 s86, vcc_lo, s86
	s_mul_i32 vcc_hi, vcc_hi, s20
	s_mul_i32 s86, s86, s9
	v_add_u32_e32 v0, vcc_hi, v100
	v_lshl_add_u32 v78, v0, 1, s86
	v_ashrrev_i32_e32 v79, 31, v78
	v_lshl_add_u64 v[78:79], v[78:79], 2, s[6:7]
	global_load_dwordx2 v[78:79], v[78:79], off
.LBB105_18:                             ;   in Loop: Header=BB105_6 Depth=1
	s_andn2_b64 vcc, exec, s[44:45]
	v_mov_b32_e32 v77, 0
	s_cbranch_vccnz .LBB105_21
; %bb.19:                               ;   in Loop: Header=BB105_6 Depth=1
	s_load_dword vcc_lo, s[36:37], 0x10
	v_mov_b32_e32 v77, 0
	v_mov_b32_e32 v76, 0
	s_waitcnt lgkmcnt(0)
	s_mul_hi_u32 s86, vcc_lo, s16
	s_add_i32 s86, vcc_lo, s86
	s_lshr_b32 vcc_hi, s86, s17
	s_cmp_ge_i32 vcc_hi, s13
	s_cbranch_scc1 .LBB105_21
; %bb.20:                               ;   in Loop: Header=BB105_6 Depth=1
	s_mul_i32 s86, vcc_hi, s18
	s_sub_i32 s86, vcc_lo, s86
	s_mul_i32 vcc_hi, vcc_hi, s20
	s_mul_i32 s86, s86, s9
	v_add_u32_e32 v0, vcc_hi, v100
	v_lshl_add_u32 v76, v0, 1, s86
	v_ashrrev_i32_e32 v77, 31, v76
	v_lshl_add_u64 v[76:77], v[76:77], 2, s[6:7]
	global_load_dwordx2 v[76:77], v[76:77], off
.LBB105_21:                             ;   in Loop: Header=BB105_6 Depth=1
	;; [unrolled: 50-line block ×6, first 2 shown]
	s_andn2_b64 vcc, exec, s[62:63]
	v_mov_b32_e32 v96, 0
	v_mov_b32_e32 v97, 0
	s_cbranch_vccnz .LBB105_5
; %bb.46:                               ;   in Loop: Header=BB105_6 Depth=1
	s_load_dword vcc_lo, s[36:37], 0x34
	v_mov_b32_e32 v97, 0
	v_mov_b32_e32 v96, 0
	s_waitcnt lgkmcnt(0)
	s_mul_hi_u32 s86, vcc_lo, s16
	s_add_i32 s86, vcc_lo, s86
	s_lshr_b32 vcc_hi, s86, s17
	s_cmp_ge_i32 vcc_hi, s13
	s_cbranch_scc1 .LBB105_5
; %bb.47:                               ;   in Loop: Header=BB105_6 Depth=1
	s_mul_i32 s86, vcc_hi, s18
	s_sub_i32 s86, vcc_lo, s86
	s_mul_i32 vcc_hi, vcc_hi, s20
	s_mul_i32 s86, s86, s9
	v_add_u32_e32 v0, vcc_hi, v100
	v_lshl_add_u32 v96, v0, 1, s86
	v_ashrrev_i32_e32 v97, 31, v96
	v_lshl_add_u64 v[96:97], v[96:97], 2, s[6:7]
	global_load_dwordx2 v[96:97], v[96:97], off
	s_branch .LBB105_5
.LBB105_48:
	s_or_b64 exec, exec, s[4:5]
	v_readlane_b32 s24, v103, 6
	v_readlane_b32 s26, v103, 9
	;; [unrolled: 1-line block ×9, first 2 shown]
.LBB105_49:
	s_or_b64 exec, exec, s[28:29]
	s_lshl_b64 s[0:1], s[26:27], 2
	v_mul_u32_u24_e32 v0, 0x308, v99
	v_lshlrev_b32_e32 v1, 2, v98
	v_or_b32_e32 v4, 12, v3
	s_add_u32 s4, s22, s0
	v_add3_u32 v0, 0, v0, v1
	v_and_b32_e32 v1, 0x3f0, v3
	v_and_b32_e32 v4, 0x3fc, v4
	s_addc_u32 s5, s23, s1
	v_add_u32_e32 v1, v0, v1
	v_add_u32_e32 v0, v0, v4
	s_barrier
	ds_write2_b32 v1, a0, a1 offset1:1
	ds_write_b32 v1, a2 offset:8
	ds_write_b32 v0, a3
	ds_write2_b32 v1, a4, a5 offset0:16 offset1:17
	ds_write_b32 v1, a6 offset:72
	ds_write_b32 v0, a7 offset:64
	ds_write2_b32 v1, a8, a9 offset0:32 offset1:33
	ds_write_b32 v1, a10 offset:136
	ds_write_b32 v0, a11 offset:128
	;; [unrolled: 3-line block ×3, first 2 shown]
	s_cmp_gt_i32 s14, 0
	v_add_u32_e32 v0, s2, v2
	s_cselect_b64 s[6:7], -1, 0
	v_cmp_gt_i32_e64 s[0:1], s33, v0
	v_cmp_gt_u32_e32 vcc, 14, v2
	s_and_b64 s[0:1], s[6:7], s[0:1]
	v_lshl_add_u32 v5, v3, 2, 0
	v_add_u32_e32 v4, s11, v3
	v_mul_u32_u24_e32 v6, 0x308, v2
	s_and_b64 s[8:9], vcc, s[0:1]
	s_waitcnt lgkmcnt(0)
	s_barrier
	s_and_saveexec_b64 s[0:1], s[8:9]
	v_readlane_b32 s14, v103, 0
	v_readlane_b32 s15, v103, 1
	s_cbranch_execz .LBB105_52
; %bb.50:
	v_ashrrev_i32_e32 v1, 31, v0
	v_lshl_add_u64 v[8:9], v[0:1], 2, s[4:5]
	global_load_dword v3, v[8:9], off
	s_waitcnt vmcnt(0)
	v_mul_hi_u32 v1, v3, s19
	v_add_u32_e32 v1, v3, v1
	v_lshrrev_b32_e32 v1, s24, v1
	v_cmp_gt_i32_e32 vcc, s13, v1
	s_and_b64 exec, exec, vcc
	s_cbranch_execz .LBB105_52
; %bb.51:
	v_add_u32_e32 v7, v5, v6
	ds_read2st64_b32 v[8:9], v7 offset1:1
	ds_read_b32 v7, v7 offset:512
	v_mul_lo_u32 v10, v1, s25
	v_sub_u32_e32 v3, v3, v10
	v_mul_lo_u32 v3, v3, s10
	s_waitcnt lgkmcnt(1)
	v_add_f32_e32 v8, 0, v8
	v_add_f32_e32 v8, v8, v9
	v_mul_lo_u32 v1, v1, s21
	s_waitcnt lgkmcnt(0)
	v_add_f32_e32 v7, v8, v7
	v_add3_u32 v8, v4, v1, v3
	v_mov_b32_e32 v9, 0
	v_lshl_add_u64 v[8:9], v[8:9], 2, s[14:15]
	global_store_dword v[8:9], v7, off
.LBB105_52:
	s_or_b64 exec, exec, s[0:1]
	v_add_u32_e32 v1, 3, v0
	v_cmp_gt_i32_e64 s[0:1], s33, v1
	v_cmp_gt_u32_e32 vcc, 11, v2
	s_and_b64 s[0:1], s[6:7], s[0:1]
	s_and_b64 s[8:9], vcc, s[0:1]
	s_and_saveexec_b64 s[0:1], s[8:9]
	s_cbranch_execz .LBB105_55
; %bb.53:
	s_ashr_i32 s3, s2, 31
	v_mov_b32_e32 v3, 0
	v_lshl_add_u64 v[8:9], v[2:3], 0, s[2:3]
	v_lshl_add_u64 v[8:9], v[8:9], 2, s[4:5]
	global_load_dword v7, v[8:9], off offset:12
	s_waitcnt vmcnt(0)
	v_mul_hi_u32 v1, v7, s19
	v_add_u32_e32 v1, v7, v1
	v_lshrrev_b32_e32 v1, s24, v1
	v_cmp_gt_i32_e32 vcc, s13, v1
	s_and_b64 exec, exec, vcc
	s_cbranch_execz .LBB105_55
; %bb.54:
	v_add_u32_e32 v10, v6, v5
	v_add_u32_e32 v8, 24, v10
	ds_read2st64_b32 v[8:9], v8 offset0:9 offset1:10
	ds_read_b32 v10, v10 offset:2840
	v_mul_lo_u32 v11, v1, s25
	v_sub_u32_e32 v7, v7, v11
	v_mul_lo_u32 v7, v7, s10
	s_waitcnt lgkmcnt(1)
	v_add_f32_e32 v8, 0, v8
	v_add_f32_e32 v8, v8, v9
	v_mul_lo_u32 v1, v1, s21
	s_waitcnt lgkmcnt(0)
	v_add_f32_e32 v10, v8, v10
	v_add3_u32 v8, v4, v1, v7
	v_mov_b32_e32 v9, v3
	v_lshl_add_u64 v[8:9], v[8:9], 2, s[14:15]
	global_store_dword v[8:9], v10, off
.LBB105_55:
	s_or_b64 exec, exec, s[0:1]
	v_add_u32_e32 v1, 6, v0
	v_cmp_gt_i32_e64 s[0:1], s33, v1
	v_cmp_gt_u32_e32 vcc, 8, v2
	s_and_b64 s[0:1], s[6:7], s[0:1]
	s_and_b64 s[8:9], vcc, s[0:1]
	s_and_saveexec_b64 s[0:1], s[8:9]
	s_cbranch_execz .LBB105_58
; %bb.56:
	s_ashr_i32 s3, s2, 31
	v_mov_b32_e32 v3, 0
	v_lshl_add_u64 v[8:9], v[2:3], 0, s[2:3]
	v_lshl_add_u64 v[8:9], v[8:9], 2, s[4:5]
	global_load_dword v7, v[8:9], off offset:24
	s_waitcnt vmcnt(0)
	v_mul_hi_u32 v1, v7, s19
	v_add_u32_e32 v1, v7, v1
	v_lshrrev_b32_e32 v1, s24, v1
	v_cmp_gt_i32_e32 vcc, s13, v1
	s_and_b64 exec, exec, vcc
	s_cbranch_execz .LBB105_58
; %bb.57:
	v_add_u32_e32 v10, v5, v6
	v_add_u32_e32 v8, 48, v10
	ds_read2st64_b32 v[8:9], v8 offset0:18 offset1:19
	ds_read_b32 v10, v10 offset:5168
	v_mul_lo_u32 v11, v1, s25
	v_sub_u32_e32 v7, v7, v11
	v_mul_lo_u32 v7, v7, s10
	s_waitcnt lgkmcnt(1)
	v_add_f32_e32 v8, 0, v8
	v_add_f32_e32 v8, v8, v9
	v_mul_lo_u32 v1, v1, s21
	s_waitcnt lgkmcnt(0)
	v_add_f32_e32 v10, v8, v10
	v_add3_u32 v8, v4, v1, v7
	v_mov_b32_e32 v9, v3
	v_lshl_add_u64 v[8:9], v[8:9], 2, s[14:15]
	global_store_dword v[8:9], v10, off
.LBB105_58:
	s_or_b64 exec, exec, s[0:1]
	v_add_u32_e32 v0, 9, v0
	v_cmp_gt_i32_e64 s[0:1], s33, v0
	v_cmp_gt_u32_e32 vcc, 5, v2
	s_and_b64 s[0:1], s[6:7], s[0:1]
	s_and_b64 s[8:9], vcc, s[0:1]
	s_and_saveexec_b64 s[0:1], s[8:9]
	s_cbranch_execz .LBB105_61
; %bb.59:
	s_ashr_i32 s3, s2, 31
	v_mov_b32_e32 v3, 0
	v_lshl_add_u64 v[0:1], v[2:3], 0, s[2:3]
	v_lshl_add_u64 v[0:1], v[0:1], 2, s[4:5]
	global_load_dword v1, v[0:1], off offset:36
	s_waitcnt vmcnt(0)
	v_mul_hi_u32 v0, v1, s19
	v_add_u32_e32 v0, v1, v0
	v_lshrrev_b32_e32 v0, s24, v0
	v_cmp_gt_i32_e32 vcc, s13, v0
	s_and_b64 exec, exec, vcc
	s_cbranch_execz .LBB105_61
; %bb.60:
	v_add_u32_e32 v8, v5, v6
	v_add_u32_e32 v6, 0x48, v8
	ds_read2st64_b32 v[6:7], v6 offset0:27 offset1:28
	ds_read_b32 v8, v8 offset:7496
	v_mul_lo_u32 v9, v0, s25
	v_sub_u32_e32 v1, v1, v9
	v_mul_lo_u32 v1, v1, s10
	s_waitcnt lgkmcnt(1)
	v_add_f32_e32 v6, 0, v6
	v_mul_lo_u32 v0, v0, s21
	v_add_f32_e32 v6, v6, v7
	v_add3_u32 v0, v4, v0, v1
	v_mov_b32_e32 v1, v3
	s_waitcnt lgkmcnt(0)
	v_add_f32_e32 v6, v6, v8
	v_lshl_add_u64 v[0:1], v[0:1], 2, s[14:15]
	global_store_dword v[0:1], v6, off
.LBB105_61:
	s_or_b64 exec, exec, s[0:1]
	v_cmp_gt_u32_e32 vcc, 2, v2
	s_and_saveexec_b64 s[0:1], vcc
	s_cbranch_execz .LBB105_65
; %bb.62:
	v_or_b32_e32 v0, 12, v2
	v_add_u32_e32 v1, s2, v0
	v_cmp_gt_i32_e32 vcc, s33, v1
	s_and_b64 s[0:1], s[6:7], vcc
	s_and_b64 exec, exec, s[0:1]
	s_cbranch_execz .LBB105_65
; %bb.63:
	s_ashr_i32 s3, s2, 31
	v_mov_b32_e32 v3, 0
	v_lshl_add_u64 v[6:7], v[2:3], 0, s[2:3]
	v_lshl_add_u64 v[6:7], v[6:7], 2, s[4:5]
	global_load_dword v2, v[6:7], off offset:48
	s_waitcnt vmcnt(0)
	v_mul_hi_u32 v1, v2, s19
	v_add_u32_e32 v1, v2, v1
	v_lshrrev_b32_e32 v1, s24, v1
	v_cmp_gt_i32_e32 vcc, s13, v1
	s_and_b64 exec, exec, vcc
	s_cbranch_execz .LBB105_65
; %bb.64:
	s_movk_i32 s0, 0x308
	v_mad_u32_u24 v0, v0, s0, v5
	ds_read2st64_b32 v[6:7], v0 offset1:1
	ds_read_b32 v0, v0 offset:512
	v_mul_lo_u32 v5, v1, s25
	v_sub_u32_e32 v2, v2, v5
	v_mul_lo_u32 v2, v2, s10
	s_waitcnt lgkmcnt(1)
	v_add_f32_e32 v5, 0, v6
	v_add_f32_e32 v5, v5, v7
	s_waitcnt lgkmcnt(0)
	v_add_f32_e32 v5, v5, v0
	v_mul_lo_u32 v0, v1, s21
	v_add3_u32 v2, v4, v0, v2
	v_lshl_add_u64 v[0:1], v[2:3], 2, s[14:15]
	global_store_dword v[0:1], v5, off
.LBB105_65:
	s_endpgm
	.section	.rodata,"a",@progbits
	.p2align	6, 0x0
	.amdhsa_kernel _ZL13mul_mat_f_idsI7__half2Li64ELi14ELi3EEvPKT_PKfPKiS7_S7_Pfiiiiiiiiiiiiii15HIP_vector_typeIjLj3EESA_
		.amdhsa_group_segment_fixed_size 0
		.amdhsa_private_segment_fixed_size 0
		.amdhsa_kernarg_size 128
		.amdhsa_user_sgpr_count 2
		.amdhsa_user_sgpr_dispatch_ptr 0
		.amdhsa_user_sgpr_queue_ptr 0
		.amdhsa_user_sgpr_kernarg_segment_ptr 1
		.amdhsa_user_sgpr_dispatch_id 0
		.amdhsa_user_sgpr_kernarg_preload_length 0
		.amdhsa_user_sgpr_kernarg_preload_offset 0
		.amdhsa_user_sgpr_private_segment_size 0
		.amdhsa_uses_dynamic_stack 0
		.amdhsa_enable_private_segment 0
		.amdhsa_system_sgpr_workgroup_id_x 1
		.amdhsa_system_sgpr_workgroup_id_y 1
		.amdhsa_system_sgpr_workgroup_id_z 1
		.amdhsa_system_sgpr_workgroup_info 0
		.amdhsa_system_vgpr_workitem_id 1
		.amdhsa_next_free_vgpr 120
		.amdhsa_next_free_sgpr 100
		.amdhsa_accum_offset 104
		.amdhsa_reserve_vcc 1
		.amdhsa_float_round_mode_32 0
		.amdhsa_float_round_mode_16_64 0
		.amdhsa_float_denorm_mode_32 3
		.amdhsa_float_denorm_mode_16_64 3
		.amdhsa_dx10_clamp 1
		.amdhsa_ieee_mode 1
		.amdhsa_fp16_overflow 0
		.amdhsa_tg_split 0
		.amdhsa_exception_fp_ieee_invalid_op 0
		.amdhsa_exception_fp_denorm_src 0
		.amdhsa_exception_fp_ieee_div_zero 0
		.amdhsa_exception_fp_ieee_overflow 0
		.amdhsa_exception_fp_ieee_underflow 0
		.amdhsa_exception_fp_ieee_inexact 0
		.amdhsa_exception_int_div_zero 0
	.end_amdhsa_kernel
	.section	.text._ZL13mul_mat_f_idsI7__half2Li64ELi14ELi3EEvPKT_PKfPKiS7_S7_Pfiiiiiiiiiiiiii15HIP_vector_typeIjLj3EESA_,"axG",@progbits,_ZL13mul_mat_f_idsI7__half2Li64ELi14ELi3EEvPKT_PKfPKiS7_S7_Pfiiiiiiiiiiiiii15HIP_vector_typeIjLj3EESA_,comdat
.Lfunc_end105:
	.size	_ZL13mul_mat_f_idsI7__half2Li64ELi14ELi3EEvPKT_PKfPKiS7_S7_Pfiiiiiiiiiiiiii15HIP_vector_typeIjLj3EESA_, .Lfunc_end105-_ZL13mul_mat_f_idsI7__half2Li64ELi14ELi3EEvPKT_PKfPKiS7_S7_Pfiiiiiiiiiiiiii15HIP_vector_typeIjLj3EESA_
                                        ; -- End function
	.section	.AMDGPU.csdata,"",@progbits
; Kernel info:
; codeLenInByte = 7400
; NumSgprs: 106
; NumVgprs: 104
; NumAgprs: 16
; TotalNumVgprs: 120
; ScratchSize: 0
; MemoryBound: 0
; FloatMode: 240
; IeeeMode: 1
; LDSByteSize: 0 bytes/workgroup (compile time only)
; SGPRBlocks: 13
; VGPRBlocks: 14
; NumSGPRsForWavesPerEU: 106
; NumVGPRsForWavesPerEU: 120
; AccumOffset: 104
; Occupancy: 4
; WaveLimiterHint : 1
; COMPUTE_PGM_RSRC2:SCRATCH_EN: 0
; COMPUTE_PGM_RSRC2:USER_SGPR: 2
; COMPUTE_PGM_RSRC2:TRAP_HANDLER: 0
; COMPUTE_PGM_RSRC2:TGID_X_EN: 1
; COMPUTE_PGM_RSRC2:TGID_Y_EN: 1
; COMPUTE_PGM_RSRC2:TGID_Z_EN: 1
; COMPUTE_PGM_RSRC2:TIDIG_COMP_CNT: 1
; COMPUTE_PGM_RSRC3_GFX90A:ACCUM_OFFSET: 25
; COMPUTE_PGM_RSRC3_GFX90A:TG_SPLIT: 0
	.section	.text._ZL9mul_mat_fI7__half2Li64ELi14ELi3ELb1EEvPKT_PKfPKiPfiiiiiiiiiiiiiiii,"axG",@progbits,_ZL9mul_mat_fI7__half2Li64ELi14ELi3ELb1EEvPKT_PKfPKiPfiiiiiiiiiiiiiiii,comdat
	.globl	_ZL9mul_mat_fI7__half2Li64ELi14ELi3ELb1EEvPKT_PKfPKiPfiiiiiiiiiiiiiiii ; -- Begin function _ZL9mul_mat_fI7__half2Li64ELi14ELi3ELb1EEvPKT_PKfPKiPfiiiiiiiiiiiiiiii
	.p2align	8
	.type	_ZL9mul_mat_fI7__half2Li64ELi14ELi3ELb1EEvPKT_PKfPKiPfiiiiiiiiiiiiiiii,@function
_ZL9mul_mat_fI7__half2Li64ELi14ELi3ELb1EEvPKT_PKfPKiPfiiiiiiiiiiiiiiii: ; @_ZL9mul_mat_fI7__half2Li64ELi14ELi3ELb1EEvPKT_PKfPKiPfiiiiiiiiiiiiiiii
; %bb.0:
	s_load_dwordx8 s[48:55], s[0:1], 0x20
	s_mov_b32 s24, s4
	v_bfe_u32 v78, v0, 10, 10
	s_waitcnt lgkmcnt(0)
	s_add_i32 s4, s49, 13
	s_mul_hi_i32 s5, s4, 0x92492493
	s_add_i32 s5, s5, s4
	s_lshr_b32 s4, s5, 31
	s_ashr_i32 s5, s5, 3
	s_add_i32 s5, s5, s4
	v_cvt_f32_u32_e32 v1, s5
	s_load_dword s4, s[0:1], 0x64
	s_add_u32 s14, s0, 0x60
	s_addc_u32 s15, s1, 0
	v_rcp_iflag_f32_e32 v1, v1
	s_sub_i32 s6, 0, s5
	s_load_dwordx4 s[56:59], s[0:1], 0x44
	s_load_dwordx2 s[8:9], s[0:1], 0x10
	v_mul_f32_e32 v1, 0x4f7ffffe, v1
	v_cvt_u32_f32_e32 v1, v1
	v_mul_lo_u32 v2, s6, v1
	v_mul_hi_u32 v2, v1, v2
	v_add_u32_e32 v1, v1, v2
	s_waitcnt lgkmcnt(0)
	v_mul_hi_u32 v1, s4, v1
	v_mul_lo_u32 v2, v1, s5
	v_sub_u32_e32 v2, s4, v2
	v_add_u32_e32 v3, 1, v1
	v_subrev_u32_e32 v4, s5, v2
	v_cmp_le_u32_e32 vcc, s5, v2
	s_nop 1
	v_cndmask_b32_e32 v1, v1, v3, vcc
	v_cndmask_b32_e32 v2, v2, v4, vcc
	v_add_u32_e32 v3, 1, v1
	v_cmp_le_u32_e32 vcc, s5, v2
	s_nop 1
	v_cndmask_b32_e32 v1, v1, v3, vcc
	v_cvt_f32_u32_e32 v2, v1
	v_sub_u32_e32 v4, 0, v1
	v_rcp_iflag_f32_e32 v2, v2
	s_nop 0
	v_mul_f32_e32 v2, 0x4f7ffffe, v2
	v_cvt_u32_f32_e32 v3, v2
	v_and_b32_e32 v2, 0x3ff, v0
	v_cmp_eq_u32_e32 vcc, 0, v2
	v_mul_lo_u32 v4, v4, v3
	v_mul_hi_u32 v4, v3, v4
	v_add_u32_e32 v3, v3, v4
	v_mul_hi_u32 v3, s3, v3
	s_and_saveexec_b64 s[6:7], vcc
	s_cbranch_execz .LBB106_2
; %bb.1:
	v_mov_b32_e32 v4, 0x100
	v_lshl_add_u32 v4, v78, 2, v4
	v_mov_b32_e32 v5, -1
	ds_write_b32 v4, v5
.LBB106_2:
	s_or_b64 exec, exec, s[6:7]
	v_mul_lo_u32 v4, v3, v1
	v_sub_u32_e32 v4, s3, v4
	v_add_u32_e32 v5, 1, v3
	v_sub_u32_e32 v6, v4, v1
	v_cmp_ge_u32_e64 s[6:7], v4, v1
	v_cmp_gt_i32_e64 s[10:11], s50, v2
	s_nop 0
	v_cndmask_b32_e64 v3, v3, v5, s[6:7]
	v_cndmask_b32_e64 v4, v4, v6, s[6:7]
	v_add_u32_e32 v5, 1, v3
	v_cmp_ge_u32_e64 s[6:7], v4, v1
	s_nop 1
	v_cndmask_b32_e64 v3, v3, v5, s[6:7]
	v_mul_lo_u32 v1, v3, v1
	v_mul_lo_u32 v3, v3, 14
	v_mul_hi_i32 v5, v3, s55
	v_mul_lo_u32 v4, v3, s55
	v_sub_u32_e32 v10, s3, v1
	v_lshlrev_b64 v[4:5], 2, v[4:5]
	v_add_u32_e32 v1, v78, v3
	v_lshl_add_u64 v[4:5], s[8:9], 0, v[4:5]
	v_cmp_gt_i32_e64 s[26:27], s49, v1
	v_mov_b32_e32 v1, 0
	s_and_saveexec_b64 s[12:13], s[26:27]
	s_cbranch_execz .LBB106_10
; %bb.3:
	v_mov_b32_e32 v1, 0
	s_and_saveexec_b64 s[16:17], s[10:11]
	s_cbranch_execz .LBB106_9
; %bb.4:
	v_mul_lo_u32 v6, v78, s55
	v_ashrrev_i32_e32 v7, 31, v6
	v_mov_b32_e32 v1, 0x100
	v_lshl_add_u64 v[6:7], v[6:7], 2, v[4:5]
	v_lshl_add_u32 v11, v78, 2, v1
	v_mul_lo_u32 v8, v2, s54
	s_lshl_b32 s3, s54, 6
	s_mov_b64 s[18:19], 0
	v_mov_b32_e32 v1, 0
	v_mov_b32_e32 v12, v2
	s_branch .LBB106_6
.LBB106_5:                              ;   in Loop: Header=BB106_6 Depth=1
	s_or_b64 exec, exec, s[20:21]
	v_add_u32_e32 v12, 64, v12
	v_cmp_le_i32_e64 s[8:9], s50, v12
	s_xor_b64 s[4:5], s[6:7], -1
	s_or_b64 s[4:5], s[4:5], s[8:9]
	s_and_b64 s[4:5], exec, s[4:5]
	s_or_b64 s[18:19], s[4:5], s[18:19]
	v_add_u32_e32 v8, s3, v8
	s_andn2_b64 exec, exec, s[18:19]
	s_cbranch_execz .LBB106_8
.LBB106_6:                              ; =>This Inner Loop Header: Depth=1
	v_ashrrev_i32_e32 v9, 31, v8
	v_lshl_add_u64 v[14:15], v[8:9], 2, v[6:7]
	global_load_dword v9, v[14:15], off
	s_waitcnt vmcnt(0)
	v_cmp_ne_u32_e64 s[6:7], v9, v10
	v_cmp_eq_u32_e64 s[8:9], v9, v10
	s_and_saveexec_b64 s[20:21], s[8:9]
	s_cbranch_execz .LBB106_5
; %bb.7:                                ;   in Loop: Header=BB106_6 Depth=1
	v_mov_b32_e32 v1, 1
	ds_write_b32 v11, v12
	s_branch .LBB106_5
.LBB106_8:
	s_or_b64 exec, exec, s[18:19]
.LBB106_9:
	s_or_b64 exec, exec, s[16:17]
.LBB106_10:
	s_or_b64 exec, exec, s[12:13]
	s_abs_i32 s3, s59
	s_and_saveexec_b64 s[6:7], vcc
	s_cbranch_execz .LBB106_12
; %bb.11:
	v_mov_b32_e32 v6, 0x100
	v_lshl_add_u32 v6, v78, 2, v6
	v_mov_b32_e32 v7, -1
	ds_write_b32 v6, v7 offset:12
.LBB106_12:
	s_or_b64 exec, exec, s[6:7]
	v_cvt_f32_u32_e32 v11, s3
	v_add_u32_e32 v79, 3, v78
	v_add_u32_e32 v6, v79, v3
	v_cmp_gt_i32_e64 s[4:5], s49, v6
	s_mov_b64 s[12:13], exec
                                        ; implicit-def: $vgpr93 : SGPR spill to VGPR lane
	s_nop 0
	v_writelane_b32 v93, s4, 0
	s_nop 1
	v_writelane_b32 v93, s5, 1
	s_and_b64 s[4:5], s[12:13], s[4:5]
	s_mov_b64 exec, s[4:5]
	s_cbranch_execz .LBB106_20
; %bb.13:
	s_and_saveexec_b64 s[16:17], s[10:11]
	s_cbranch_execz .LBB106_19
; %bb.14:
	v_mul_lo_u32 v6, v79, s55
	v_ashrrev_i32_e32 v7, 31, v6
	v_mov_b32_e32 v8, 0x100
	v_lshl_add_u64 v[6:7], v[6:7], 2, v[4:5]
	v_lshl_add_u32 v12, v78, 2, v8
	v_mul_lo_u32 v8, v2, s54
	s_lshl_b32 s4, s54, 6
	s_mov_b64 s[18:19], 0
	v_mov_b32_e32 v13, v2
	s_branch .LBB106_16
.LBB106_15:                             ;   in Loop: Header=BB106_16 Depth=1
	s_or_b64 exec, exec, s[20:21]
	v_add_u32_e32 v13, 64, v13
	v_cmp_le_i32_e64 s[8:9], s50, v13
	s_xor_b64 s[6:7], s[6:7], -1
	s_or_b64 s[6:7], s[6:7], s[8:9]
	s_and_b64 s[6:7], exec, s[6:7]
	s_or_b64 s[18:19], s[6:7], s[18:19]
	v_add_u32_e32 v8, s4, v8
	s_andn2_b64 exec, exec, s[18:19]
	s_cbranch_execz .LBB106_18
.LBB106_16:                             ; =>This Inner Loop Header: Depth=1
	v_ashrrev_i32_e32 v9, 31, v8
	v_lshl_add_u64 v[14:15], v[8:9], 2, v[6:7]
	global_load_dword v9, v[14:15], off
	s_waitcnt vmcnt(0)
	v_cmp_ne_u32_e64 s[6:7], v9, v10
	v_cmp_eq_u32_e64 s[8:9], v9, v10
	s_and_saveexec_b64 s[20:21], s[8:9]
	s_cbranch_execz .LBB106_15
; %bb.17:                               ;   in Loop: Header=BB106_16 Depth=1
	v_mov_b32_e32 v1, 1
	ds_write_b32 v12, v13 offset:12
	s_branch .LBB106_15
.LBB106_18:
	s_or_b64 exec, exec, s[18:19]
.LBB106_19:
	s_or_b64 exec, exec, s[16:17]
.LBB106_20:
	s_or_b64 exec, exec, s[12:13]
	v_rcp_iflag_f32_e32 v6, v11
	s_and_saveexec_b64 s[6:7], vcc
	s_cbranch_execz .LBB106_22
; %bb.21:
	v_mov_b32_e32 v7, 0x100
	v_lshl_add_u32 v7, v78, 2, v7
	v_mov_b32_e32 v8, -1
	ds_write_b32 v7, v8 offset:24
.LBB106_22:
	s_or_b64 exec, exec, s[6:7]
	v_add_u32_e32 v80, 6, v78
	v_mul_f32_e32 v11, 0x4f7ffffe, v6
	v_add_u32_e32 v6, v80, v3
	v_cmp_gt_i32_e64 s[4:5], s49, v6
	s_mov_b64 s[12:13], exec
	s_nop 0
	v_writelane_b32 v93, s4, 2
	s_nop 1
	v_writelane_b32 v93, s5, 3
	s_and_b64 s[4:5], s[12:13], s[4:5]
	s_mov_b64 exec, s[4:5]
	s_cbranch_execz .LBB106_30
; %bb.23:
	s_and_saveexec_b64 s[16:17], s[10:11]
	s_cbranch_execz .LBB106_29
; %bb.24:
	v_mul_lo_u32 v6, v80, s55
	v_ashrrev_i32_e32 v7, 31, v6
	v_mov_b32_e32 v8, 0x100
	v_lshl_add_u64 v[6:7], v[6:7], 2, v[4:5]
	v_lshl_add_u32 v12, v78, 2, v8
	v_mul_lo_u32 v8, v2, s54
	s_lshl_b32 s4, s54, 6
	s_mov_b64 s[18:19], 0
	v_mov_b32_e32 v13, v2
	s_branch .LBB106_26
.LBB106_25:                             ;   in Loop: Header=BB106_26 Depth=1
	s_or_b64 exec, exec, s[20:21]
	v_add_u32_e32 v13, 64, v13
	v_cmp_le_i32_e64 s[8:9], s50, v13
	s_xor_b64 s[6:7], s[6:7], -1
	s_or_b64 s[6:7], s[6:7], s[8:9]
	s_and_b64 s[6:7], exec, s[6:7]
	s_or_b64 s[18:19], s[6:7], s[18:19]
	v_add_u32_e32 v8, s4, v8
	s_andn2_b64 exec, exec, s[18:19]
	s_cbranch_execz .LBB106_28
.LBB106_26:                             ; =>This Inner Loop Header: Depth=1
	v_ashrrev_i32_e32 v9, 31, v8
	v_lshl_add_u64 v[14:15], v[8:9], 2, v[6:7]
	global_load_dword v9, v[14:15], off
	s_waitcnt vmcnt(0)
	v_cmp_ne_u32_e64 s[6:7], v9, v10
	v_cmp_eq_u32_e64 s[8:9], v9, v10
	s_and_saveexec_b64 s[20:21], s[8:9]
	s_cbranch_execz .LBB106_25
; %bb.27:                               ;   in Loop: Header=BB106_26 Depth=1
	v_mov_b32_e32 v1, 1
	ds_write_b32 v12, v13 offset:24
	s_branch .LBB106_25
.LBB106_28:
	s_or_b64 exec, exec, s[18:19]
.LBB106_29:
	s_or_b64 exec, exec, s[16:17]
.LBB106_30:
	s_or_b64 exec, exec, s[12:13]
	v_cvt_u32_f32_e32 v11, v11
	s_sub_i32 s4, 0, s3
	s_and_saveexec_b64 s[6:7], vcc
	s_cbranch_execz .LBB106_32
; %bb.31:
	v_mov_b32_e32 v6, 0x100
	v_lshl_add_u32 v6, v78, 2, v6
	v_mov_b32_e32 v7, -1
	ds_write_b32 v6, v7 offset:36
.LBB106_32:
	s_or_b64 exec, exec, s[6:7]
	v_add_u32_e32 v81, 9, v78
	v_mul_lo_u32 v12, s4, v11
	v_add_u32_e32 v6, v81, v3
	v_cmp_gt_i32_e64 s[4:5], s49, v6
	s_mov_b64 s[16:17], exec
	s_nop 0
	v_writelane_b32 v93, s4, 4
	s_nop 1
	v_writelane_b32 v93, s5, 5
	s_and_b64 s[4:5], s[16:17], s[4:5]
	s_mov_b64 exec, s[4:5]
	s_cbranch_execz .LBB106_40
; %bb.33:
	s_and_saveexec_b64 s[18:19], s[10:11]
	s_cbranch_execz .LBB106_39
; %bb.34:
	v_mul_lo_u32 v6, v81, s55
	v_ashrrev_i32_e32 v7, 31, v6
	v_mov_b32_e32 v8, 0x100
	v_lshl_add_u64 v[6:7], v[6:7], 2, v[4:5]
	v_lshl_add_u32 v13, v78, 2, v8
	v_mul_lo_u32 v8, v2, s54
	s_lshl_b32 s4, s54, 6
	s_mov_b64 s[20:21], 0
	v_mov_b32_e32 v14, v2
	s_branch .LBB106_36
.LBB106_35:                             ;   in Loop: Header=BB106_36 Depth=1
	s_or_b64 exec, exec, s[22:23]
	v_add_u32_e32 v14, 64, v14
	v_cmp_le_i32_e64 s[12:13], s50, v14
	s_xor_b64 s[6:7], s[8:9], -1
	s_or_b64 s[6:7], s[6:7], s[12:13]
	s_and_b64 s[6:7], exec, s[6:7]
	s_or_b64 s[20:21], s[6:7], s[20:21]
	v_add_u32_e32 v8, s4, v8
	s_andn2_b64 exec, exec, s[20:21]
	s_cbranch_execz .LBB106_38
.LBB106_36:                             ; =>This Inner Loop Header: Depth=1
	v_ashrrev_i32_e32 v9, 31, v8
	v_lshl_add_u64 v[16:17], v[8:9], 2, v[6:7]
	global_load_dword v9, v[16:17], off
	s_waitcnt vmcnt(0)
	v_cmp_ne_u32_e64 s[8:9], v9, v10
	v_cmp_eq_u32_e64 s[12:13], v9, v10
	s_and_saveexec_b64 s[22:23], s[12:13]
	s_cbranch_execz .LBB106_35
; %bb.37:                               ;   in Loop: Header=BB106_36 Depth=1
	v_mov_b32_e32 v1, 1
	ds_write_b32 v13, v14 offset:36
	s_branch .LBB106_35
.LBB106_38:
	s_or_b64 exec, exec, s[20:21]
.LBB106_39:
	s_or_b64 exec, exec, s[18:19]
.LBB106_40:
	s_or_b64 exec, exec, s[16:17]
	v_mul_hi_u32 v6, v11, v12
	s_and_saveexec_b64 s[8:9], vcc
	s_cbranch_execz .LBB106_42
; %bb.41:
	v_mov_b32_e32 v7, 0x100
	v_lshl_add_u32 v7, v78, 2, v7
	v_mov_b32_e32 v8, -1
	ds_write_b32 v7, v8 offset:48
.LBB106_42:
	s_or_b64 exec, exec, s[8:9]
	s_load_dwordx4 s[28:31], s[0:1], 0x54
	v_add_u32_e32 v82, 12, v78
	s_abs_i32 s4, s24
	v_add_u32_e32 v8, v11, v6
	v_add_u32_e32 v6, v82, v3
	v_cmp_gt_i32_e64 s[6:7], s49, v6
	s_mov_b64 s[12:13], exec
	s_nop 0
	v_writelane_b32 v93, s6, 6
	s_nop 1
	v_writelane_b32 v93, s7, 7
	s_and_b64 s[6:7], s[12:13], s[6:7]
	s_mov_b64 exec, s[6:7]
	s_cbranch_execz .LBB106_50
; %bb.43:
	s_and_saveexec_b64 s[16:17], s[10:11]
	s_cbranch_execz .LBB106_49
; %bb.44:
	v_mul_lo_u32 v6, v82, s55
	v_ashrrev_i32_e32 v7, 31, v6
	v_lshl_add_u64 v[4:5], v[6:7], 2, v[4:5]
	v_mov_b32_e32 v6, 0x100
	v_lshl_add_u32 v9, v78, 2, v6
	v_mul_lo_u32 v6, v2, s54
	s_lshl_b32 s5, s54, 6
	s_mov_b64 s[18:19], 0
	v_mov_b32_e32 v11, v2
	s_branch .LBB106_46
.LBB106_45:                             ;   in Loop: Header=BB106_46 Depth=1
	s_or_b64 exec, exec, s[20:21]
	v_add_u32_e32 v11, 64, v11
	v_cmp_le_i32_e64 s[10:11], s50, v11
	s_xor_b64 s[6:7], vcc, -1
	s_or_b64 s[6:7], s[6:7], s[10:11]
	s_and_b64 s[6:7], exec, s[6:7]
	s_or_b64 s[18:19], s[6:7], s[18:19]
	v_add_u32_e32 v6, s5, v6
	s_andn2_b64 exec, exec, s[18:19]
	s_cbranch_execz .LBB106_48
.LBB106_46:                             ; =>This Inner Loop Header: Depth=1
	v_ashrrev_i32_e32 v7, 31, v6
	v_lshl_add_u64 v[12:13], v[6:7], 2, v[4:5]
	global_load_dword v7, v[12:13], off
	s_waitcnt vmcnt(0)
	v_cmp_ne_u32_e32 vcc, v7, v10
	v_cmp_eq_u32_e64 s[10:11], v7, v10
	s_and_saveexec_b64 s[20:21], s[10:11]
	s_cbranch_execz .LBB106_45
; %bb.47:                               ;   in Loop: Header=BB106_46 Depth=1
	v_mov_b32_e32 v1, 1
	ds_write_b32 v9, v11 offset:48
	s_branch .LBB106_45
.LBB106_48:
	s_or_b64 exec, exec, s[18:19]
.LBB106_49:
	s_or_b64 exec, exec, s[16:17]
.LBB106_50:
	s_or_b64 exec, exec, s[12:13]
	s_load_dwordx2 s[6:7], s[14:15], 0xc
	s_load_dwordx2 s[12:13], s[0:1], 0x8
	;; [unrolled: 1-line block ×3, first 2 shown]
	v_cmp_ne_u32_e32 vcc, 0, v1
	v_mul_hi_u32 v4, s4, v8
	s_waitcnt lgkmcnt(0)
	s_and_b32 s5, s7, 0xffff
	v_cndmask_b32_e64 v1, 0, 1, vcc
	v_writelane_b32 v93, s8, 8
	s_lshr_b32 s7, s6, 16
	v_or_b32_dpp v1, v1, v1 row_shl:1 row_mask:0xf bank_mask:0xf bound_ctrl:1
	s_and_b32 s6, s6, 0xffff
	v_writelane_b32 v93, s9, 9
	v_or_b32_dpp v1, v1, v1 row_shl:2 row_mask:0xf bank_mask:0xf bound_ctrl:1
	s_mul_i32 s8, s7, s6
	s_bfe_i32 s8, s8, 0x180000
	v_or_b32_dpp v1, v1, v1 row_shl:4 row_mask:0xf bank_mask:0xf bound_ctrl:1
	s_mul_i32 s5, s8, s5
	s_add_i32 s8, s5, 63
	v_or_b32_dpp v1, v1, v1 row_shl:8 row_mask:0xf bank_mask:0xf bound_ctrl:1
	s_bitcmp1_b32 exec_hi, 0
                                        ; kill: killed $sgpr14 killed $sgpr15
	s_nop 0
	v_mov_b32_dpp v5, v1 wave_shl:1 row_mask:0xf bank_mask:0xf bound_ctrl:1
	s_nop 1
	v_or_b32_dpp v1, v5, v1 row_mirror row_mask:0xf bank_mask:0xf bound_ctrl:1
	s_nop 0
	v_readlane_b32 s5, v1, 32
	s_cselect_b32 s5, s5, 0
	v_readlane_b32 s9, v1, 0
	s_or_b32 s5, s5, s9
	s_andn2_b32 s8, s8, 63
	s_cmp_lg_u32 s8, 64
	v_mov_b32_e32 v1, s5
	s_cbranch_scc0 .LBB106_57
; %bb.51:
	v_bfe_u32 v0, v0, 20, 10
	v_mbcnt_lo_u32_b32 v1, -1, 0
	v_mad_u32_u24 v0, v0, s7, v78
	v_mbcnt_hi_u32_b32 v5, -1, v1
	v_mad_u64_u32 v[0:1], s[6:7], v0, s6, v[2:3]
	v_lshrrev_b32_e32 v1, 6, v0
	v_or_b32_e32 v1, v5, v1
	v_cmp_eq_u32_e32 vcc, 0, v1
	s_and_saveexec_b64 s[10:11], vcc
	s_cbranch_execz .LBB106_53
; %bb.52:
	v_mov_b32_e32 v1, 0
	v_mov_b32_e32 v6, s5
	ds_write_b32 v1, v6
.LBB106_53:
	s_or_b64 exec, exec, s[10:11]
	v_cmp_eq_u32_e32 vcc, 0, v5
	v_cmp_lt_u32_e64 s[10:11], 63, v0
	s_and_b64 s[6:7], s[10:11], vcc
	s_waitcnt lgkmcnt(0)
	s_barrier
	s_and_saveexec_b64 s[10:11], s[6:7]
	s_cbranch_execz .LBB106_56
; %bb.54:
	v_mbcnt_lo_u32_b32 v0, exec_lo, 0
	v_mbcnt_hi_u32_b32 v0, exec_hi, v0
	v_cmp_eq_u32_e32 vcc, 0, v0
	s_and_b64 exec, exec, vcc
	s_cbranch_execz .LBB106_56
; %bb.55:
	v_mov_b32_e32 v0, 0
	v_mov_b32_e32 v1, s5
	ds_or_b32 v0, v1
.LBB106_56:
	s_or_b64 exec, exec, s[10:11]
	v_mov_b32_e32 v0, 0
	s_waitcnt lgkmcnt(0)
	s_barrier
	ds_read_b32 v1, v0
	s_waitcnt lgkmcnt(0)
	s_barrier
.LBB106_57:
	s_load_dwordx2 s[10:11], s[0:1], 0x0
	v_cmp_ne_u32_e32 vcc, 0, v1
	s_ashr_i32 s5, s24, 31
	s_ashr_i32 s6, s59, 31
	s_cbranch_vccz .LBB106_125
; %bb.58:
	v_lshlrev_b32_e32 v83, 6, v78
	v_add_u32_e32 v85, v83, v2
	v_cmp_le_i32_e32 vcc, s48, v85
	v_and_b32_e32 v84, 15, v2
                                        ; implicit-def: $sgpr7
	s_and_saveexec_b64 s[0:1], vcc
	s_xor_b64 s[0:1], exec, s[0:1]
; %bb.59:
	v_and_b32_e32 v84, 15, v2
	s_mov_b32 s7, 0
                                        ; implicit-def: $vgpr85
                                        ; implicit-def: $vgpr4
                                        ; implicit-def: $vgpr10
; %bb.60:
	s_or_saveexec_b64 s[0:1], s[0:1]
	s_lshl_b32 s8, s2, 6
	v_accvgpr_write_b32 a0, s7
	v_accvgpr_write_b32 a1, s7
	;; [unrolled: 1-line block ×16, first 2 shown]
	v_writelane_b32 v93, s0, 10
	s_nop 1
	v_writelane_b32 v93, s1, 11
	s_xor_b64 exec, exec, s[0:1]
	s_cbranch_execz .LBB106_106
; %bb.61:
	v_mul_lo_u32 v0, v4, s3
	v_sub_u32_e32 v0, s4, v0
	v_add_u32_e32 v1, 1, v4
	v_subrev_u32_e32 v5, s3, v0
	v_cmp_le_u32_e32 vcc, s3, v0
	v_writelane_b32 v93, s26, 12
	s_xor_b32 s0, s5, s6
	v_cndmask_b32_e32 v1, v4, v1, vcc
	v_cndmask_b32_e32 v0, v0, v5, vcc
	v_add_u32_e32 v4, 1, v1
	v_cmp_le_u32_e32 vcc, s3, v0
	v_writelane_b32 v93, s27, 13
	v_writelane_b32 v93, s8, 14
	v_cndmask_b32_e32 v0, v1, v4, vcc
	v_xor_b32_e32 v0, s0, v0
	v_subrev_u32_e32 v0, s0, v0
	s_mul_i32 s0, s8, s51
	s_movk_i32 s2, 0x1080
	v_mov_b32_e32 v86, 0x100
	v_writelane_b32 v93, s24, 15
	v_mul_hi_i32 v1, v0, s28
	v_mul_lo_u32 v0, v0, s28
	v_mul_lo_u32 v4, v10, s56
	s_ashr_i32 s1, s0, 31
	v_mad_u32_u24 v10, v78, s2, v86
	s_mul_hi_i32 s3, s29, s24
	v_writelane_b32 v93, s28, 16
	s_mul_i32 s2, s29, s24
	v_ashrrev_i32_e32 v5, 31, v4
	s_lshl_b64 s[0:1], s[0:1], 2
	s_lshl_b64 s[2:3], s[2:3], 2
	v_lshlrev_b64 v[8:9], 2, v[4:5]
	v_writelane_b32 v93, s29, 17
	v_mul_hi_i32 v5, s52, v3
	v_mul_lo_u32 v4, s52, v3
	s_add_u32 s2, s12, s2
	v_writelane_b32 v93, s30, 18
	v_lshlrev_b64 v[4:5], 3, v[4:5]
	s_addc_u32 s3, s13, s3
	v_writelane_b32 v93, s31, 19
	v_lshl_add_u64 v[4:5], s[2:3], 0, v[4:5]
	s_lshl_b32 s2, s52, 3
	v_writelane_b32 v93, s2, 20
	s_mul_i32 s2, s52, 6
	v_lshlrev_b64 v[6:7], 2, v[0:1]
	v_writelane_b32 v93, s2, 21
	s_lshl_b32 s2, s52, 4
	s_waitcnt lgkmcnt(0)
	v_lshl_add_u64 v[0:1], s[10:11], 0, v[6:7]
	v_writelane_b32 v93, s2, 22
	s_mul_i32 s2, s52, 10
	v_lshl_add_u64 v[0:1], v[0:1], 0, v[8:9]
	v_writelane_b32 v93, s2, 23
	s_mul_i32 s2, s52, 12
	v_lshl_add_u64 v[0:1], v[0:1], 0, s[0:1]
	v_writelane_b32 v93, s2, 24
	v_lshl_add_u64 v[6:7], v[6:7], 0, s[0:1]
	s_mul_i32 s0, s52, 26
	v_writelane_b32 v93, s0, 25
	s_mul_i32 s0, s52, 24
	v_writelane_b32 v93, s0, 26
	;; [unrolled: 2-line block ×5, first 2 shown]
	s_mul_i32 s0, s52, 14
	v_lshrrev_b32_e32 v12, 1, v2
	v_writelane_b32 v93, s0, 30
	s_lshl_b32 s0, s52, 1
	v_mul_u32_u24_e32 v11, 0x108, v84
	v_and_b32_e32 v12, 0x1f8, v12
	v_lshl_add_u64 v[8:9], v[6:7], 0, v[8:9]
	v_writelane_b32 v93, s0, 31
	s_mul_i32 s0, s51, 3
	v_lshl_add_u32 v87, v2, 2, v10
	v_add3_u32 v88, v10, v11, v12
	v_or_b32_e32 v10, 1, v3
	v_add_u32_e32 v11, 2, v3
	s_lshl_b32 s50, s52, 2
	v_add_u32_e32 v12, 3, v3
	v_add_u32_e32 v13, 4, v3
	v_add_u32_e32 v14, 5, v3
	v_add_u32_e32 v15, 6, v3
	v_add_u32_e32 v16, 7, v3
	v_add_u32_e32 v17, 8, v3
	v_add_u32_e32 v18, 9, v3
	v_add_u32_e32 v19, 10, v3
	v_add_u32_e32 v20, 11, v3
	v_add_u32_e32 v21, 12, v3
	v_add_u32_e32 v22, 13, v3
	s_ashr_i32 s3, s51, 31
	s_mov_b32 s2, s51
	v_lshlrev_b32_e32 v23, 1, v2
	v_lshlrev_b32_e32 v6, 2, v85
	v_mov_b32_e32 v7, 0
	v_lshl_add_u64 v[8:9], s[10:11], 0, v[8:9]
	v_writelane_b32 v93, s0, 32
	s_mul_i32 s0, s51, 5
	v_lshl_add_u32 v89, v78, 7, v23
	s_lshl_b64 s[2:3], s[2:3], 2
	v_lshl_add_u64 v[8:9], v[8:9], 0, v[6:7]
	s_lshl_b32 s70, s51, 1
	s_lshl_b32 s72, s51, 2
	v_writelane_b32 v93, s0, 33
	s_mul_i32 s74, s51, 6
	s_mul_i32 s75, s51, 7
	s_lshl_b32 s76, s51, 3
	s_mul_i32 s77, s51, 9
	s_mul_i32 s78, s51, 10
	;; [unrolled: 1-line block ×7, first 2 shown]
	s_lshl_b32 s84, s51, 4
	s_mul_i32 s85, s51, 17
	s_mul_i32 s86, s51, 18
	;; [unrolled: 1-line block ×15, first 2 shown]
	s_lshl_b32 s46, s51, 5
	s_mul_i32 s47, s51, 33
	s_mul_i32 s62, s51, 34
	s_mul_i32 s5, s51, 35
	s_mul_i32 s8, s51, 36
	s_mul_i32 s9, s51, 37
	s_mul_i32 s40, s51, 38
	s_mul_i32 s41, s51, 39
	s_mul_i32 s59, s51, 40
	s_mul_i32 s0, s51, 41
	s_mul_i32 s1, s51, 42
	v_cmp_gt_i32_e64 s[10:11], s49, v3
	s_mul_i32 s61, s51, 43
	s_mul_i32 s63, s51, 44
	v_accvgpr_write_b32 a15, 0
	v_accvgpr_write_b32 a14, 0
	;; [unrolled: 1-line block ×16, first 2 shown]
	s_mul_i32 s64, s51, 45
	s_mul_i32 s65, s51, 46
	;; [unrolled: 1-line block ×19, first 2 shown]
	v_cmp_gt_i32_e64 s[12:13], s49, v10
	v_cmp_gt_i32_e64 s[14:15], s49, v11
	;; [unrolled: 1-line block ×13, first 2 shown]
	s_mov_b32 s49, s50
	s_mov_b64 s[50:51], 0
	s_mov_b64 s[54:55], 0x300
	s_branch .LBB106_63
.LBB106_62:                             ;   in Loop: Header=BB106_63 Depth=1
	s_waitcnt vmcnt(0)
	v_cvt_f16_f32_e32 v6, v74
	v_cvt_f16_f32_e32 v74, v75
	v_add_u32_e32 v75, 0xc00, v87
	ds_write_b32 v87, v7 offset:4024
	v_add_u32_e32 v85, 0xc0, v85
	v_pack_b32_f16 v6, v6, v74
	ds_write2_b32 v75, v6, v7 offset0:106 offset1:172
	ds_read2_b64 v[74:77], v88 offset0:8 offset1:12
	v_cmp_le_i32_e32 vcc, s48, v85
	v_add_u32_e32 v89, 0x180, v89
	v_lshl_add_u64 v[8:9], v[8:9], 0, s[54:55]
	s_waitcnt lgkmcnt(0)
	v_mfma_f32_16x16x16_f16 a[12:15], v[16:17], v[74:75], a[12:15]
	s_or_b64 s[50:51], vcc, s[50:51]
	v_mfma_f32_16x16x16_f16 a[8:11], v[42:43], v[74:75], a[8:11]
	v_mfma_f32_16x16x16_f16 a[4:7], v[56:57], v[74:75], a[4:7]
	;; [unrolled: 1-line block ×4, first 2 shown]
	ds_read2_b64 v[14:17], v88 offset0:16 offset1:20
	v_mfma_f32_16x16x16_f16 a[8:11], v[40:41], v[76:77], a[8:11]
	v_mfma_f32_16x16x16_f16 a[4:7], v[54:55], v[76:77], a[4:7]
	;; [unrolled: 1-line block ×3, first 2 shown]
	s_waitcnt lgkmcnt(0)
	v_mfma_f32_16x16x16_f16 a[12:15], v[12:13], v[14:15], a[12:15]
	v_mfma_f32_16x16x16_f16 a[8:11], v[36:37], v[14:15], a[8:11]
	;; [unrolled: 1-line block ×5, first 2 shown]
	ds_read2_b64 v[10:13], v88 offset0:24 offset1:28
	v_mfma_f32_16x16x16_f16 a[8:11], v[34:35], v[16:17], a[8:11]
	v_mfma_f32_16x16x16_f16 a[4:7], v[50:51], v[16:17], a[4:7]
	;; [unrolled: 1-line block ×3, first 2 shown]
	s_waitcnt lgkmcnt(0)
	v_mfma_f32_16x16x16_f16 a[12:15], v[24:25], v[10:11], a[12:15]
	v_mfma_f32_16x16x16_f16 a[8:11], v[32:33], v[10:11], a[8:11]
	;; [unrolled: 1-line block ×8, first 2 shown]
	ds_read2_b64 v[10:13], v88 offset0:32 offset1:36
	s_waitcnt lgkmcnt(0)
	v_mfma_f32_16x16x16_f16 a[12:15], v[20:21], v[10:11], a[12:15]
	v_mfma_f32_16x16x16_f16 a[8:11], v[28:29], v[10:11], a[8:11]
	;; [unrolled: 1-line block ×8, first 2 shown]
	s_andn2_b64 exec, exec, s[50:51]
	s_cbranch_execz .LBB106_105
.LBB106_63:                             ; =>This Inner Loop Header: Depth=1
	v_readlane_b32 vcc_lo, v93, 32
	v_lshl_add_u64 v[10:11], v[8:9], 0, s[2:3]
	global_load_dword v6, v[8:9], off
	global_load_dword v26, v[10:11], off
	v_add_u32_e32 v12, vcc_lo, v85
	v_readlane_b32 vcc_lo, v93, 33
	v_add_u32_e32 v10, s70, v85
	v_add_u32_e32 v14, s72, v85
	v_add_u32_e32 v16, vcc_lo, v85
	v_add_u32_e32 v22, s76, v85
	v_ashrrev_i32_e32 v11, 31, v10
	v_ashrrev_i32_e32 v15, 31, v14
	;; [unrolled: 1-line block ×3, first 2 shown]
	v_add_u32_e32 v18, s74, v85
	v_add_u32_e32 v20, s75, v85
	v_ashrrev_i32_e32 v23, 31, v22
	v_add_u32_e32 v24, s77, v85
	v_lshl_add_u64 v[10:11], v[10:11], 2, v[0:1]
	v_ashrrev_i32_e32 v13, 31, v12
	v_lshl_add_u64 v[14:15], v[14:15], 2, v[0:1]
	v_lshl_add_u64 v[16:17], v[16:17], 2, v[0:1]
	v_ashrrev_i32_e32 v19, 31, v18
	v_ashrrev_i32_e32 v21, 31, v20
	v_lshl_add_u64 v[22:23], v[22:23], 2, v[0:1]
	v_ashrrev_i32_e32 v25, 31, v24
	v_lshl_add_u64 v[12:13], v[12:13], 2, v[0:1]
	v_lshl_add_u64 v[18:19], v[18:19], 2, v[0:1]
	;; [unrolled: 1-line block ×4, first 2 shown]
	global_load_dword v27, v[10:11], off
	global_load_dword v28, v[12:13], off
	;; [unrolled: 1-line block ×6, first 2 shown]
	s_nop 0
	global_load_dword v22, v[22:23], off
	s_nop 0
	global_load_dword v23, v[24:25], off
	v_add_u32_e32 v10, s78, v85
	v_add_u32_e32 v14, s80, v85
	;; [unrolled: 1-line block ×3, first 2 shown]
	v_ashrrev_i32_e32 v11, 31, v10
	v_add_u32_e32 v12, s79, v85
	v_ashrrev_i32_e32 v15, 31, v14
	v_ashrrev_i32_e32 v17, 31, v16
	v_add_u32_e32 v18, s82, v85
	v_add_u32_e32 v20, s83, v85
	v_lshl_add_u64 v[10:11], v[10:11], 2, v[0:1]
	v_ashrrev_i32_e32 v13, 31, v12
	v_lshl_add_u64 v[14:15], v[14:15], 2, v[0:1]
	v_lshl_add_u64 v[16:17], v[16:17], 2, v[0:1]
	v_ashrrev_i32_e32 v19, 31, v18
	v_ashrrev_i32_e32 v21, 31, v20
	v_lshl_add_u64 v[12:13], v[12:13], 2, v[0:1]
	v_lshl_add_u64 v[18:19], v[18:19], 2, v[0:1]
	;; [unrolled: 1-line block ×3, first 2 shown]
	global_load_dword v24, v[10:11], off
	global_load_dword v25, v[12:13], off
	s_nop 0
	global_load_dword v14, v[14:15], off
	s_nop 0
	;; [unrolled: 2-line block ×3, first 2 shown]
	global_load_dword v16, v[18:19], off
	global_load_dword v17, v[20:21], off
	v_add_u32_e32 v10, s84, v85
	v_add_u32_e32 v12, s85, v85
	v_ashrrev_i32_e32 v11, 31, v10
	v_ashrrev_i32_e32 v13, 31, v12
	v_lshl_add_u64 v[10:11], v[10:11], 2, v[0:1]
	v_add_u32_e32 v18, s86, v85
	v_lshl_add_u64 v[12:13], v[12:13], 2, v[0:1]
	global_load_dword v34, v[10:11], off
	global_load_dword v35, v[12:13], off
	v_ashrrev_i32_e32 v19, 31, v18
	v_add_u32_e32 v20, s87, v85
	v_lshl_add_u64 v[18:19], v[18:19], 2, v[0:1]
	v_ashrrev_i32_e32 v21, 31, v20
	v_lshl_add_u64 v[20:21], v[20:21], 2, v[0:1]
	s_andn2_b64 vcc, exec, s[10:11]
	s_waitcnt vmcnt(17)
	ds_write_b32 v87, v6 offset:64
	s_waitcnt vmcnt(16)
	ds_write_b32 v87, v26 offset:328
	;; [unrolled: 2-line block ×16, first 2 shown]
	v_add_u32_e32 v22, s88, v85
	v_add_u32_e32 v24, s89, v85
	;; [unrolled: 1-line block ×6, first 2 shown]
	v_ashrrev_i32_e32 v23, 31, v22
	v_ashrrev_i32_e32 v25, 31, v24
	;; [unrolled: 1-line block ×6, first 2 shown]
	ds_read_b64 v[16:17], v88 offset:64
	ds_read_b64 v[14:15], v88 offset:96
	;; [unrolled: 1-line block ×4, first 2 shown]
	v_lshl_add_u64 v[22:23], v[22:23], 2, v[0:1]
	v_lshl_add_u64 v[24:25], v[24:25], 2, v[0:1]
	v_lshl_add_u64 v[26:27], v[26:27], 2, v[0:1]
	v_lshl_add_u64 v[28:29], v[28:29], 2, v[0:1]
	v_lshl_add_u64 v[30:31], v[30:31], 2, v[0:1]
	v_lshl_add_u64 v[32:33], v[32:33], 2, v[0:1]
	global_load_dword v6, v[18:19], off
	global_load_dword v36, v[20:21], off
	global_load_dword v37, v[22:23], off
	global_load_dword v38, v[24:25], off
	global_load_dword v39, v[26:27], off
	global_load_dword v40, v[28:29], off
	global_load_dword v41, v[30:31], off
	global_load_dword v42, v[32:33], off
	v_add_u32_e32 v18, s94, v85
	v_ashrrev_i32_e32 v19, 31, v18
	v_add_u32_e32 v20, s95, v85
	v_add_u32_e32 v22, s96, v85
	v_add_u32_e32 v24, s97, v85
	v_add_u32_e32 v26, s98, v85
	v_add_u32_e32 v28, s99, v85
	v_add_u32_e32 v30, s46, v85
	v_add_u32_e32 v32, s47, v85
	v_lshl_add_u64 v[18:19], v[18:19], 2, v[0:1]
	v_ashrrev_i32_e32 v21, 31, v20
	v_ashrrev_i32_e32 v23, 31, v22
	v_ashrrev_i32_e32 v25, 31, v24
	v_ashrrev_i32_e32 v27, 31, v26
	v_ashrrev_i32_e32 v29, 31, v28
	v_ashrrev_i32_e32 v31, 31, v30
	v_ashrrev_i32_e32 v33, 31, v32
	v_lshl_add_u64 v[20:21], v[20:21], 2, v[0:1]
	v_lshl_add_u64 v[22:23], v[22:23], 2, v[0:1]
	v_lshl_add_u64 v[24:25], v[24:25], 2, v[0:1]
	v_lshl_add_u64 v[26:27], v[26:27], 2, v[0:1]
	v_lshl_add_u64 v[28:29], v[28:29], 2, v[0:1]
	v_lshl_add_u64 v[30:31], v[30:31], 2, v[0:1]
	v_lshl_add_u64 v[32:33], v[32:33], 2, v[0:1]
	global_load_dword v43, v[18:19], off
	global_load_dword v44, v[20:21], off
	global_load_dword v45, v[22:23], off
	global_load_dword v46, v[24:25], off
	global_load_dword v47, v[26:27], off
	global_load_dword v48, v[28:29], off
	global_load_dword v49, v[30:31], off
	global_load_dword v50, v[32:33], off
	v_add_u32_e32 v18, s62, v85
	v_ashrrev_i32_e32 v19, 31, v18
	v_add_u32_e32 v20, s5, v85
	v_add_u32_e32 v22, s8, v85
	v_add_u32_e32 v24, s9, v85
	v_add_u32_e32 v26, s40, v85
	v_add_u32_e32 v28, s41, v85
	v_add_u32_e32 v30, s59, v85
	v_add_u32_e32 v32, s0, v85
	v_lshl_add_u64 v[18:19], v[18:19], 2, v[0:1]
	v_ashrrev_i32_e32 v21, 31, v20
	v_ashrrev_i32_e32 v23, 31, v22
	v_ashrrev_i32_e32 v25, 31, v24
	v_ashrrev_i32_e32 v27, 31, v26
	v_ashrrev_i32_e32 v29, 31, v28
	v_ashrrev_i32_e32 v31, 31, v30
	v_ashrrev_i32_e32 v33, 31, v32
	v_lshl_add_u64 v[20:21], v[20:21], 2, v[0:1]
	;; [unrolled: 32-line block ×4, first 2 shown]
	v_lshl_add_u64 v[22:23], v[22:23], 2, v[0:1]
	v_lshl_add_u64 v[24:25], v[24:25], 2, v[0:1]
	;; [unrolled: 1-line block ×6, first 2 shown]
	global_load_dword v67, v[18:19], off
	global_load_dword v68, v[20:21], off
	;; [unrolled: 1-line block ×8, first 2 shown]
	v_add_u32_e32 v18, s4, v85
	v_ashrrev_i32_e32 v19, 31, v18
	v_add_u32_e32 v20, s56, v85
	v_add_u32_e32 v22, s60, v85
	;; [unrolled: 1-line block ×5, first 2 shown]
	v_lshl_add_u64 v[18:19], v[18:19], 2, v[0:1]
	v_ashrrev_i32_e32 v21, 31, v20
	v_ashrrev_i32_e32 v23, 31, v22
	;; [unrolled: 1-line block ×5, first 2 shown]
	v_lshl_add_u64 v[20:21], v[20:21], 2, v[0:1]
	v_lshl_add_u64 v[22:23], v[22:23], 2, v[0:1]
	v_lshl_add_u64 v[24:25], v[24:25], 2, v[0:1]
	v_lshl_add_u64 v[26:27], v[26:27], 2, v[0:1]
	v_lshl_add_u64 v[28:29], v[28:29], 2, v[0:1]
	global_load_dword v75, v[18:19], off
	global_load_dword v76, v[20:21], off
	;; [unrolled: 1-line block ×6, first 2 shown]
	ds_read_b64 v[24:25], v88 offset:192
	ds_read_b64 v[22:23], v88 offset:224
	ds_read_b64 v[20:21], v88 offset:256
	ds_read_b64 v[18:19], v88 offset:288
	s_waitcnt vmcnt(47)
	ds_write_b32 v87, v34 offset:64
	s_waitcnt vmcnt(46)
	ds_write_b32 v87, v35 offset:328
	s_waitcnt vmcnt(45)
	ds_write_b32 v87, v6 offset:592
	s_waitcnt vmcnt(44)
	ds_write_b32 v87, v36 offset:856
	s_waitcnt vmcnt(43)
	ds_write_b32 v87, v37 offset:1120
	s_waitcnt vmcnt(42)
	ds_write_b32 v87, v38 offset:1384
	s_waitcnt vmcnt(41)
	ds_write_b32 v87, v39 offset:1648
	s_waitcnt vmcnt(40)
	ds_write_b32 v87, v40 offset:1912
	s_waitcnt vmcnt(39)
	ds_write_b32 v87, v41 offset:2176
	s_waitcnt vmcnt(38)
	ds_write_b32 v87, v42 offset:2440
	s_waitcnt vmcnt(37)
	ds_write_b32 v87, v43 offset:2704
	s_waitcnt vmcnt(36)
	ds_write_b32 v87, v44 offset:2968
	s_waitcnt vmcnt(35)
	ds_write_b32 v87, v45 offset:3232
	s_waitcnt vmcnt(34)
	ds_write_b32 v87, v46 offset:3496
	s_waitcnt vmcnt(33)
	ds_write_b32 v87, v47 offset:3760
	s_waitcnt vmcnt(32)
	ds_write_b32 v87, v48 offset:4024
	ds_read_b64 v[42:43], v88 offset:64
	ds_read_b64 v[40:41], v88 offset:96
	ds_read_b64 v[36:37], v88 offset:128
	ds_read_b64 v[34:35], v88 offset:160
	ds_read_b64 v[32:33], v88 offset:192
	ds_read_b64 v[30:31], v88 offset:224
	ds_read_b64 v[28:29], v88 offset:256
	ds_read_b64 v[26:27], v88 offset:288
	s_waitcnt vmcnt(31)
	ds_write_b32 v87, v49 offset:64
	s_waitcnt vmcnt(30)
	ds_write_b32 v87, v50 offset:328
	s_waitcnt vmcnt(29)
	ds_write_b32 v87, v51 offset:592
	s_waitcnt vmcnt(28)
	ds_write_b32 v87, v52 offset:856
	s_waitcnt vmcnt(27)
	ds_write_b32 v87, v53 offset:1120
	s_waitcnt vmcnt(26)
	ds_write_b32 v87, v54 offset:1384
	s_waitcnt vmcnt(25)
	ds_write_b32 v87, v55 offset:1648
	s_waitcnt vmcnt(24)
	ds_write_b32 v87, v56 offset:1912
	s_waitcnt vmcnt(23)
	ds_write_b32 v87, v57 offset:2176
	s_waitcnt vmcnt(22)
	ds_write_b32 v87, v58 offset:2440
	s_waitcnt vmcnt(21)
	ds_write_b32 v87, v59 offset:2704
	s_waitcnt vmcnt(20)
	ds_write_b32 v87, v60 offset:2968
	s_waitcnt vmcnt(19)
	ds_write_b32 v87, v61 offset:3232
	s_waitcnt vmcnt(18)
	ds_write_b32 v87, v62 offset:3496
	s_waitcnt vmcnt(17)
	ds_write_b32 v87, v63 offset:3760
	s_waitcnt vmcnt(16)
	ds_write_b32 v87, v64 offset:4024
	ds_read_b64 v[56:57], v88 offset:64
	ds_read_b64 v[54:55], v88 offset:96
	ds_read_b64 v[52:53], v88 offset:128
	ds_read_b64 v[50:51], v88 offset:160
	;; [unrolled: 40-line block ×3, first 2 shown]
	ds_read_b64 v[68:69], v88 offset:192
	ds_read_b64 v[64:65], v88 offset:224
	;; [unrolled: 1-line block ×4, first 2 shown]
	v_mov_b32_e32 v74, 0
	v_mov_b32_e32 v75, 0
	s_cbranch_vccnz .LBB106_66
; %bb.64:                               ;   in Loop: Header=BB106_63 Depth=1
	ds_read_b32 v6, v86
	v_mov_b32_e32 v75, 0
	v_mov_b32_e32 v74, 0
	s_waitcnt lgkmcnt(0)
	v_cmp_gt_i32_e32 vcc, 0, v6
	s_cbranch_vccnz .LBB106_66
; %bb.65:                               ;   in Loop: Header=BB106_63 Depth=1
	v_mul_lo_u32 v6, v6, s57
	v_add_u32_e32 v74, v89, v6
	v_ashrrev_i32_e32 v75, 31, v74
	v_lshl_add_u64 v[74:75], v[74:75], 2, v[4:5]
	global_load_dwordx2 v[74:75], v[74:75], off
.LBB106_66:                             ;   in Loop: Header=BB106_63 Depth=1
	s_waitcnt vmcnt(0)
	v_cvt_f16_f32_e32 v6, v74
	v_cvt_f16_f32_e32 v74, v75
	s_andn2_b64 vcc, exec, s[12:13]
	v_mov_b32_e32 v76, 0
	v_mov_b32_e32 v77, 0
	v_pack_b32_f16 v6, v6, v74
	v_mov_b32_e32 v74, 0
	ds_write_b32 v87, v6 offset:64
	s_cbranch_vccnz .LBB106_69
; %bb.67:                               ;   in Loop: Header=BB106_63 Depth=1
	ds_read_b32 v6, v86 offset:4
	v_mov_b32_e32 v77, 0
	v_mov_b32_e32 v76, 0
	s_waitcnt lgkmcnt(0)
	v_cmp_gt_i32_e32 vcc, 0, v6
	s_cbranch_vccnz .LBB106_69
; %bb.68:                               ;   in Loop: Header=BB106_63 Depth=1
	v_mul_lo_u32 v6, v6, s57
	v_readlane_b32 vcc_lo, v93, 31
	s_nop 1
	v_add_u32_e32 v6, vcc_lo, v6
	v_add_u32_e32 v76, v6, v89
	v_ashrrev_i32_e32 v77, 31, v76
	v_lshl_add_u64 v[76:77], v[76:77], 2, v[4:5]
	global_load_dwordx2 v[76:77], v[76:77], off
.LBB106_69:                             ;   in Loop: Header=BB106_63 Depth=1
	s_waitcnt vmcnt(0)
	v_cvt_f16_f32_e32 v6, v76
	v_cvt_f16_f32_e32 v75, v77
	s_andn2_b64 vcc, exec, s[14:15]
	v_pack_b32_f16 v6, v6, v75
	v_mov_b32_e32 v75, 0
	ds_write_b32 v87, v6 offset:328
	s_cbranch_vccnz .LBB106_72
; %bb.70:                               ;   in Loop: Header=BB106_63 Depth=1
	ds_read_b32 v6, v86 offset:8
	v_mov_b32_e32 v75, 0
	v_mov_b32_e32 v74, 0
	s_waitcnt lgkmcnt(0)
	v_cmp_gt_i32_e32 vcc, 0, v6
	s_cbranch_vccnz .LBB106_72
; %bb.71:                               ;   in Loop: Header=BB106_63 Depth=1
	v_mul_lo_u32 v6, v6, s57
	v_add_u32_e32 v6, s49, v6
	v_add_u32_e32 v74, v6, v89
	v_ashrrev_i32_e32 v75, 31, v74
	v_lshl_add_u64 v[74:75], v[74:75], 2, v[4:5]
	global_load_dwordx2 v[74:75], v[74:75], off
.LBB106_72:                             ;   in Loop: Header=BB106_63 Depth=1
	s_waitcnt vmcnt(0)
	v_cvt_f16_f32_e32 v6, v74
	v_cvt_f16_f32_e32 v74, v75
	s_andn2_b64 vcc, exec, s[16:17]
	v_mov_b32_e32 v76, 0
	v_mov_b32_e32 v77, 0
	v_pack_b32_f16 v6, v6, v74
	v_mov_b32_e32 v74, 0
	ds_write_b32 v87, v6 offset:592
	s_cbranch_vccnz .LBB106_75
; %bb.73:                               ;   in Loop: Header=BB106_63 Depth=1
	ds_read_b32 v6, v86 offset:12
	v_mov_b32_e32 v77, 0
	v_mov_b32_e32 v76, 0
	s_waitcnt lgkmcnt(0)
	v_cmp_gt_i32_e32 vcc, 0, v6
	s_cbranch_vccnz .LBB106_75
; %bb.74:                               ;   in Loop: Header=BB106_63 Depth=1
	v_mul_lo_u32 v6, v6, s57
	v_readlane_b32 vcc_lo, v93, 21
	s_nop 1
	v_add_u32_e32 v6, vcc_lo, v6
	v_add_u32_e32 v76, v6, v89
	v_ashrrev_i32_e32 v77, 31, v76
	v_lshl_add_u64 v[76:77], v[76:77], 2, v[4:5]
	global_load_dwordx2 v[76:77], v[76:77], off
.LBB106_75:                             ;   in Loop: Header=BB106_63 Depth=1
	s_waitcnt vmcnt(0)
	v_cvt_f16_f32_e32 v6, v76
	v_cvt_f16_f32_e32 v75, v77
	s_andn2_b64 vcc, exec, s[18:19]
	v_pack_b32_f16 v6, v6, v75
	v_mov_b32_e32 v75, 0
	ds_write_b32 v87, v6 offset:856
	s_cbranch_vccnz .LBB106_78
; %bb.76:                               ;   in Loop: Header=BB106_63 Depth=1
	ds_read_b32 v6, v86 offset:16
	v_mov_b32_e32 v75, 0
	v_mov_b32_e32 v74, 0
	s_waitcnt lgkmcnt(0)
	v_cmp_gt_i32_e32 vcc, 0, v6
	s_cbranch_vccnz .LBB106_78
; %bb.77:                               ;   in Loop: Header=BB106_63 Depth=1
	v_mul_lo_u32 v6, v6, s57
	v_readlane_b32 vcc_lo, v93, 20
	s_nop 1
	v_add_u32_e32 v6, vcc_lo, v6
	v_add_u32_e32 v74, v6, v89
	v_ashrrev_i32_e32 v75, 31, v74
	v_lshl_add_u64 v[74:75], v[74:75], 2, v[4:5]
	global_load_dwordx2 v[74:75], v[74:75], off
.LBB106_78:                             ;   in Loop: Header=BB106_63 Depth=1
	s_waitcnt vmcnt(0)
	v_cvt_f16_f32_e32 v6, v74
	v_cvt_f16_f32_e32 v74, v75
	s_andn2_b64 vcc, exec, s[20:21]
	v_mov_b32_e32 v76, 0
	v_mov_b32_e32 v77, 0
	v_pack_b32_f16 v6, v6, v74
	v_mov_b32_e32 v74, 0
	ds_write_b32 v87, v6 offset:1120
	s_cbranch_vccnz .LBB106_81
; %bb.79:                               ;   in Loop: Header=BB106_63 Depth=1
	ds_read_b32 v6, v86 offset:20
	v_mov_b32_e32 v77, 0
	v_mov_b32_e32 v76, 0
	s_waitcnt lgkmcnt(0)
	v_cmp_gt_i32_e32 vcc, 0, v6
	s_cbranch_vccnz .LBB106_81
; %bb.80:                               ;   in Loop: Header=BB106_63 Depth=1
	v_mul_lo_u32 v6, v6, s57
	v_readlane_b32 vcc_lo, v93, 23
	s_nop 1
	v_add_u32_e32 v6, vcc_lo, v6
	v_add_u32_e32 v76, v6, v89
	v_ashrrev_i32_e32 v77, 31, v76
	v_lshl_add_u64 v[76:77], v[76:77], 2, v[4:5]
	global_load_dwordx2 v[76:77], v[76:77], off
.LBB106_81:                             ;   in Loop: Header=BB106_63 Depth=1
	s_waitcnt vmcnt(0)
	v_cvt_f16_f32_e32 v6, v76
	v_cvt_f16_f32_e32 v75, v77
	s_andn2_b64 vcc, exec, s[22:23]
	v_pack_b32_f16 v6, v6, v75
	v_mov_b32_e32 v75, 0
	ds_write_b32 v87, v6 offset:1384
	s_cbranch_vccnz .LBB106_84
; %bb.82:                               ;   in Loop: Header=BB106_63 Depth=1
	ds_read_b32 v6, v86 offset:24
	v_mov_b32_e32 v75, 0
	v_mov_b32_e32 v74, 0
	s_waitcnt lgkmcnt(0)
	v_cmp_gt_i32_e32 vcc, 0, v6
	s_cbranch_vccnz .LBB106_84
; %bb.83:                               ;   in Loop: Header=BB106_63 Depth=1
	v_mul_lo_u32 v6, v6, s57
	v_readlane_b32 vcc_lo, v93, 24
	s_nop 1
	v_add_u32_e32 v6, vcc_lo, v6
	v_add_u32_e32 v74, v6, v89
	v_ashrrev_i32_e32 v75, 31, v74
	v_lshl_add_u64 v[74:75], v[74:75], 2, v[4:5]
	global_load_dwordx2 v[74:75], v[74:75], off
.LBB106_84:                             ;   in Loop: Header=BB106_63 Depth=1
	s_waitcnt vmcnt(0)
	v_cvt_f16_f32_e32 v6, v74
	v_cvt_f16_f32_e32 v74, v75
	s_andn2_b64 vcc, exec, s[24:25]
	v_mov_b32_e32 v76, 0
	v_mov_b32_e32 v77, 0
	v_pack_b32_f16 v6, v6, v74
	v_mov_b32_e32 v74, 0
	ds_write_b32 v87, v6 offset:1648
	s_cbranch_vccnz .LBB106_87
; %bb.85:                               ;   in Loop: Header=BB106_63 Depth=1
	ds_read_b32 v6, v86 offset:28
	v_mov_b32_e32 v77, 0
	v_mov_b32_e32 v76, 0
	s_waitcnt lgkmcnt(0)
	v_cmp_gt_i32_e32 vcc, 0, v6
	s_cbranch_vccnz .LBB106_87
; %bb.86:                               ;   in Loop: Header=BB106_63 Depth=1
	v_mul_lo_u32 v6, v6, s57
	v_readlane_b32 vcc_lo, v93, 30
	s_nop 1
	v_add_u32_e32 v6, vcc_lo, v6
	v_add_u32_e32 v76, v6, v89
	v_ashrrev_i32_e32 v77, 31, v76
	v_lshl_add_u64 v[76:77], v[76:77], 2, v[4:5]
	global_load_dwordx2 v[76:77], v[76:77], off
.LBB106_87:                             ;   in Loop: Header=BB106_63 Depth=1
	s_waitcnt vmcnt(0)
	v_cvt_f16_f32_e32 v6, v76
	v_cvt_f16_f32_e32 v75, v77
	s_andn2_b64 vcc, exec, s[26:27]
	v_pack_b32_f16 v6, v6, v75
	v_mov_b32_e32 v75, 0
	ds_write_b32 v87, v6 offset:1912
	s_cbranch_vccnz .LBB106_90
; %bb.88:                               ;   in Loop: Header=BB106_63 Depth=1
	ds_read_b32 v6, v86 offset:32
	v_mov_b32_e32 v75, 0
	v_mov_b32_e32 v74, 0
	s_waitcnt lgkmcnt(0)
	v_cmp_gt_i32_e32 vcc, 0, v6
	s_cbranch_vccnz .LBB106_90
; %bb.89:                               ;   in Loop: Header=BB106_63 Depth=1
	v_mul_lo_u32 v6, v6, s57
	v_readlane_b32 vcc_lo, v93, 22
	s_nop 1
	v_add_u32_e32 v6, vcc_lo, v6
	v_add_u32_e32 v74, v6, v89
	v_ashrrev_i32_e32 v75, 31, v74
	v_lshl_add_u64 v[74:75], v[74:75], 2, v[4:5]
	global_load_dwordx2 v[74:75], v[74:75], off
.LBB106_90:                             ;   in Loop: Header=BB106_63 Depth=1
	s_waitcnt vmcnt(0)
	v_cvt_f16_f32_e32 v6, v74
	v_cvt_f16_f32_e32 v74, v75
	s_andn2_b64 vcc, exec, s[28:29]
	v_mov_b32_e32 v76, 0
	v_mov_b32_e32 v77, 0
	v_pack_b32_f16 v6, v6, v74
	v_mov_b32_e32 v74, 0
	ds_write_b32 v87, v6 offset:2176
	s_cbranch_vccnz .LBB106_93
; %bb.91:                               ;   in Loop: Header=BB106_63 Depth=1
	ds_read_b32 v6, v86 offset:36
	v_mov_b32_e32 v77, 0
	v_mov_b32_e32 v76, 0
	s_waitcnt lgkmcnt(0)
	v_cmp_gt_i32_e32 vcc, 0, v6
	s_cbranch_vccnz .LBB106_93
; %bb.92:                               ;   in Loop: Header=BB106_63 Depth=1
	v_mul_lo_u32 v6, v6, s57
	v_readlane_b32 vcc_lo, v93, 29
	s_nop 1
	v_add_u32_e32 v6, vcc_lo, v6
	v_add_u32_e32 v76, v6, v89
	v_ashrrev_i32_e32 v77, 31, v76
	v_lshl_add_u64 v[76:77], v[76:77], 2, v[4:5]
	global_load_dwordx2 v[76:77], v[76:77], off
.LBB106_93:                             ;   in Loop: Header=BB106_63 Depth=1
	s_waitcnt vmcnt(0)
	v_cvt_f16_f32_e32 v6, v76
	v_cvt_f16_f32_e32 v75, v77
	s_andn2_b64 vcc, exec, s[30:31]
	v_pack_b32_f16 v6, v6, v75
	v_mov_b32_e32 v75, 0
	ds_write_b32 v87, v6 offset:2440
	s_cbranch_vccnz .LBB106_96
; %bb.94:                               ;   in Loop: Header=BB106_63 Depth=1
	ds_read_b32 v6, v86 offset:40
	v_mov_b32_e32 v75, 0
	v_mov_b32_e32 v74, 0
	s_waitcnt lgkmcnt(0)
	v_cmp_gt_i32_e32 vcc, 0, v6
	s_cbranch_vccnz .LBB106_96
; %bb.95:                               ;   in Loop: Header=BB106_63 Depth=1
	v_mul_lo_u32 v6, v6, s57
	v_readlane_b32 vcc_lo, v93, 28
	s_nop 1
	v_add_u32_e32 v6, vcc_lo, v6
	v_add_u32_e32 v74, v6, v89
	v_ashrrev_i32_e32 v75, 31, v74
	v_lshl_add_u64 v[74:75], v[74:75], 2, v[4:5]
	global_load_dwordx2 v[74:75], v[74:75], off
.LBB106_96:                             ;   in Loop: Header=BB106_63 Depth=1
	s_waitcnt vmcnt(0)
	v_cvt_f16_f32_e32 v6, v74
	v_cvt_f16_f32_e32 v74, v75
	s_andn2_b64 vcc, exec, s[34:35]
	v_mov_b32_e32 v76, 0
	v_mov_b32_e32 v77, 0
	v_pack_b32_f16 v6, v6, v74
	v_mov_b32_e32 v74, 0
	ds_write_b32 v87, v6 offset:2704
	s_cbranch_vccnz .LBB106_99
; %bb.97:                               ;   in Loop: Header=BB106_63 Depth=1
	ds_read_b32 v6, v86 offset:44
	v_mov_b32_e32 v77, 0
	v_mov_b32_e32 v76, 0
	s_waitcnt lgkmcnt(0)
	v_cmp_gt_i32_e32 vcc, 0, v6
	s_cbranch_vccnz .LBB106_99
; %bb.98:                               ;   in Loop: Header=BB106_63 Depth=1
	v_mul_lo_u32 v6, v6, s57
	v_readlane_b32 vcc_lo, v93, 27
	s_nop 1
	v_add_u32_e32 v6, vcc_lo, v6
	v_add_u32_e32 v76, v6, v89
	v_ashrrev_i32_e32 v77, 31, v76
	v_lshl_add_u64 v[76:77], v[76:77], 2, v[4:5]
	global_load_dwordx2 v[76:77], v[76:77], off
.LBB106_99:                             ;   in Loop: Header=BB106_63 Depth=1
	s_waitcnt vmcnt(0)
	v_cvt_f16_f32_e32 v6, v76
	v_cvt_f16_f32_e32 v75, v77
	s_andn2_b64 vcc, exec, s[36:37]
	v_pack_b32_f16 v6, v6, v75
	v_mov_b32_e32 v75, 0
	ds_write_b32 v87, v6 offset:2968
	s_cbranch_vccnz .LBB106_102
; %bb.100:                              ;   in Loop: Header=BB106_63 Depth=1
	ds_read_b32 v6, v86 offset:48
	v_mov_b32_e32 v75, 0
	v_mov_b32_e32 v74, 0
	s_waitcnt lgkmcnt(0)
	v_cmp_gt_i32_e32 vcc, 0, v6
	s_cbranch_vccnz .LBB106_102
; %bb.101:                              ;   in Loop: Header=BB106_63 Depth=1
	v_mul_lo_u32 v6, v6, s57
	v_readlane_b32 vcc_lo, v93, 26
	s_nop 1
	v_add_u32_e32 v6, vcc_lo, v6
	v_add_u32_e32 v74, v6, v89
	v_ashrrev_i32_e32 v75, 31, v74
	v_lshl_add_u64 v[74:75], v[74:75], 2, v[4:5]
	global_load_dwordx2 v[74:75], v[74:75], off
.LBB106_102:                            ;   in Loop: Header=BB106_63 Depth=1
	s_waitcnt vmcnt(0)
	v_cvt_f16_f32_e32 v6, v74
	v_cvt_f16_f32_e32 v74, v75
	s_andn2_b64 vcc, exec, s[38:39]
	v_mov_b32_e32 v75, 0
	v_pack_b32_f16 v6, v6, v74
	v_mov_b32_e32 v74, 0
	ds_write_b32 v87, v6 offset:3232
	s_cbranch_vccnz .LBB106_62
; %bb.103:                              ;   in Loop: Header=BB106_63 Depth=1
	ds_read_b32 v6, v86 offset:52
	v_mov_b32_e32 v75, 0
	v_mov_b32_e32 v74, 0
	s_waitcnt lgkmcnt(0)
	v_cmp_gt_i32_e32 vcc, 0, v6
	s_cbranch_vccnz .LBB106_62
; %bb.104:                              ;   in Loop: Header=BB106_63 Depth=1
	v_mul_lo_u32 v6, v6, s57
	v_readlane_b32 vcc_lo, v93, 25
	s_nop 1
	v_add_u32_e32 v6, vcc_lo, v6
	v_add_u32_e32 v74, v6, v89
	v_ashrrev_i32_e32 v75, 31, v74
	v_lshl_add_u64 v[74:75], v[74:75], 2, v[4:5]
	global_load_dwordx2 v[74:75], v[74:75], off
	s_branch .LBB106_62
.LBB106_105:
	s_or_b64 exec, exec, s[50:51]
	v_readlane_b32 s26, v93, 12
	v_readlane_b32 s28, v93, 16
	;; [unrolled: 1-line block ×8, first 2 shown]
.LBB106_106:
	v_readlane_b32 s0, v93, 10
	v_readlane_b32 s1, v93, 11
	s_or_b64 exec, exec, s[0:1]
	v_mul_u32_u24_e32 v0, 0x308, v84
	s_movk_i32 s1, 0x100
	v_lshlrev_b32_e32 v1, 2, v83
	v_add3_u32 v0, s1, v0, v1
	v_and_b32_e32 v4, 0x3f0, v2
	v_add_u32_e32 v5, v0, v4
	s_waitcnt lgkmcnt(0)
	s_barrier
	ds_write2_b32 v5, a12, a13 offset0:16 offset1:17
	v_or_b32_e32 v5, 12, v2
	v_add_u32_e32 v1, 64, v0
	v_and_b32_e32 v5, 0x3fc, v5
	v_add_u32_e32 v4, v1, v4
	v_add_u32_e32 v0, v0, v5
	ds_write_b32 v4, a14 offset:8
	ds_write_b32 v0, a15 offset:64
	ds_write2_b32 v4, a8, a9 offset0:16 offset1:17
	ds_write_b32 v4, a10 offset:72
	v_add_u32_e32 v0, v1, v5
	ds_write_b32 v0, a11 offset:64
	ds_write2_b32 v4, a4, a5 offset0:32 offset1:33
	ds_write_b32 v4, a6 offset:136
	ds_write_b32 v0, a7 offset:128
	ds_write2_b32 v4, a0, a1 offset0:48 offset1:49
	ds_write_b32 v4, a2 offset:200
	ds_write_b32 v0, a3 offset:192
	v_mov_b32_e32 v0, 0x100
	s_movk_i32 s0, 0x308
	v_lshl_add_u32 v7, v2, 2, v0
	v_mad_u32_u24 v1, v78, s0, v7
	s_waitcnt lgkmcnt(0)
	s_barrier
	ds_read2_b32 v[4:5], v1 offset0:16 offset1:80
	ds_read_b32 v8, v1 offset:576
	v_cmp_gt_u32_e32 vcc, 14, v78
	v_mov_b32_e32 v9, -1
	s_and_saveexec_b64 s[0:1], vcc
	s_cbranch_execz .LBB106_108
; %bb.107:
	v_lshl_add_u32 v0, v78, 2, v0
	ds_read_b32 v9, v0
.LBB106_108:
	s_or_b64 exec, exec, s[0:1]
	s_mul_hi_i32 s1, s30, s24
	s_mul_i32 s0, s30, s24
	s_lshl_b64 s[0:1], s[0:1], 2
	v_readlane_b32 s2, v93, 8
	v_mul_hi_i32 v1, v3, s53
	v_mul_lo_u32 v0, v3, s53
	v_readlane_b32 s3, v93, 9
	s_add_u32 s0, s2, s0
	s_addc_u32 s1, s3, s1
	v_lshlrev_b64 v[0:1], 2, v[0:1]
	s_waitcnt lgkmcnt(0)
	v_cmp_lt_i32_e32 vcc, -1, v9
	v_mul_u32_u24_e32 v10, 0x308, v78
	v_add_u32_e32 v6, s8, v2
	v_lshl_add_u64 v[0:1], s[0:1], 0, v[0:1]
	s_and_b64 s[2:3], vcc, s[26:27]
	s_and_saveexec_b64 s[0:1], s[2:3]
	s_cbranch_execz .LBB106_110
; %bb.109:
	v_add_f32_e32 v2, 0, v4
	v_add_f32_e32 v2, v2, v5
	;; [unrolled: 1-line block ×3, first 2 shown]
	v_mul_lo_u32 v2, v9, s58
	v_mul_lo_u32 v3, v78, s53
	v_add3_u32 v2, v6, v3, v2
	v_mov_b32_e32 v3, 0
	v_lshl_add_u64 v[2:3], v[2:3], 2, v[0:1]
	global_store_dword v[2:3], v4, off
.LBB106_110:
	s_or_b64 exec, exec, s[0:1]
	v_add_u32_e32 v4, v10, v7
	v_add_u32_e32 v2, 0x58, v4
	ds_read2st64_b32 v[2:3], v2 offset0:9 offset1:10
	ds_read_b32 v5, v4 offset:2904
	v_cmp_gt_u32_e32 vcc, 11, v78
	v_mov_b32_e32 v7, -1
	s_and_saveexec_b64 s[0:1], vcc
	s_cbranch_execz .LBB106_112
; %bb.111:
	v_mov_b32_e32 v7, 0x100
	v_lshl_add_u32 v7, v78, 2, v7
	ds_read_b32 v7, v7 offset:12
.LBB106_112:
	s_or_b64 exec, exec, s[0:1]
	v_readlane_b32 s0, v93, 0
	s_waitcnt lgkmcnt(0)
	v_cmp_lt_i32_e32 vcc, -1, v7
	v_readlane_b32 s1, v93, 1
	s_and_b64 s[2:3], vcc, s[0:1]
	s_and_saveexec_b64 s[0:1], s[2:3]
	s_cbranch_execz .LBB106_114
; %bb.113:
	v_add_f32_e32 v2, 0, v2
	v_add_f32_e32 v2, v2, v3
	v_add_f32_e32 v5, v2, v5
	v_mul_lo_u32 v2, v7, s58
	v_mul_lo_u32 v3, v79, s53
	v_add3_u32 v2, v6, v3, v2
	v_mov_b32_e32 v3, 0
	v_lshl_add_u64 v[2:3], v[2:3], 2, v[0:1]
	global_store_dword v[2:3], v5, off
.LBB106_114:
	s_or_b64 exec, exec, s[0:1]
	v_add_u32_e32 v2, 0x70, v4
	ds_read2st64_b32 v[2:3], v2 offset0:18 offset1:19
	ds_read_b32 v5, v4 offset:5232
	v_cmp_gt_u32_e32 vcc, 8, v78
	v_mov_b32_e32 v7, -1
	s_and_saveexec_b64 s[0:1], vcc
	s_cbranch_execz .LBB106_116
; %bb.115:
	v_mov_b32_e32 v7, 0x100
	v_lshl_add_u32 v7, v78, 2, v7
	ds_read_b32 v7, v7 offset:24
.LBB106_116:
	s_or_b64 exec, exec, s[0:1]
	v_readlane_b32 s0, v93, 2
	s_waitcnt lgkmcnt(0)
	v_cmp_lt_i32_e32 vcc, -1, v7
	v_readlane_b32 s1, v93, 3
	s_and_b64 s[2:3], vcc, s[0:1]
	s_and_saveexec_b64 s[0:1], s[2:3]
	s_cbranch_execz .LBB106_118
; %bb.117:
	v_add_f32_e32 v2, 0, v2
	v_add_f32_e32 v2, v2, v3
	v_add_f32_e32 v5, v2, v5
	v_mul_lo_u32 v2, v7, s58
	v_mul_lo_u32 v3, v80, s53
	v_add3_u32 v2, v6, v3, v2
	v_mov_b32_e32 v3, 0
	v_lshl_add_u64 v[2:3], v[2:3], 2, v[0:1]
	global_store_dword v[2:3], v5, off
.LBB106_118:
	s_or_b64 exec, exec, s[0:1]
	;; [unrolled: 32-line block ×3, first 2 shown]
	v_cmp_gt_u32_e32 vcc, 2, v78
	s_and_saveexec_b64 s[0:1], vcc
	s_cbranch_execz .LBB106_125
; %bb.123:
	v_mov_b32_e32 v2, 0x100
	v_lshl_add_u32 v2, v78, 2, v2
	ds_read_b32 v2, v2 offset:48
	v_readlane_b32 s0, v93, 6
	v_readlane_b32 s1, v93, 7
	s_waitcnt lgkmcnt(0)
	v_cmp_lt_i32_e32 vcc, -1, v2
	s_and_b64 s[0:1], vcc, s[0:1]
	s_and_b64 exec, exec, s[0:1]
	s_cbranch_execz .LBB106_125
; %bb.124:
	v_add_u32_e32 v3, 0xa0, v4
	ds_read2st64_b32 v[8:9], v3 offset0:36 offset1:37
	ds_read_b32 v3, v4 offset:9888
	v_mul_lo_u32 v2, v2, s58
	v_mul_lo_u32 v4, v82, s53
	v_add3_u32 v2, v6, v4, v2
	s_waitcnt lgkmcnt(1)
	v_add_f32_e32 v4, 0, v8
	v_add_f32_e32 v4, v4, v9
	s_waitcnt lgkmcnt(0)
	v_add_f32_e32 v4, v4, v3
	v_mov_b32_e32 v3, 0
	v_lshl_add_u64 v[0:1], v[2:3], 2, v[0:1]
	global_store_dword v[0:1], v4, off
.LBB106_125:
	s_endpgm
	.section	.rodata,"a",@progbits
	.p2align	6, 0x0
	.amdhsa_kernel _ZL9mul_mat_fI7__half2Li64ELi14ELi3ELb1EEvPKT_PKfPKiPfiiiiiiiiiiiiiiii
		.amdhsa_group_segment_fixed_size 256
		.amdhsa_private_segment_fixed_size 0
		.amdhsa_kernarg_size 352
		.amdhsa_user_sgpr_count 2
		.amdhsa_user_sgpr_dispatch_ptr 0
		.amdhsa_user_sgpr_queue_ptr 0
		.amdhsa_user_sgpr_kernarg_segment_ptr 1
		.amdhsa_user_sgpr_dispatch_id 0
		.amdhsa_user_sgpr_kernarg_preload_length 0
		.amdhsa_user_sgpr_kernarg_preload_offset 0
		.amdhsa_user_sgpr_private_segment_size 0
		.amdhsa_uses_dynamic_stack 0
		.amdhsa_enable_private_segment 0
		.amdhsa_system_sgpr_workgroup_id_x 1
		.amdhsa_system_sgpr_workgroup_id_y 1
		.amdhsa_system_sgpr_workgroup_id_z 1
		.amdhsa_system_sgpr_workgroup_info 0
		.amdhsa_system_vgpr_workitem_id 2
		.amdhsa_next_free_vgpr 112
		.amdhsa_next_free_sgpr 100
		.amdhsa_accum_offset 96
		.amdhsa_reserve_vcc 1
		.amdhsa_float_round_mode_32 0
		.amdhsa_float_round_mode_16_64 0
		.amdhsa_float_denorm_mode_32 3
		.amdhsa_float_denorm_mode_16_64 3
		.amdhsa_dx10_clamp 1
		.amdhsa_ieee_mode 1
		.amdhsa_fp16_overflow 0
		.amdhsa_tg_split 0
		.amdhsa_exception_fp_ieee_invalid_op 0
		.amdhsa_exception_fp_denorm_src 0
		.amdhsa_exception_fp_ieee_div_zero 0
		.amdhsa_exception_fp_ieee_overflow 0
		.amdhsa_exception_fp_ieee_underflow 0
		.amdhsa_exception_fp_ieee_inexact 0
		.amdhsa_exception_int_div_zero 0
	.end_amdhsa_kernel
	.section	.text._ZL9mul_mat_fI7__half2Li64ELi14ELi3ELb1EEvPKT_PKfPKiPfiiiiiiiiiiiiiiii,"axG",@progbits,_ZL9mul_mat_fI7__half2Li64ELi14ELi3ELb1EEvPKT_PKfPKiPfiiiiiiiiiiiiiiii,comdat
.Lfunc_end106:
	.size	_ZL9mul_mat_fI7__half2Li64ELi14ELi3ELb1EEvPKT_PKfPKiPfiiiiiiiiiiiiiiii, .Lfunc_end106-_ZL9mul_mat_fI7__half2Li64ELi14ELi3ELb1EEvPKT_PKfPKiPfiiiiiiiiiiiiiiii
                                        ; -- End function
	.section	.AMDGPU.csdata,"",@progbits
; Kernel info:
; codeLenInByte = 9316
; NumSgprs: 106
; NumVgprs: 94
; NumAgprs: 16
; TotalNumVgprs: 112
; ScratchSize: 0
; MemoryBound: 0
; FloatMode: 240
; IeeeMode: 1
; LDSByteSize: 256 bytes/workgroup (compile time only)
; SGPRBlocks: 13
; VGPRBlocks: 13
; NumSGPRsForWavesPerEU: 106
; NumVGPRsForWavesPerEU: 112
; AccumOffset: 96
; Occupancy: 4
; WaveLimiterHint : 0
; COMPUTE_PGM_RSRC2:SCRATCH_EN: 0
; COMPUTE_PGM_RSRC2:USER_SGPR: 2
; COMPUTE_PGM_RSRC2:TRAP_HANDLER: 0
; COMPUTE_PGM_RSRC2:TGID_X_EN: 1
; COMPUTE_PGM_RSRC2:TGID_Y_EN: 1
; COMPUTE_PGM_RSRC2:TGID_Z_EN: 1
; COMPUTE_PGM_RSRC2:TIDIG_COMP_CNT: 2
; COMPUTE_PGM_RSRC3_GFX90A:ACCUM_OFFSET: 23
; COMPUTE_PGM_RSRC3_GFX90A:TG_SPLIT: 0
	.section	.text._ZL9mul_mat_fI7__half2Li64ELi14ELi3ELb0EEvPKT_PKfPKiPfiiiiiiiiiiiiiiii,"axG",@progbits,_ZL9mul_mat_fI7__half2Li64ELi14ELi3ELb0EEvPKT_PKfPKiPfiiiiiiiiiiiiiiii,comdat
	.globl	_ZL9mul_mat_fI7__half2Li64ELi14ELi3ELb0EEvPKT_PKfPKiPfiiiiiiiiiiiiiiii ; -- Begin function _ZL9mul_mat_fI7__half2Li64ELi14ELi3ELb0EEvPKT_PKfPKiPfiiiiiiiiiiiiiiii
	.p2align	8
	.type	_ZL9mul_mat_fI7__half2Li64ELi14ELi3ELb0EEvPKT_PKfPKiPfiiiiiiiiiiiiiiii,@function
_ZL9mul_mat_fI7__half2Li64ELi14ELi3ELb0EEvPKT_PKfPKiPfiiiiiiiiiiiiiiii: ; @_ZL9mul_mat_fI7__half2Li64ELi14ELi3ELb0EEvPKT_PKfPKiPfiiiiiiiiiiiiiiii
; %bb.0:
	s_load_dword s5, s[0:1], 0x20
	s_load_dwordx4 s[16:19], s[0:1], 0x2c
	v_bfe_u32 v82, v0, 10, 10
	v_lshlrev_b32_e32 v84, 6, v82
	v_and_b32_e32 v83, 0x3ff, v0
	v_add_u32_e32 v86, v84, v83
	s_mov_b32 s20, 0
	s_waitcnt lgkmcnt(0)
	s_ashr_i32 s19, s4, 31
	v_cmp_le_i32_e32 vcc, s5, v86
	v_and_b32_e32 v85, 15, v83
	s_and_saveexec_b64 s[6:7], vcc
	s_xor_b64 s[6:7], exec, s[6:7]
; %bb.1:
	v_and_b32_e32 v85, 15, v83
                                        ; implicit-def: $vgpr86
; %bb.2:
	s_or_saveexec_b64 s[24:25], s[6:7]
	s_load_dwordx8 s[8:15], s[0:1], 0x40
	s_load_dwordx2 s[6:7], s[0:1], 0x18
	s_lshl_b32 s2, s2, 6
	v_accvgpr_write_b32 a0, s20
	v_accvgpr_write_b32 a1, s20
	;; [unrolled: 1-line block ×16, first 2 shown]
	s_xor_b64 exec, exec, s[24:25]
	s_cbranch_execz .LBB107_6
; %bb.3:
	s_waitcnt lgkmcnt(0)
	s_abs_i32 s26, s8
	v_cvt_f32_u32_e32 v0, s26
	s_abs_i32 s27, s12
	v_cvt_f32_u32_e32 v1, s27
	s_sub_i32 s20, 0, s26
	v_rcp_iflag_f32_e32 v0, v0
	s_abs_i32 s28, s3
	v_rcp_iflag_f32_e32 v1, v1
	s_sub_i32 s21, 0, s27
	v_mul_f32_e32 v0, 0x4f7ffffe, v0
	v_cvt_u32_f32_e32 v0, v0
	v_mul_f32_e32 v1, 0x4f7ffffe, v1
	v_cvt_u32_f32_e32 v1, v1
	s_abs_i32 s29, s4
	v_mul_lo_u32 v2, s20, v0
	v_mul_hi_u32 v2, v0, v2
	v_add_u32_e32 v0, v0, v2
	v_mul_hi_u32 v0, s28, v0
	v_mul_lo_u32 v3, s21, v1
	v_mul_lo_u32 v2, v0, s26
	v_mul_hi_u32 v3, v1, v3
	v_sub_u32_e32 v2, s28, v2
	v_add_u32_e32 v1, v1, v3
	v_add_u32_e32 v3, 1, v0
	v_subrev_u32_e32 v4, s26, v2
	v_cmp_le_u32_e32 vcc, s26, v2
	s_load_dwordx4 s[20:23], s[0:1], 0x0
	s_ashr_i32 s0, s3, 31
	v_cndmask_b32_e32 v0, v0, v3, vcc
	v_cndmask_b32_e32 v2, v2, v4, vcc
	s_ashr_i32 s1, s8, 31
	v_add_u32_e32 v3, 1, v0
	v_cmp_le_u32_e32 vcc, s26, v2
	s_xor_b32 s0, s0, s1
	v_mul_hi_u32 v1, s29, v1
	v_cndmask_b32_e32 v0, v0, v3, vcc
	v_xor_b32_e32 v0, s0, v0
	v_subrev_u32_e32 v2, s0, v0
	v_mul_lo_u32 v0, v1, s27
	v_sub_u32_e32 v0, s29, v0
	v_add_u32_e32 v3, 1, v1
	v_subrev_u32_e32 v4, s27, v0
	v_cmp_le_u32_e32 vcc, s27, v0
	s_ashr_i32 s8, s12, 31
	s_xor_b32 s0, s19, s8
	v_cndmask_b32_e32 v1, v1, v3, vcc
	v_cndmask_b32_e32 v0, v0, v4, vcc
	v_add_u32_e32 v3, 1, v1
	v_cmp_le_u32_e32 vcc, s27, v0
	v_mul_lo_u32 v2, v2, s9
	s_mul_hi_i32 s9, s14, s4
	v_cndmask_b32_e32 v0, v1, v3, vcc
	v_xor_b32_e32 v0, s0, v0
	v_subrev_u32_e32 v0, s0, v0
	s_mul_i32 s0, s2, s16
	v_ashrrev_i32_e32 v3, 31, v2
	s_mul_i32 s8, s14, s4
	s_mul_i32 s12, s3, s10
	s_ashr_i32 s1, s0, 31
	v_mul_hi_i32 v1, v0, s13
	v_mul_lo_u32 v0, v0, s13
	s_lshl_b64 s[0:1], s[0:1], 2
	v_lshlrev_b64 v[2:3], 2, v[2:3]
	s_ashr_i32 s13, s12, 31
	s_lshl_b64 s[26:27], s[8:9], 2
	s_movk_i32 s8, 0x1080
	v_lshrrev_b32_e32 v9, 1, v83
	v_lshlrev_b64 v[4:5], 2, v[0:1]
	v_lshl_add_u64 v[6:7], v[2:3], 0, s[0:1]
	s_lshl_b64 s[0:1], s[12:13], 2
	v_mad_u32_u24 v2, v82, s8, 0
	v_lshlrev_b32_e32 v8, 2, v83
	v_mul_u32_u24_e32 v3, 0x108, v85
	v_and_b32_e32 v9, 0x1f8, v9
	s_waitcnt lgkmcnt(0)
	v_lshl_add_u64 v[0:1], s[20:21], 0, v[4:5]
	s_add_u32 s22, s22, s0
	v_add_u32_e32 v87, v2, v8
	v_add3_u32 v88, v2, v3, v9
	v_lshlrev_b32_e32 v2, 8, v82
	v_mov_b32_e32 v3, 0
	v_lshl_add_u64 v[4:5], v[6:7], 0, v[4:5]
	s_addc_u32 s23, s23, s1
	v_lshl_add_u64 v[4:5], v[4:5], 0, v[2:3]
	v_lshlrev_b32_e32 v2, 9, v82
	v_lshl_add_u64 v[0:1], v[6:7], 0, v[0:1]
	s_add_u32 s0, s22, s26
	v_mov_b32_e32 v9, v3
	v_lshl_add_u64 v[6:7], s[26:27], 0, v[2:3]
	v_lshlrev_b32_e32 v2, 3, v83
	s_addc_u32 s1, s23, s27
	s_ashr_i32 s9, s16, 31
	s_mov_b32 s8, s16
	s_ashr_i32 s13, s17, 31
	s_mov_b32 s12, s17
	v_lshl_add_u64 v[4:5], v[4:5], 0, v[8:9]
	v_lshl_add_u64 v[6:7], v[6:7], 0, v[2:3]
	s_lshl_b64 s[8:9], s[8:9], 2
	v_lshl_add_u64 v[4:5], s[20:21], 0, v[4:5]
	s_lshl_b64 s[12:13], s[12:13], 3
	v_lshl_add_u64 v[6:7], s[22:23], 0, v[6:7]
	s_mul_i32 s10, s16, 63
	s_lshl_b32 s14, s17, 1
	s_mul_i32 s19, s17, 3
	s_lshl_b32 s26, s17, 2
	s_mul_i32 s27, s17, 5
	s_mul_i32 s28, s17, 6
	;; [unrolled: 1-line block ×3, first 2 shown]
	s_lshl_b32 s30, s17, 3
	s_mul_i32 s31, s17, 9
	s_mul_i32 s33, s17, 10
	;; [unrolled: 1-line block ×5, first 2 shown]
	s_lshl_b32 s37, s16, 1
	s_mul_i32 s38, s16, 3
	s_lshl_b32 s39, s16, 2
	s_mul_i32 s40, s16, 5
	s_mul_i32 s41, s16, 6
	;; [unrolled: 1-line block ×3, first 2 shown]
	s_lshl_b32 s43, s16, 3
	s_mul_i32 s44, s16, 9
	s_mul_i32 s45, s16, 10
	;; [unrolled: 1-line block ×7, first 2 shown]
	s_lshl_b32 s51, s16, 4
	s_mul_i32 s52, s16, 17
	s_mul_i32 s53, s16, 18
	;; [unrolled: 1-line block ×15, first 2 shown]
	s_lshl_b32 s67, s16, 5
	s_mul_i32 s68, s16, 33
	s_mul_i32 s69, s16, 34
	s_mul_i32 s70, s16, 35
	s_mul_i32 s71, s16, 36
	s_mul_i32 s72, s16, 37
	s_mul_i32 s73, s16, 38
	s_mul_i32 s74, s16, 39
	s_mul_i32 s75, s16, 40
	s_mul_i32 s76, s16, 41
	s_mul_i32 s77, s16, 42
	s_mul_i32 s78, s16, 43
	v_accvgpr_write_b32 a15, 0
	v_accvgpr_write_b32 a14, 0
	v_accvgpr_write_b32 a13, 0
	v_accvgpr_write_b32 a12, 0
	v_accvgpr_write_b32 a11, 0
	v_accvgpr_write_b32 a10, 0
	v_accvgpr_write_b32 a9, 0
	v_accvgpr_write_b32 a8, 0
	v_accvgpr_write_b32 a7, 0
	v_accvgpr_write_b32 a6, 0
	v_accvgpr_write_b32 a5, 0
	v_accvgpr_write_b32 a4, 0
	v_accvgpr_write_b32 a3, 0
	v_accvgpr_write_b32 a2, 0
	v_accvgpr_write_b32 a1, 0
	v_accvgpr_write_b32 a0, 0
	s_mul_i32 s79, s16, 44
	s_mul_i32 s80, s16, 45
	;; [unrolled: 1-line block ×19, first 2 shown]
	s_mov_b64 s[16:17], 0
	s_mov_b64 s[20:21], 0x300
	;; [unrolled: 1-line block ×3, first 2 shown]
.LBB107_4:                              ; =>This Inner Loop Header: Depth=1
	v_add_u32_e32 v80, s37, v86
	v_add_u32_e32 v32, s38, v86
	;; [unrolled: 1-line block ×14, first 2 shown]
	v_lshl_add_u64 v[30:31], v[4:5], 0, s[8:9]
	v_add_u32_e32 v68, s49, v86
	v_add_u32_e32 v58, s52, v86
	;; [unrolled: 1-line block ×9, first 2 shown]
	v_ashrrev_i32_e32 v81, 31, v80
	v_ashrrev_i32_e32 v33, 31, v32
	;; [unrolled: 1-line block ×14, first 2 shown]
	v_add_u32_e32 v48, s57, v86
	v_add_u32_e32 v40, s59, v86
	;; [unrolled: 1-line block ×7, first 2 shown]
	global_load_dword v93, v[30:31], off
	v_lshl_add_u64 v[30:31], v[80:81], 2, v[0:1]
	v_lshl_add_u64 v[32:33], v[32:33], 2, v[0:1]
	;; [unrolled: 1-line block ×11, first 2 shown]
	v_ashrrev_i32_e32 v69, 31, v68
	v_lshl_add_u64 v[64:65], v[64:65], 2, v[0:1]
	v_lshl_add_u64 v[60:61], v[60:61], 2, v[0:1]
	;; [unrolled: 1-line block ×3, first 2 shown]
	v_ashrrev_i32_e32 v59, 31, v58
	v_ashrrev_i32_e32 v63, 31, v62
	;; [unrolled: 1-line block ×8, first 2 shown]
	v_add_u32_e32 v18, s65, v86
	v_add_u32_e32 v10, s68, v86
	;; [unrolled: 1-line block ×3, first 2 shown]
	global_load_dword v80, v[30:31], off
	global_load_dword v91, v[32:33], off
	s_nop 0
	global_load_dword v78, v[78:79], off
	s_nop 0
	;; [unrolled: 2-line block ×6, first 2 shown]
	global_load_dword v90, v[56:57], off
	global_load_dword v77, v[72:73], off
	;; [unrolled: 1-line block ×4, first 2 shown]
	v_lshl_add_u64 v[68:69], v[68:69], 2, v[0:1]
	global_load_dword v89, v[64:65], off
	global_load_dword v70, v[68:69], off
	;; [unrolled: 1-line block ×4, first 2 shown]
	v_lshl_add_u64 v[58:59], v[58:59], 2, v[0:1]
	v_lshl_add_u64 v[66:67], v[62:63], 2, v[0:1]
	;; [unrolled: 1-line block ×4, first 2 shown]
	v_ashrrev_i32_e32 v49, 31, v48
	v_lshl_add_u64 v[46:47], v[46:47], 2, v[0:1]
	v_ashrrev_i32_e32 v41, 31, v40
	v_lshl_add_u64 v[38:39], v[38:39], 2, v[0:1]
	v_lshl_add_u64 v[34:35], v[34:35], 2, v[0:1]
	;; [unrolled: 1-line block ×3, first 2 shown]
	v_ashrrev_i32_e32 v25, 31, v24
	v_ashrrev_i32_e32 v29, 31, v28
	;; [unrolled: 1-line block ×5, first 2 shown]
	v_add_u32_e32 v12, s70, v86
	v_add_u32_e32 v26, s71, v86
	global_load_dword v62, v[58:59], off
	global_load_dword v63, v[66:67], off
	s_nop 0
	global_load_dword v66, v[50:51], off
	global_load_dword v67, v[54:55], off
	v_lshl_add_u64 v[54:55], v[48:49], 2, v[0:1]
	global_load_dword v48, v[46:47], off
	global_load_dword v49, v[54:55], off
	v_lshl_add_u64 v[40:41], v[40:41], 2, v[0:1]
	global_load_dword v68, v[38:39], off
	global_load_dword v69, v[40:41], off
	;; [unrolled: 1-line block ×4, first 2 shown]
	v_lshl_add_u64 v[24:25], v[24:25], 2, v[0:1]
	v_lshl_add_u64 v[36:37], v[28:29], 2, v[0:1]
	v_ashrrev_i32_e32 v19, 31, v18
	v_lshl_add_u64 v[14:15], v[14:15], 2, v[0:1]
	v_lshl_add_u64 v[8:9], v[8:9], 2, v[0:1]
	;; [unrolled: 1-line block ×3, first 2 shown]
	v_ashrrev_i32_e32 v11, 31, v10
	v_ashrrev_i32_e32 v23, 31, v22
	v_add_u32_e32 v16, s72, v86
	v_add_u32_e32 v30, s73, v86
	global_load_dword v28, v[24:25], off
	global_load_dword v29, v[36:37], off
	v_lshl_add_u64 v[36:37], v[18:19], 2, v[0:1]
	global_load_dword v18, v[14:15], off
	global_load_dword v19, v[36:37], off
	;; [unrolled: 1-line block ×4, first 2 shown]
	v_lshl_add_u64 v[10:11], v[10:11], 2, v[0:1]
	v_lshl_add_u64 v[20:21], v[22:23], 2, v[0:1]
	v_ashrrev_i32_e32 v13, 31, v12
	v_ashrrev_i32_e32 v27, 31, v26
	v_add_u32_e32 v32, s74, v86
	v_add_u32_e32 v42, s75, v86
	global_load_dword v96, v[10:11], off
	global_load_dword v97, v[20:21], off
	v_lshl_add_u64 v[12:13], v[12:13], 2, v[0:1]
	v_lshl_add_u64 v[20:21], v[26:27], 2, v[0:1]
	v_ashrrev_i32_e32 v17, 31, v16
	v_ashrrev_i32_e32 v31, 31, v30
	v_add_u32_e32 v44, s76, v86
	v_add_u32_e32 v56, s77, v86
	global_load_dword v26, v[12:13], off
	global_load_dword v27, v[20:21], off
	;; [unrolled: 8-line block ×4, first 2 shown]
	v_lshl_add_u64 v[22:23], v[44:45], 2, v[0:1]
	v_lshl_add_u64 v[30:31], v[56:57], 2, v[0:1]
	v_ashrrev_i32_e32 v53, 31, v52
	v_ashrrev_i32_e32 v65, 31, v64
	v_add_u32_e32 v50, s82, v86
	v_add_u32_e32 v38, s84, v86
	;; [unrolled: 1-line block ×4, first 2 shown]
	global_load_dword v42, v[22:23], off
	global_load_dword v43, v[30:31], off
	v_lshl_add_u64 v[30:31], v[52:53], 2, v[0:1]
	v_lshl_add_u64 v[36:37], v[64:65], 2, v[0:1]
	v_ashrrev_i32_e32 v61, 31, v60
	v_ashrrev_i32_e32 v59, 31, v58
	v_add_u32_e32 v46, s83, v86
	v_add_u32_e32 v34, s85, v86
	v_add_u32_e32 v14, s87, v86
	v_add_u32_e32 v10, s89, v86
	v_add_u32_e32 v12, s90, v86
	global_load_dword v44, v[30:31], off
	global_load_dword v45, v[36:37], off
	v_lshl_add_u64 v[36:37], v[60:61], 2, v[0:1]
	v_lshl_add_u64 v[40:41], v[58:59], 2, v[0:1]
	v_ashrrev_i32_e32 v51, 31, v50
	v_ashrrev_i32_e32 v39, 31, v38
	;; [unrolled: 1-line block ×4, first 2 shown]
	v_add_u32_e32 v16, s91, v86
	v_add_u32_e32 v20, s92, v86
	global_load_dword v52, v[36:37], off
	global_load_dword v53, v[40:41], off
	v_ashrrev_i32_e32 v47, 31, v46
	v_lshl_add_u64 v[40:41], v[50:51], 2, v[0:1]
	v_ashrrev_i32_e32 v35, 31, v34
	v_lshl_add_u64 v[38:39], v[38:39], 2, v[0:1]
	;; [unrolled: 2-line block ×3, first 2 shown]
	v_lshl_add_u64 v[8:9], v[8:9], 2, v[0:1]
	v_ashrrev_i32_e32 v11, 31, v10
	v_ashrrev_i32_e32 v13, 31, v12
	v_add_u32_e32 v22, s93, v86
	v_add_u32_e32 v30, s94, v86
	v_lshl_add_u64 v[50:51], v[46:47], 2, v[0:1]
	global_load_dword v46, v[40:41], off
	global_load_dword v56, v[50:51], off
	v_lshl_add_u64 v[34:35], v[34:35], 2, v[0:1]
	global_load_dword v38, v[38:39], off
	s_nop 0
	global_load_dword v39, v[34:35], off
	v_lshl_add_u64 v[14:15], v[14:15], 2, v[0:1]
	global_load_dword v57, v[24:25], off
	global_load_dword v64, v[14:15], off
	;; [unrolled: 1-line block ×3, first 2 shown]
	s_nop 0
	global_load_dword v24, v[4:5], off
	v_lshl_add_u64 v[8:9], v[10:11], 2, v[0:1]
	v_lshl_add_u64 v[10:11], v[12:13], 2, v[0:1]
	v_ashrrev_i32_e32 v17, 31, v16
	v_ashrrev_i32_e32 v21, 31, v20
	v_add_u32_e32 v36, s95, v86
	v_add_u32_e32 v40, s96, v86
	global_load_dword v100, v[8:9], off
	global_load_dword v101, v[10:11], off
	s_nop 0
	global_load_dwordx2 v[8:9], v[6:7], off
	v_lshl_add_u64 v[10:11], v[16:17], 2, v[0:1]
	v_lshl_add_u64 v[12:13], v[20:21], 2, v[0:1]
	v_ashrrev_i32_e32 v23, 31, v22
	v_ashrrev_i32_e32 v31, 31, v30
	v_add_u32_e32 v34, s97, v86
	global_load_dword v102, v[10:11], off
	global_load_dword v103, v[12:13], off
	v_lshl_add_u64 v[12:13], v[22:23], 2, v[0:1]
	v_lshl_add_u64 v[16:17], v[30:31], 2, v[0:1]
	v_ashrrev_i32_e32 v37, 31, v36
	v_ashrrev_i32_e32 v41, 31, v40
	v_add_u32_e32 v14, s10, v86
	global_load_dword v104, v[12:13], off
	global_load_dword v105, v[16:17], off
	v_lshl_add_u64 v[16:17], v[36:37], 2, v[0:1]
	v_lshl_add_u64 v[20:21], v[40:41], 2, v[0:1]
	v_ashrrev_i32_e32 v35, 31, v34
	v_lshl_add_u64 v[10:11], v[6:7], 0, s[12:13]
	global_load_dword v106, v[16:17], off
	global_load_dword v107, v[20:21], off
	v_ashrrev_i32_e32 v15, 31, v14
	v_lshl_add_u64 v[20:21], v[34:35], 2, v[0:1]
	v_lshl_add_u64 v[14:15], v[14:15], 2, v[0:1]
	global_load_dword v108, v[20:21], off
	global_load_dword v109, v[14:15], off
	v_add_u32_e32 v12, s14, v86
	global_load_dwordx2 v[10:11], v[10:11], off
	v_add_u32_e32 v16, s19, v86
	v_add_u32_e32 v14, s26, v86
	;; [unrolled: 1-line block ×6, first 2 shown]
	v_ashrrev_i32_e32 v13, 31, v12
	v_ashrrev_i32_e32 v17, 31, v16
	;; [unrolled: 1-line block ×7, first 2 shown]
	s_waitcnt vmcnt(62)
	ds_write_b32 v87, v93 offset:264
	v_lshl_add_u64 v[12:13], v[12:13], 3, s[0:1]
	v_lshl_add_u64 v[16:17], v[16:17], 3, s[0:1]
	;; [unrolled: 1-line block ×9, first 2 shown]
	s_waitcnt vmcnt(12)
	ds_write_b32 v87, v24
	v_add_u32_e32 v24, s31, v86
	v_ashrrev_i32_e32 v25, 31, v24
	ds_write_b32 v87, v80 offset:528
	ds_write_b32 v87, v91 offset:792
	;; [unrolled: 1-line block ×8, first 2 shown]
	s_waitcnt vmcnt(9)
	v_cvt_f16_f32_e32 v47, v8
	v_add_u32_e32 v8, s27, v86
	v_cvt_f16_f32_e32 v50, v9
	v_ashrrev_i32_e32 v9, 31, v8
	ds_write_b32 v87, v77 offset:2640
	ds_write_b32 v87, v92 offset:2904
	;; [unrolled: 1-line block ×4, first 2 shown]
	v_lshl_add_u64 v[8:9], v[8:9], 3, s[0:1]
	v_lshl_add_u64 v[24:25], v[24:25], 3, s[0:1]
	s_waitcnt vmcnt(0)
	v_cvt_f16_f32_e32 v58, v10
	v_add_u32_e32 v10, s28, v86
	v_cvt_f16_f32_e32 v59, v11
	v_ashrrev_i32_e32 v11, 31, v10
	v_lshl_add_u64 v[10:11], v[10:11], 3, s[0:1]
	global_load_dwordx2 v[12:13], v[12:13], off
	s_nop 0
	global_load_dwordx2 v[16:17], v[16:17], off
	s_nop 0
	;; [unrolled: 2-line block ×9, first 2 shown]
	global_load_dwordx2 v[34:35], v[34:35], off
	ds_write_b32 v87, v70 offset:3696
	ds_write_b32 v87, v73 offset:3960
	s_waitcnt vmcnt(9)
	v_cvt_f16_f32_e32 v73, v12
	v_cvt_f16_f32_e32 v74, v13
	s_waitcnt vmcnt(8)
	v_cvt_f16_f32_e32 v75, v16
	s_waitcnt vmcnt(6)
	v_cvt_f16_f32_e32 v79, v8
	v_add_u32_e32 v8, s35, v86
	v_cvt_f16_f32_e32 v80, v9
	v_ashrrev_i32_e32 v9, 31, v8
	v_lshl_add_u64 v[8:9], v[8:9], 3, s[0:1]
	global_load_dwordx2 v[8:9], v[8:9], off
	v_cvt_f16_f32_e32 v76, v17
	v_cvt_f16_f32_e32 v77, v14
	v_cvt_f16_f32_e32 v78, v15
	s_waitcnt vmcnt(6)
	v_cvt_f16_f32_e32 v81, v10
	v_cvt_f16_f32_e32 v89, v11
	s_waitcnt vmcnt(5)
	v_cvt_f16_f32_e32 v90, v20
	v_cvt_f16_f32_e32 v91, v21
	;; [unrolled: 3-line block ×6, first 2 shown]
	s_waitcnt vmcnt(0)
	v_cvt_f16_f32_e32 v116, v8
	v_add_u32_e32 v8, s36, v86
	v_cvt_f16_f32_e32 v117, v9
	v_ashrrev_i32_e32 v9, 31, v8
	v_lshl_add_u64 v[8:9], v[8:9], 3, s[0:1]
	global_load_dwordx2 v[8:9], v[8:9], off
	v_add_u32_e32 v86, 0xc0, v86
	v_cmp_le_i32_e32 vcc, s5, v86
	s_or_b64 s[16:17], vcc, s[16:17]
	s_waitcnt vmcnt(0)
	v_cvt_f16_f32_e32 v118, v8
	v_cvt_f16_f32_e32 v119, v9
	ds_read_b64 v[54:55], v88
	ds_read_b64 v[40:41], v88 offset:32
	ds_read_b64 v[36:37], v88 offset:64
	;; [unrolled: 1-line block ×7, first 2 shown]
	ds_write_b32 v87, v2
	ds_write_b32 v87, v62 offset:264
	ds_write_b32 v87, v63 offset:528
	;; [unrolled: 1-line block ×15, first 2 shown]
	v_pack_b32_f16 v2, v47, v50
	ds_read_b64 v[62:63], v88
	ds_read_b64 v[50:51], v88 offset:32
	ds_read_b64 v[48:49], v88 offset:64
	;; [unrolled: 1-line block ×7, first 2 shown]
	ds_write_b32 v87, v94
	ds_write_b32 v87, v96 offset:264
	ds_write_b32 v87, v97 offset:528
	;; [unrolled: 1-line block ×15, first 2 shown]
	v_pack_b32_f16 v72, v58, v59
	ds_read_b64 v[68:69], v88
	ds_read_b64 v[60:61], v88 offset:32
	ds_read_b64 v[58:59], v88 offset:64
	;; [unrolled: 1-line block ×7, first 2 shown]
	ds_write_b32 v87, v56
	ds_write_b32 v87, v38 offset:264
	ds_write_b32 v87, v39 offset:528
	;; [unrolled: 1-line block ×15, first 2 shown]
	ds_read_b64 v[70:71], v88
	ds_read_b64 v[66:67], v88 offset:32
	ds_read_b64 v[64:65], v88 offset:64
	;; [unrolled: 1-line block ×7, first 2 shown]
	ds_write_b32 v87, v2
	ds_write_b32 v87, v72 offset:264
	v_pack_b32_f16 v2, v73, v74
	v_pack_b32_f16 v72, v75, v76
	;; [unrolled: 1-line block ×12, first 2 shown]
	ds_write_b32 v87, v2 offset:528
	ds_write_b32 v87, v72 offset:792
	;; [unrolled: 1-line block ×14, first 2 shown]
	ds_read_b64 v[72:73], v88
	s_waitcnt lgkmcnt(0)
	v_mfma_f32_16x16x16_f16 a[12:15], v[54:55], v[72:73], a[12:15]
	ds_read_b64 v[54:55], v88 offset:32
	s_waitcnt lgkmcnt(0)
	v_mfma_f32_16x16x16_f16 a[12:15], v[40:41], v[54:55], a[12:15]
	ds_read_b64 v[40:41], v88 offset:64
	v_mfma_f32_16x16x16_f16 a[8:11], v[62:63], v[72:73], a[8:11]
	v_mfma_f32_16x16x16_f16 a[4:7], v[68:69], v[72:73], a[4:7]
	;; [unrolled: 1-line block ×3, first 2 shown]
	s_waitcnt lgkmcnt(0)
	v_mfma_f32_16x16x16_f16 a[12:15], v[36:37], v[40:41], a[12:15]
	ds_read_b64 v[36:37], v88 offset:96
	v_mfma_f32_16x16x16_f16 a[8:11], v[50:51], v[54:55], a[8:11]
	v_mfma_f32_16x16x16_f16 a[4:7], v[60:61], v[54:55], a[4:7]
	;; [unrolled: 1-line block ×6, first 2 shown]
	s_waitcnt lgkmcnt(0)
	v_mfma_f32_16x16x16_f16 a[12:15], v[24:25], v[36:37], a[12:15]
	ds_read_b64 v[24:25], v88 offset:128
	v_mfma_f32_16x16x16_f16 a[8:11], v[34:35], v[36:37], a[8:11]
	v_mfma_f32_16x16x16_f16 a[4:7], v[46:47], v[36:37], a[4:7]
	v_mfma_f32_16x16x16_f16 a[0:3], v[56:57], v[36:37], a[0:3]
	s_waitcnt lgkmcnt(0)
	v_mfma_f32_16x16x16_f16 a[12:15], v[20:21], v[24:25], a[12:15]
	ds_read_b64 v[20:21], v88 offset:160
	v_mfma_f32_16x16x16_f16 a[8:11], v[30:31], v[24:25], a[8:11]
	v_mfma_f32_16x16x16_f16 a[4:7], v[44:45], v[24:25], a[4:7]
	v_mfma_f32_16x16x16_f16 a[0:3], v[52:53], v[24:25], a[0:3]
	;; [unrolled: 6-line block ×4, first 2 shown]
	s_waitcnt lgkmcnt(0)
	v_mfma_f32_16x16x16_f16 a[12:15], v[8:9], v[10:11], a[12:15]
	v_mfma_f32_16x16x16_f16 a[8:11], v[12:13], v[10:11], a[8:11]
	;; [unrolled: 1-line block ×4, first 2 shown]
	s_andn2_b64 exec, exec, s[16:17]
	s_cbranch_execnz .LBB107_4
; %bb.5:
	s_or_b64 exec, exec, s[16:17]
.LBB107_6:
	s_or_b64 exec, exec, s[24:25]
	s_waitcnt lgkmcnt(0)
	s_mul_hi_i32 s1, s15, s4
	s_mul_i32 s0, s15, s4
	s_lshl_b64 s[0:1], s[0:1], 2
	s_mul_i32 s4, s3, s11
	s_add_u32 s3, s6, s0
	v_mul_u32_u24_e32 v0, 0x308, v85
	v_lshlrev_b32_e32 v1, 2, v84
	v_or_b32_e32 v2, 12, v83
	s_addc_u32 s6, s7, s1
	s_ashr_i32 s5, s4, 31
	v_add3_u32 v0, 0, v0, v1
	v_and_b32_e32 v1, 0x3f0, v83
	v_and_b32_e32 v2, 0x3fc, v2
	s_lshl_b64 s[0:1], s[4:5], 2
	v_add_u32_e32 v1, v0, v1
	v_add_u32_e32 v0, v0, v2
	s_add_u32 s0, s3, s0
	s_barrier
	s_movk_i32 s3, 0x308
	ds_write2_b32 v1, a12, a13 offset1:1
	ds_write_b32 v1, a14 offset:8
	ds_write_b32 v0, a15
	ds_write2_b32 v1, a8, a9 offset0:16 offset1:17
	ds_write_b32 v1, a10 offset:72
	ds_write_b32 v0, a11 offset:64
	ds_write2_b32 v1, a4, a5 offset0:32 offset1:33
	ds_write_b32 v1, a6 offset:136
	ds_write_b32 v0, a7 offset:128
	;; [unrolled: 3-line block ×3, first 2 shown]
	v_lshl_add_u32 v1, v83, 2, 0
	v_mad_u32_u24 v8, v82, s3, v1
	s_waitcnt lgkmcnt(0)
	s_barrier
	ds_read2st64_b32 v[2:3], v8 offset1:1
	ds_read_b32 v4, v8 offset:512
	ds_read_b32 v9, v8 offset:2840
	;; [unrolled: 1-line block ×4, first 2 shown]
	s_waitcnt lgkmcnt(4)
	v_add_f32_e32 v2, 0, v2
	v_add_f32_e32 v2, v2, v3
	s_waitcnt lgkmcnt(3)
	v_add_f32_e32 v12, v2, v4
	v_add_u32_e32 v2, 24, v8
	ds_read2st64_b32 v[4:5], v2 offset0:9 offset1:10
	v_add_u32_e32 v0, s2, v83
	v_mad_u64_u32 v[2:3], s[4:5], v82, s18, v[0:1]
	s_addc_u32 s1, s6, s1
	s_waitcnt lgkmcnt(0)
	v_add_f32_e32 v4, 0, v4
	v_add_f32_e32 v4, v4, v5
	;; [unrolled: 1-line block ×3, first 2 shown]
	v_add_u32_e32 v4, 48, v8
	ds_read2st64_b32 v[4:5], v4 offset0:18 offset1:19
	v_mov_b32_e32 v3, 0
	s_mul_i32 s2, s18, 3
	v_lshl_add_u64 v[6:7], v[2:3], 2, s[0:1]
	v_add_u32_e32 v2, s2, v2
	global_store_dword v[6:7], v12, off
	v_lshl_add_u64 v[6:7], v[2:3], 2, s[0:1]
	s_waitcnt lgkmcnt(0)
	v_add_f32_e32 v4, 0, v4
	global_store_dword v[6:7], v9, off
	v_add_f32_e32 v6, v4, v5
	v_add_u32_e32 v4, 0x48, v8
	ds_read2st64_b32 v[4:5], v4 offset0:27 offset1:28
	v_add_u32_e32 v2, s2, v2
	v_add_f32_e32 v8, v6, v10
	v_lshl_add_u64 v[6:7], v[2:3], 2, s[0:1]
	v_add_u32_e32 v2, s2, v2
	s_waitcnt lgkmcnt(0)
	v_add_f32_e32 v4, 0, v4
	v_add_f32_e32 v4, v4, v5
	global_store_dword v[6:7], v8, off
	v_add_f32_e32 v6, v4, v11
	v_lshl_add_u64 v[4:5], v[2:3], 2, s[0:1]
	v_cmp_gt_u32_e32 vcc, 2, v82
	global_store_dword v[4:5], v6, off
	s_and_saveexec_b64 s[4:5], vcc
	s_cbranch_execz .LBB107_8
; %bb.7:
	v_or_b32_e32 v2, 12, v82
	v_mad_u32_u24 v1, v2, s3, v1
	ds_read2st64_b32 v[4:5], v1 offset1:1
	ds_read_b32 v6, v1 offset:512
	v_mad_u64_u32 v[0:1], s[2:3], v2, s18, v[0:1]
	v_mov_b32_e32 v1, v3
	s_waitcnt lgkmcnt(1)
	v_add_f32_e32 v2, 0, v4
	v_add_f32_e32 v2, v2, v5
	s_waitcnt lgkmcnt(0)
	v_add_f32_e32 v2, v2, v6
	v_lshl_add_u64 v[0:1], v[0:1], 2, s[0:1]
	global_store_dword v[0:1], v2, off
.LBB107_8:
	s_endpgm
	.section	.rodata,"a",@progbits
	.p2align	6, 0x0
	.amdhsa_kernel _ZL9mul_mat_fI7__half2Li64ELi14ELi3ELb0EEvPKT_PKfPKiPfiiiiiiiiiiiiiiii
		.amdhsa_group_segment_fixed_size 0
		.amdhsa_private_segment_fixed_size 0
		.amdhsa_kernarg_size 96
		.amdhsa_user_sgpr_count 2
		.amdhsa_user_sgpr_dispatch_ptr 0
		.amdhsa_user_sgpr_queue_ptr 0
		.amdhsa_user_sgpr_kernarg_segment_ptr 1
		.amdhsa_user_sgpr_dispatch_id 0
		.amdhsa_user_sgpr_kernarg_preload_length 0
		.amdhsa_user_sgpr_kernarg_preload_offset 0
		.amdhsa_user_sgpr_private_segment_size 0
		.amdhsa_uses_dynamic_stack 0
		.amdhsa_enable_private_segment 0
		.amdhsa_system_sgpr_workgroup_id_x 1
		.amdhsa_system_sgpr_workgroup_id_y 1
		.amdhsa_system_sgpr_workgroup_id_z 1
		.amdhsa_system_sgpr_workgroup_info 0
		.amdhsa_system_vgpr_workitem_id 1
		.amdhsa_next_free_vgpr 136
		.amdhsa_next_free_sgpr 98
		.amdhsa_accum_offset 120
		.amdhsa_reserve_vcc 1
		.amdhsa_float_round_mode_32 0
		.amdhsa_float_round_mode_16_64 0
		.amdhsa_float_denorm_mode_32 3
		.amdhsa_float_denorm_mode_16_64 3
		.amdhsa_dx10_clamp 1
		.amdhsa_ieee_mode 1
		.amdhsa_fp16_overflow 0
		.amdhsa_tg_split 0
		.amdhsa_exception_fp_ieee_invalid_op 0
		.amdhsa_exception_fp_denorm_src 0
		.amdhsa_exception_fp_ieee_div_zero 0
		.amdhsa_exception_fp_ieee_overflow 0
		.amdhsa_exception_fp_ieee_underflow 0
		.amdhsa_exception_fp_ieee_inexact 0
		.amdhsa_exception_int_div_zero 0
	.end_amdhsa_kernel
	.section	.text._ZL9mul_mat_fI7__half2Li64ELi14ELi3ELb0EEvPKT_PKfPKiPfiiiiiiiiiiiiiiii,"axG",@progbits,_ZL9mul_mat_fI7__half2Li64ELi14ELi3ELb0EEvPKT_PKfPKiPfiiiiiiiiiiiiiiii,comdat
.Lfunc_end107:
	.size	_ZL9mul_mat_fI7__half2Li64ELi14ELi3ELb0EEvPKT_PKfPKiPfiiiiiiiiiiiiiiii, .Lfunc_end107-_ZL9mul_mat_fI7__half2Li64ELi14ELi3ELb0EEvPKT_PKfPKiPfiiiiiiiiiiiiiiii
                                        ; -- End function
	.section	.AMDGPU.csdata,"",@progbits
; Kernel info:
; codeLenInByte = 5240
; NumSgprs: 104
; NumVgprs: 120
; NumAgprs: 16
; TotalNumVgprs: 136
; ScratchSize: 0
; MemoryBound: 0
; FloatMode: 240
; IeeeMode: 1
; LDSByteSize: 0 bytes/workgroup (compile time only)
; SGPRBlocks: 12
; VGPRBlocks: 16
; NumSGPRsForWavesPerEU: 104
; NumVGPRsForWavesPerEU: 136
; AccumOffset: 120
; Occupancy: 3
; WaveLimiterHint : 0
; COMPUTE_PGM_RSRC2:SCRATCH_EN: 0
; COMPUTE_PGM_RSRC2:USER_SGPR: 2
; COMPUTE_PGM_RSRC2:TRAP_HANDLER: 0
; COMPUTE_PGM_RSRC2:TGID_X_EN: 1
; COMPUTE_PGM_RSRC2:TGID_Y_EN: 1
; COMPUTE_PGM_RSRC2:TGID_Z_EN: 1
; COMPUTE_PGM_RSRC2:TIDIG_COMP_CNT: 1
; COMPUTE_PGM_RSRC3_GFX90A:ACCUM_OFFSET: 29
; COMPUTE_PGM_RSRC3_GFX90A:TG_SPLIT: 0
	.section	.text._ZL13mul_mat_f_idsI7__half2Li64ELi14ELi4EEvPKT_PKfPKiS7_S7_Pfiiiiiiiiiiiiii15HIP_vector_typeIjLj3EESA_,"axG",@progbits,_ZL13mul_mat_f_idsI7__half2Li64ELi14ELi4EEvPKT_PKfPKiS7_S7_Pfiiiiiiiiiiiiii15HIP_vector_typeIjLj3EESA_,comdat
	.globl	_ZL13mul_mat_f_idsI7__half2Li64ELi14ELi4EEvPKT_PKfPKiS7_S7_Pfiiiiiiiiiiiiii15HIP_vector_typeIjLj3EESA_ ; -- Begin function _ZL13mul_mat_f_idsI7__half2Li64ELi14ELi4EEvPKT_PKfPKiS7_S7_Pfiiiiiiiiiiiiii15HIP_vector_typeIjLj3EESA_
	.p2align	8
	.type	_ZL13mul_mat_f_idsI7__half2Li64ELi14ELi4EEvPKT_PKfPKiS7_S7_Pfiiiiiiiiiiiiii15HIP_vector_typeIjLj3EESA_,@function
_ZL13mul_mat_f_idsI7__half2Li64ELi14ELi4EEvPKT_PKfPKiS7_S7_Pfiiiiiiiiiiiiii15HIP_vector_typeIjLj3EESA_: ; @_ZL13mul_mat_f_idsI7__half2Li64ELi14ELi4EEvPKT_PKfPKiS7_S7_Pfiiiiiiiiiiiiii15HIP_vector_typeIjLj3EESA_
; %bb.0:
	s_load_dwordx2 s[6:7], s[0:1], 0x20
	s_mov_b32 s34, s3
	s_ashr_i32 s35, s3, 31
	s_lshl_b64 s[8:9], s[34:35], 2
	s_waitcnt lgkmcnt(0)
	s_add_u32 s6, s6, s8
	s_addc_u32 s7, s7, s9
	s_load_dwordx2 s[26:27], s[6:7], 0x0
	s_waitcnt lgkmcnt(0)
	s_sub_i32 s33, s27, s26
	s_add_i32 s3, s33, 13
	s_mul_hi_i32 s5, s3, 0x92492493
	s_add_i32 s5, s5, s3
	s_lshr_b32 s3, s5, 31
	s_ashr_i32 s5, s5, 3
	s_add_i32 s5, s5, s3
	s_cmp_ge_i32 s4, s5
	s_cbranch_scc1 .LBB108_62
; %bb.1:
	v_bfe_u32 v2, v0, 10, 10
	v_lshlrev_b32_e32 v98, 6, v2
	v_and_b32_e32 v3, 0x3ff, v0
	s_load_dwordx4 s[12:15], s[0:1], 0x30
	s_load_dwordx2 s[20:21], s[0:1], 0x40
	s_load_dwordx4 s[8:11], s[0:1], 0x4c
	s_load_dwordx4 s[16:19], s[0:1], 0x68
	s_load_dwordx2 s[24:25], s[0:1], 0x78
	v_add_u32_e32 v100, v98, v3
	s_ashr_i32 s27, s26, 31
	s_waitcnt lgkmcnt(0)
	v_cmp_le_i32_e32 vcc, s12, v100
	v_and_b32_e32 v99, 15, v3
                                        ; implicit-def: $sgpr3
	s_and_saveexec_b64 s[6:7], vcc
	s_xor_b64 s[6:7], exec, s[6:7]
; %bb.2:
	v_and_b32_e32 v99, 15, v3
	s_mov_b32 s3, 0
                                        ; implicit-def: $vgpr100
; %bb.3:
	s_or_saveexec_b64 s[28:29], s[6:7]
	s_load_dwordx2 s[22:23], s[0:1], 0x18
	s_load_dwordx2 s[6:7], s[0:1], 0x28
                                        ; implicit-def: $vgpr103 : SGPR spill to VGPR lane
	s_lshl_b32 s11, s2, 6
	s_mul_i32 s2, s4, 14
	v_accvgpr_write_b32 a0, s3
	v_accvgpr_write_b32 a1, s3
	s_waitcnt lgkmcnt(0)
	v_writelane_b32 v103, s6, 0
	v_accvgpr_write_b32 a2, s3
	v_accvgpr_write_b32 a3, s3
	v_accvgpr_write_b32 a4, s3
	v_accvgpr_write_b32 a5, s3
	v_accvgpr_write_b32 a6, s3
	v_accvgpr_write_b32 a7, s3
	v_accvgpr_write_b32 a8, s3
	v_accvgpr_write_b32 a9, s3
	v_accvgpr_write_b32 a10, s3
	v_accvgpr_write_b32 a11, s3
	v_accvgpr_write_b32 a12, s3
	v_accvgpr_write_b32 a13, s3
	v_accvgpr_write_b32 a14, s3
	v_accvgpr_write_b32 a15, s3
	v_writelane_b32 v103, s7, 1
	s_xor_b64 exec, exec, s[28:29]
	s_cbranch_execz .LBB108_49
; %bb.4:
	v_writelane_b32 v103, s28, 2
	s_movk_i32 s3, 0x1080
	v_mad_u32_u24 v0, v2, s3, 0
	v_writelane_b32 v103, s29, 3
	v_writelane_b32 v103, s22, 4
	v_lshrrev_b32_e32 v6, 1, v3
	v_lshlrev_b32_e32 v4, 2, v3
	v_writelane_b32 v103, s23, 5
	v_writelane_b32 v103, s24, 6
	s_load_dwordx4 s[4:7], s[0:1], 0x0
	s_load_dwordx2 s[22:23], s[0:1], 0x10
	v_writelane_b32 v103, s25, 7
	s_mul_i32 s0, s34, s8
	s_mul_i32 s24, s11, s15
	s_ashr_i32 s1, s0, 31
	s_ashr_i32 s25, s24, 31
	s_lshl_b64 s[24:25], s[24:25], 2
	s_lshl_b64 s[0:1], s[0:1], 2
	s_add_u32 s24, s0, s24
	v_writelane_b32 v103, s11, 8
	s_addc_u32 s25, s1, s25
	s_waitcnt lgkmcnt(0)
	s_add_u32 s0, s24, s4
	v_writelane_b32 v103, s26, 9
	s_addc_u32 s1, s25, s5
	v_mul_u32_u24_e32 v5, 0x108, v99
	v_writelane_b32 v103, s27, 10
	s_lshl_b64 s[26:27], s[26:27], 2
	s_add_u32 s8, s22, s26
	s_addc_u32 s11, s23, s27
	s_cmp_lt_i32 s2, s33
	s_cselect_b64 s[34:35], -1, 0
	s_ashr_i32 s3, s2, 31
	s_lshl_b64 s[22:23], s[2:3], 2
	s_add_u32 s36, s8, s22
	s_addc_u32 s37, s11, s23
	s_or_b32 s3, s2, 1
	s_cmp_lt_i32 s3, s33
	s_cselect_b64 s[38:39], -1, 0
	s_add_i32 s3, s2, 2
	s_cmp_lt_i32 s3, s33
	s_cselect_b64 s[40:41], -1, 0
	s_add_i32 s3, s2, 3
	s_cmp_lt_i32 s3, s33
	v_and_b32_e32 v6, 0x1f8, v6
	s_cselect_b64 s[42:43], -1, 0
	s_add_i32 s3, s2, 4
	v_mov_b32_e32 v1, 0
	v_add_u32_e32 v101, v0, v4
	v_add3_u32 v102, v0, v5, v6
	s_cmp_lt_i32 s3, s33
	v_lshlrev_b32_e32 v0, 8, v2
	s_cselect_b64 s[44:45], -1, 0
	s_add_i32 s3, s2, 5
	v_lshl_add_u64 v[6:7], s[24:25], 0, v[0:1]
	v_mov_b32_e32 v5, v1
	s_cmp_lt_i32 s3, s33
	v_lshl_add_u64 v[4:5], v[6:7], 0, v[4:5]
	s_cselect_b64 s[46:47], -1, 0
	s_add_i32 s3, s2, 6
	v_lshl_add_u64 v[4:5], s[4:5], 0, v[4:5]
	s_mul_i32 s4, s15, 3
	s_cmp_lt_i32 s3, s33
	v_writelane_b32 v103, s4, 11
	s_mul_i32 s4, s15, 5
	s_cselect_b64 s[48:49], -1, 0
	s_add_i32 s3, s2, 7
	v_writelane_b32 v103, s4, 12
	s_mul_i32 s4, s15, 6
	s_cmp_lt_i32 s3, s33
	v_writelane_b32 v103, s4, 13
	s_mul_i32 s4, s15, 7
	s_cselect_b64 s[50:51], -1, 0
	s_add_i32 s3, s2, 8
	v_writelane_b32 v103, s4, 14
	s_mul_i32 s4, s15, 9
	s_cmp_lt_i32 s3, s33
	v_writelane_b32 v103, s4, 15
	s_mul_i32 s4, s15, 10
	s_cselect_b64 s[52:53], -1, 0
	s_add_i32 s3, s2, 9
	v_writelane_b32 v103, s4, 16
	s_mul_i32 s4, s15, 11
	s_cmp_lt_i32 s3, s33
	v_writelane_b32 v103, s4, 17
	s_mul_i32 s4, s15, 12
	s_cselect_b64 s[54:55], -1, 0
	s_add_i32 s3, s2, 10
	v_writelane_b32 v103, s4, 18
	s_mul_i32 s4, s15, 13
	s_cmp_lt_i32 s3, s33
	v_writelane_b32 v103, s4, 19
	s_mul_i32 s4, s15, 14
	s_cselect_b64 s[56:57], -1, 0
	s_add_i32 s3, s2, 11
	v_writelane_b32 v103, s4, 20
	s_mul_i32 s4, s15, 15
	s_cmp_lt_i32 s3, s33
	v_writelane_b32 v103, s4, 21
	s_mul_i32 s4, s15, 17
	s_cselect_b64 s[58:59], -1, 0
	s_add_i32 s3, s2, 12
	v_writelane_b32 v103, s4, 22
	s_mul_i32 s4, s15, 18
	s_cmp_lt_i32 s3, s33
	v_writelane_b32 v103, s4, 23
	s_mul_i32 s4, s15, 19
	s_cselect_b64 s[60:61], -1, 0
	s_add_i32 s3, s2, 13
	v_writelane_b32 v103, s4, 24
	s_mul_i32 s4, s15, 20
	s_cmp_lt_i32 s3, s33
	v_writelane_b32 v103, s4, 25
	s_mul_i32 s4, s15, 21
	s_cselect_b64 s[62:63], -1, 0
	s_ashr_i32 s23, s15, 31
	s_mov_b32 s22, s15
	v_writelane_b32 v103, s4, 26
	s_mul_i32 s4, s15, 22
	s_lshl_b64 s[64:65], s[22:23], 2
	s_lshl_b32 s3, s15, 1
	s_lshl_b32 s68, s15, 2
	;; [unrolled: 1-line block ×4, first 2 shown]
	v_writelane_b32 v103, s4, 27
	s_mul_i32 s87, s15, 23
	s_mul_i32 s88, s15, 24
	;; [unrolled: 1-line block ×5, first 2 shown]
	v_accvgpr_write_b32 a15, 0
	v_accvgpr_write_b32 a14, 0
	;; [unrolled: 1-line block ×16, first 2 shown]
	s_mul_i32 s92, s15, 28
	s_mul_i32 s93, s15, 29
	;; [unrolled: 1-line block ×4, first 2 shown]
	s_lshl_b32 s96, s15, 5
	s_mul_i32 s97, s15, 33
	s_mul_i32 s98, s15, 34
	s_mul_i32 s99, s15, 35
	s_mul_i32 s24, s15, 36
	s_mul_i32 s25, s15, 37
	s_mul_i32 s28, s15, 38
	s_mul_i32 s29, s15, 39
	s_mul_i32 s22, s15, 40
	s_mul_i32 s23, s15, 41
	s_mul_i32 s11, s15, 42
	s_mul_i32 s30, s15, 43
	s_mul_i32 s31, s15, 44
	s_mul_i32 s26, s15, 45
	s_mul_i32 s27, s15, 46
	s_mul_i32 s8, s15, 47
	s_mul_i32 s69, s15, 48
	s_mul_i32 s70, s15, 49
	s_mul_i32 s71, s15, 50
	s_mul_i32 s73, s15, 51
	s_mul_i32 s74, s15, 52
	s_mul_i32 s75, s15, 53
	s_mul_i32 s76, s15, 54
	s_mul_i32 s77, s15, 55
	s_mul_i32 s78, s15, 56
	s_mul_i32 s79, s15, 57
	s_mul_i32 s81, s15, 58
	s_mul_i32 s82, s15, 59
	s_mul_i32 s83, s15, 60
	s_mul_i32 s84, s15, 61
	s_mul_i32 s85, s15, 62
	s_mul_i32 s15, s15, 63
	s_mov_b64 s[4:5], 0
	s_mov_b64 s[66:67], 0x400
	s_branch .LBB108_6
.LBB108_5:                              ;   in Loop: Header=BB108_6 Depth=1
	s_waitcnt vmcnt(0)
	v_cvt_f16_f32_e32 v0, v70
	v_cvt_f16_f32_e32 v70, v71
	;; [unrolled: 1-line block ×6, first 2 shown]
	v_pack_b32_f16 v0, v0, v70
	v_pack_b32_f16 v70, v71, v74
	ds_write2_b32 v101, v0, v70 offset1:66
	v_cvt_f16_f32_e32 v70, v78
	v_cvt_f16_f32_e32 v71, v79
	v_pack_b32_f16 v0, v72, v73
	v_cvt_f16_f32_e32 v72, v76
	v_cvt_f16_f32_e32 v73, v77
	;; [unrolled: 1-line block ×4, first 2 shown]
	v_pack_b32_f16 v70, v70, v71
	ds_write2_b32 v101, v0, v70 offset0:132 offset1:198
	v_pack_b32_f16 v0, v72, v73
	v_cvt_f16_f32_e32 v71, v80
	v_cvt_f16_f32_e32 v72, v81
	v_pack_b32_f16 v70, v74, v75
	v_cvt_f16_f32_e32 v73, v86
	v_cvt_f16_f32_e32 v74, v87
	v_add_u32_e32 v75, 0x400, v101
	ds_write2_b32 v75, v0, v70 offset0:8 offset1:74
	v_pack_b32_f16 v0, v71, v72
	v_cvt_f16_f32_e32 v71, v84
	v_cvt_f16_f32_e32 v72, v85
	v_pack_b32_f16 v70, v73, v74
	ds_write2_b32 v75, v0, v70 offset0:140 offset1:206
	v_cvt_f16_f32_e32 v0, v90
	v_cvt_f16_f32_e32 v70, v91
	v_pack_b32_f16 v71, v71, v72
	v_cvt_f16_f32_e32 v72, v88
	v_cvt_f16_f32_e32 v73, v89
	v_pack_b32_f16 v0, v0, v70
	v_add_u32_e32 v70, 0x800, v101
	ds_write2_b32 v70, v71, v0 offset0:16 offset1:82
	v_pack_b32_f16 v0, v72, v73
	v_cvt_f16_f32_e32 v71, v94
	v_cvt_f16_f32_e32 v72, v95
	;; [unrolled: 1-line block ×6, first 2 shown]
	v_pack_b32_f16 v71, v71, v72
	ds_write2_b32 v70, v0, v71 offset0:148 offset1:214
	v_pack_b32_f16 v0, v73, v74
	v_pack_b32_f16 v70, v75, v76
	v_add_u32_e32 v71, 0xc00, v101
	ds_write2_b32 v71, v0, v70 offset0:24 offset1:90
	ds_write2_b32 v71, v1, v1 offset0:156 offset1:222
	ds_read2_b64 v[70:73], v102 offset1:4
	s_waitcnt lgkmcnt(0)
	v_mfma_f32_16x16x16_f16 a[0:3], v[12:13], v[70:71], a[0:3]
	v_add_u32_e32 v100, 0x100, v100
	v_cmp_le_i32_e32 vcc, s12, v100
	v_lshl_add_u64 v[4:5], v[4:5], 0, s[66:67]
	v_mfma_f32_16x16x16_f16 a[4:7], v[38:39], v[70:71], a[4:7]
	s_or_b64 s[4:5], vcc, s[4:5]
	v_mfma_f32_16x16x16_f16 a[8:11], v[52:53], v[70:71], a[8:11]
	v_mfma_f32_16x16x16_f16 a[12:15], v[68:69], v[70:71], a[12:15]
	;; [unrolled: 1-line block ×3, first 2 shown]
	ds_read2_b64 v[10:13], v102 offset0:8 offset1:12
	v_mfma_f32_16x16x16_f16 a[4:7], v[34:35], v[72:73], a[4:7]
	v_mfma_f32_16x16x16_f16 a[8:11], v[50:51], v[72:73], a[8:11]
	;; [unrolled: 1-line block ×3, first 2 shown]
	s_waitcnt lgkmcnt(0)
	v_mfma_f32_16x16x16_f16 a[0:3], v[8:9], v[10:11], a[0:3]
	v_mfma_f32_16x16x16_f16 a[4:7], v[32:33], v[10:11], a[4:7]
	;; [unrolled: 1-line block ×5, first 2 shown]
	ds_read2_b64 v[6:9], v102 offset0:16 offset1:20
	v_mfma_f32_16x16x16_f16 a[4:7], v[30:31], v[12:13], a[4:7]
	v_mfma_f32_16x16x16_f16 a[8:11], v[46:47], v[12:13], a[8:11]
	;; [unrolled: 1-line block ×3, first 2 shown]
	s_waitcnt lgkmcnt(0)
	v_mfma_f32_16x16x16_f16 a[0:3], v[20:21], v[6:7], a[0:3]
	v_mfma_f32_16x16x16_f16 a[4:7], v[28:29], v[6:7], a[4:7]
	;; [unrolled: 1-line block ×8, first 2 shown]
	ds_read2_b64 v[6:9], v102 offset0:24 offset1:28
	s_waitcnt lgkmcnt(0)
	v_mfma_f32_16x16x16_f16 a[0:3], v[16:17], v[6:7], a[0:3]
	v_mfma_f32_16x16x16_f16 a[4:7], v[24:25], v[6:7], a[4:7]
	;; [unrolled: 1-line block ×8, first 2 shown]
	s_andn2_b64 exec, exec, s[4:5]
	s_cbranch_execz .LBB108_48
.LBB108_6:                              ; =>This Inner Loop Header: Depth=1
	v_readlane_b32 s86, v103, 11
	v_lshl_add_u64 v[6:7], v[4:5], 0, s[64:65]
	global_load_dword v0, v[4:5], off
	global_load_dword v22, v[6:7], off
	v_add_u32_e32 v8, s86, v100
	v_readlane_b32 s86, v103, 12
	v_add_u32_e32 v6, s3, v100
	v_add_u32_e32 v18, s72, v100
	;; [unrolled: 1-line block ×3, first 2 shown]
	v_readlane_b32 s86, v103, 13
	v_ashrrev_i32_e32 v7, 31, v6
	v_add_u32_e32 v10, s68, v100
	v_add_u32_e32 v14, s86, v100
	v_readlane_b32 s86, v103, 14
	v_ashrrev_i32_e32 v19, 31, v18
	v_lshl_add_u64 v[6:7], v[6:7], 2, s[0:1]
	v_add_u32_e32 v16, s86, v100
	v_readlane_b32 s86, v103, 15
	v_ashrrev_i32_e32 v9, 31, v8
	v_ashrrev_i32_e32 v11, 31, v10
	v_add_u32_e32 v20, s86, v100
	v_ashrrev_i32_e32 v13, 31, v12
	v_ashrrev_i32_e32 v15, 31, v14
	;; [unrolled: 1-line block ×3, first 2 shown]
	v_lshl_add_u64 v[18:19], v[18:19], 2, s[0:1]
	v_ashrrev_i32_e32 v21, 31, v20
	v_readlane_b32 s86, v103, 16
	v_lshl_add_u64 v[8:9], v[8:9], 2, s[0:1]
	v_lshl_add_u64 v[10:11], v[10:11], 2, s[0:1]
	;; [unrolled: 1-line block ×6, first 2 shown]
	global_load_dword v23, v[6:7], off
	global_load_dword v24, v[8:9], off
	;; [unrolled: 1-line block ×6, first 2 shown]
	s_nop 0
	global_load_dword v18, v[18:19], off
	s_nop 0
	global_load_dword v19, v[20:21], off
	v_add_u32_e32 v6, s86, v100
	v_readlane_b32 s86, v103, 17
	v_ashrrev_i32_e32 v7, 31, v6
	v_lshl_add_u64 v[6:7], v[6:7], 2, s[0:1]
	v_add_u32_e32 v8, s86, v100
	v_readlane_b32 s86, v103, 18
	v_ashrrev_i32_e32 v9, 31, v8
	v_lshl_add_u64 v[8:9], v[8:9], 2, s[0:1]
	;; [unrolled: 4-line block ×5, first 2 shown]
	v_add_u32_e32 v16, s86, v100
	v_ashrrev_i32_e32 v17, 31, v16
	v_lshl_add_u64 v[16:17], v[16:17], 2, s[0:1]
	global_load_dword v20, v[6:7], off
	global_load_dword v21, v[8:9], off
	s_nop 0
	global_load_dword v10, v[10:11], off
	s_nop 0
	;; [unrolled: 2-line block ×3, first 2 shown]
	global_load_dword v12, v[14:15], off
	global_load_dword v13, v[16:17], off
	v_readlane_b32 s86, v103, 22
	v_add_u32_e32 v6, s80, v100
	v_ashrrev_i32_e32 v7, 31, v6
	v_add_u32_e32 v8, s86, v100
	v_readlane_b32 s86, v103, 23
	v_ashrrev_i32_e32 v9, 31, v8
	v_lshl_add_u64 v[6:7], v[6:7], 2, s[0:1]
	v_add_u32_e32 v14, s86, v100
	v_readlane_b32 s86, v103, 24
	v_lshl_add_u64 v[8:9], v[8:9], 2, s[0:1]
	global_load_dword v30, v[6:7], off
	global_load_dword v31, v[8:9], off
	v_add_u32_e32 v16, s86, v100
	v_readlane_b32 s86, v103, 25
	v_ashrrev_i32_e32 v15, 31, v14
	v_lshl_add_u64 v[14:15], v[14:15], 2, s[0:1]
	v_ashrrev_i32_e32 v17, 31, v16
	v_lshl_add_u64 v[16:17], v[16:17], 2, s[0:1]
	s_andn2_b64 vcc, exec, s[34:35]
	s_waitcnt vmcnt(17)
	ds_write_b32 v101, v0
	s_waitcnt vmcnt(16)
	ds_write_b32 v101, v22 offset:264
	s_waitcnt vmcnt(15)
	ds_write_b32 v101, v23 offset:528
	;; [unrolled: 2-line block ×15, first 2 shown]
	v_add_u32_e32 v18, s86, v100
	v_readlane_b32 s86, v103, 26
	v_add_u32_e32 v24, s87, v100
	v_add_u32_e32 v26, s88, v100
	;; [unrolled: 1-line block ×3, first 2 shown]
	v_readlane_b32 s86, v103, 27
	v_add_u32_e32 v28, s89, v100
	v_ashrrev_i32_e32 v19, 31, v18
	v_add_u32_e32 v22, s86, v100
	v_ashrrev_i32_e32 v21, 31, v20
	v_ashrrev_i32_e32 v23, 31, v22
	;; [unrolled: 1-line block ×5, first 2 shown]
	ds_read_b64 v[12:13], v102
	ds_read_b64 v[10:11], v102 offset:32
	ds_read_b64 v[8:9], v102 offset:64
	;; [unrolled: 1-line block ×3, first 2 shown]
	v_lshl_add_u64 v[18:19], v[18:19], 2, s[0:1]
	v_lshl_add_u64 v[20:21], v[20:21], 2, s[0:1]
	v_lshl_add_u64 v[22:23], v[22:23], 2, s[0:1]
	v_lshl_add_u64 v[24:25], v[24:25], 2, s[0:1]
	v_lshl_add_u64 v[26:27], v[26:27], 2, s[0:1]
	v_lshl_add_u64 v[28:29], v[28:29], 2, s[0:1]
	global_load_dword v0, v[14:15], off
	global_load_dword v32, v[16:17], off
	global_load_dword v33, v[18:19], off
	global_load_dword v34, v[20:21], off
	global_load_dword v35, v[22:23], off
	global_load_dword v36, v[24:25], off
	global_load_dword v37, v[26:27], off
	global_load_dword v38, v[28:29], off
	v_add_u32_e32 v14, s90, v100
	v_ashrrev_i32_e32 v15, 31, v14
	v_add_u32_e32 v16, s91, v100
	v_add_u32_e32 v18, s92, v100
	v_add_u32_e32 v20, s93, v100
	v_add_u32_e32 v22, s94, v100
	v_add_u32_e32 v24, s95, v100
	v_add_u32_e32 v26, s96, v100
	v_add_u32_e32 v28, s97, v100
	v_lshl_add_u64 v[14:15], v[14:15], 2, s[0:1]
	v_ashrrev_i32_e32 v17, 31, v16
	v_ashrrev_i32_e32 v19, 31, v18
	v_ashrrev_i32_e32 v21, 31, v20
	v_ashrrev_i32_e32 v23, 31, v22
	v_ashrrev_i32_e32 v25, 31, v24
	v_ashrrev_i32_e32 v27, 31, v26
	v_ashrrev_i32_e32 v29, 31, v28
	v_lshl_add_u64 v[16:17], v[16:17], 2, s[0:1]
	v_lshl_add_u64 v[18:19], v[18:19], 2, s[0:1]
	v_lshl_add_u64 v[20:21], v[20:21], 2, s[0:1]
	v_lshl_add_u64 v[22:23], v[22:23], 2, s[0:1]
	v_lshl_add_u64 v[24:25], v[24:25], 2, s[0:1]
	v_lshl_add_u64 v[26:27], v[26:27], 2, s[0:1]
	v_lshl_add_u64 v[28:29], v[28:29], 2, s[0:1]
	global_load_dword v39, v[14:15], off
	global_load_dword v40, v[16:17], off
	global_load_dword v41, v[18:19], off
	global_load_dword v42, v[20:21], off
	global_load_dword v43, v[22:23], off
	global_load_dword v44, v[24:25], off
	global_load_dword v45, v[26:27], off
	global_load_dword v46, v[28:29], off
	v_add_u32_e32 v14, s98, v100
	v_ashrrev_i32_e32 v15, 31, v14
	v_add_u32_e32 v16, s99, v100
	v_add_u32_e32 v18, s24, v100
	v_add_u32_e32 v20, s25, v100
	v_add_u32_e32 v22, s28, v100
	v_add_u32_e32 v24, s29, v100
	v_add_u32_e32 v26, s22, v100
	v_add_u32_e32 v28, s23, v100
	v_lshl_add_u64 v[14:15], v[14:15], 2, s[0:1]
	v_ashrrev_i32_e32 v17, 31, v16
	v_ashrrev_i32_e32 v19, 31, v18
	v_ashrrev_i32_e32 v21, 31, v20
	v_ashrrev_i32_e32 v23, 31, v22
	v_ashrrev_i32_e32 v25, 31, v24
	v_ashrrev_i32_e32 v27, 31, v26
	v_ashrrev_i32_e32 v29, 31, v28
	v_lshl_add_u64 v[16:17], v[16:17], 2, s[0:1]
	v_lshl_add_u64 v[18:19], v[18:19], 2, s[0:1]
	v_lshl_add_u64 v[20:21], v[20:21], 2, s[0:1]
	v_lshl_add_u64 v[22:23], v[22:23], 2, s[0:1]
	v_lshl_add_u64 v[24:25], v[24:25], 2, s[0:1]
	v_lshl_add_u64 v[26:27], v[26:27], 2, s[0:1]
	v_lshl_add_u64 v[28:29], v[28:29], 2, s[0:1]
	global_load_dword v47, v[14:15], off
	global_load_dword v48, v[16:17], off
	global_load_dword v49, v[18:19], off
	global_load_dword v50, v[20:21], off
	global_load_dword v51, v[22:23], off
	global_load_dword v52, v[24:25], off
	global_load_dword v53, v[26:27], off
	global_load_dword v54, v[28:29], off
	v_add_u32_e32 v14, s11, v100
	v_ashrrev_i32_e32 v15, 31, v14
	v_add_u32_e32 v16, s30, v100
	v_add_u32_e32 v18, s31, v100
	v_add_u32_e32 v20, s26, v100
	v_add_u32_e32 v22, s27, v100
	v_add_u32_e32 v24, s8, v100
	v_add_u32_e32 v26, s69, v100
	v_add_u32_e32 v28, s70, v100
	v_lshl_add_u64 v[14:15], v[14:15], 2, s[0:1]
	v_ashrrev_i32_e32 v17, 31, v16
	v_ashrrev_i32_e32 v19, 31, v18
	v_ashrrev_i32_e32 v21, 31, v20
	v_ashrrev_i32_e32 v23, 31, v22
	v_ashrrev_i32_e32 v25, 31, v24
	v_ashrrev_i32_e32 v27, 31, v26
	v_ashrrev_i32_e32 v29, 31, v28
	v_lshl_add_u64 v[16:17], v[16:17], 2, s[0:1]
	v_lshl_add_u64 v[18:19], v[18:19], 2, s[0:1]
	v_lshl_add_u64 v[20:21], v[20:21], 2, s[0:1]
	v_lshl_add_u64 v[22:23], v[22:23], 2, s[0:1]
	v_lshl_add_u64 v[24:25], v[24:25], 2, s[0:1]
	v_lshl_add_u64 v[26:27], v[26:27], 2, s[0:1]
	v_lshl_add_u64 v[28:29], v[28:29], 2, s[0:1]
	global_load_dword v55, v[14:15], off
	global_load_dword v56, v[16:17], off
	global_load_dword v57, v[18:19], off
	global_load_dword v58, v[20:21], off
	global_load_dword v59, v[22:23], off
	global_load_dword v60, v[24:25], off
	global_load_dword v61, v[26:27], off
	global_load_dword v62, v[28:29], off
	v_add_u32_e32 v14, s71, v100
	v_ashrrev_i32_e32 v15, 31, v14
	v_add_u32_e32 v16, s73, v100
	v_add_u32_e32 v18, s74, v100
	v_add_u32_e32 v20, s75, v100
	v_add_u32_e32 v22, s76, v100
	v_add_u32_e32 v24, s77, v100
	v_add_u32_e32 v26, s78, v100
	v_add_u32_e32 v28, s79, v100
	v_lshl_add_u64 v[14:15], v[14:15], 2, s[0:1]
	v_ashrrev_i32_e32 v17, 31, v16
	v_ashrrev_i32_e32 v19, 31, v18
	v_ashrrev_i32_e32 v21, 31, v20
	v_ashrrev_i32_e32 v23, 31, v22
	v_ashrrev_i32_e32 v25, 31, v24
	v_ashrrev_i32_e32 v27, 31, v26
	v_ashrrev_i32_e32 v29, 31, v28
	v_lshl_add_u64 v[16:17], v[16:17], 2, s[0:1]
	v_lshl_add_u64 v[18:19], v[18:19], 2, s[0:1]
	v_lshl_add_u64 v[20:21], v[20:21], 2, s[0:1]
	;; [unrolled: 1-line block ×6, first 2 shown]
	global_load_dword v63, v[14:15], off
	global_load_dword v64, v[16:17], off
	global_load_dword v65, v[18:19], off
	global_load_dword v66, v[20:21], off
	global_load_dword v67, v[22:23], off
	global_load_dword v68, v[24:25], off
	global_load_dword v69, v[26:27], off
	global_load_dword v70, v[28:29], off
	v_add_u32_e32 v14, s81, v100
	v_ashrrev_i32_e32 v15, 31, v14
	v_add_u32_e32 v16, s82, v100
	v_add_u32_e32 v18, s83, v100
	v_add_u32_e32 v20, s84, v100
	v_add_u32_e32 v22, s85, v100
	v_add_u32_e32 v24, s15, v100
	v_lshl_add_u64 v[14:15], v[14:15], 2, s[0:1]
	v_ashrrev_i32_e32 v17, 31, v16
	v_ashrrev_i32_e32 v19, 31, v18
	;; [unrolled: 1-line block ×5, first 2 shown]
	v_lshl_add_u64 v[16:17], v[16:17], 2, s[0:1]
	v_lshl_add_u64 v[18:19], v[18:19], 2, s[0:1]
	;; [unrolled: 1-line block ×5, first 2 shown]
	global_load_dword v71, v[14:15], off
	global_load_dword v72, v[16:17], off
	;; [unrolled: 1-line block ×6, first 2 shown]
	ds_read_b64 v[20:21], v102 offset:128
	ds_read_b64 v[18:19], v102 offset:160
	ds_read_b64 v[16:17], v102 offset:192
	ds_read_b64 v[14:15], v102 offset:224
	s_waitcnt vmcnt(47)
	ds_write_b32 v101, v30
	s_waitcnt vmcnt(46)
	ds_write_b32 v101, v31 offset:264
	s_waitcnt vmcnt(45)
	ds_write_b32 v101, v0 offset:528
	s_waitcnt vmcnt(44)
	ds_write_b32 v101, v32 offset:792
	s_waitcnt vmcnt(43)
	ds_write_b32 v101, v33 offset:1056
	s_waitcnt vmcnt(42)
	ds_write_b32 v101, v34 offset:1320
	s_waitcnt vmcnt(41)
	ds_write_b32 v101, v35 offset:1584
	s_waitcnt vmcnt(40)
	ds_write_b32 v101, v36 offset:1848
	s_waitcnt vmcnt(39)
	ds_write_b32 v101, v37 offset:2112
	s_waitcnt vmcnt(38)
	ds_write_b32 v101, v38 offset:2376
	s_waitcnt vmcnt(37)
	ds_write_b32 v101, v39 offset:2640
	s_waitcnt vmcnt(36)
	ds_write_b32 v101, v40 offset:2904
	s_waitcnt vmcnt(35)
	ds_write_b32 v101, v41 offset:3168
	s_waitcnt vmcnt(34)
	ds_write_b32 v101, v42 offset:3432
	s_waitcnt vmcnt(33)
	ds_write_b32 v101, v43 offset:3696
	s_waitcnt vmcnt(32)
	ds_write_b32 v101, v44 offset:3960
	ds_read_b64 v[38:39], v102
	ds_read_b64 v[34:35], v102 offset:32
	ds_read_b64 v[32:33], v102 offset:64
	ds_read_b64 v[30:31], v102 offset:96
	ds_read_b64 v[28:29], v102 offset:128
	ds_read_b64 v[26:27], v102 offset:160
	ds_read_b64 v[24:25], v102 offset:192
	ds_read_b64 v[22:23], v102 offset:224
	s_waitcnt vmcnt(31)
	ds_write_b32 v101, v45
	s_waitcnt vmcnt(30)
	ds_write_b32 v101, v46 offset:264
	s_waitcnt vmcnt(29)
	ds_write_b32 v101, v47 offset:528
	s_waitcnt vmcnt(28)
	ds_write_b32 v101, v48 offset:792
	s_waitcnt vmcnt(27)
	ds_write_b32 v101, v49 offset:1056
	s_waitcnt vmcnt(26)
	ds_write_b32 v101, v50 offset:1320
	s_waitcnt vmcnt(25)
	ds_write_b32 v101, v51 offset:1584
	s_waitcnt vmcnt(24)
	ds_write_b32 v101, v52 offset:1848
	s_waitcnt vmcnt(23)
	ds_write_b32 v101, v53 offset:2112
	s_waitcnt vmcnt(22)
	ds_write_b32 v101, v54 offset:2376
	s_waitcnt vmcnt(21)
	ds_write_b32 v101, v55 offset:2640
	s_waitcnt vmcnt(20)
	ds_write_b32 v101, v56 offset:2904
	s_waitcnt vmcnt(19)
	ds_write_b32 v101, v57 offset:3168
	s_waitcnt vmcnt(18)
	ds_write_b32 v101, v58 offset:3432
	s_waitcnt vmcnt(17)
	ds_write_b32 v101, v59 offset:3696
	s_waitcnt vmcnt(16)
	ds_write_b32 v101, v60 offset:3960
	ds_read_b64 v[52:53], v102
	ds_read_b64 v[50:51], v102 offset:32
	ds_read_b64 v[48:49], v102 offset:64
	ds_read_b64 v[46:47], v102 offset:96
	;; [unrolled: 40-line block ×3, first 2 shown]
	ds_read_b64 v[64:65], v102 offset:128
	ds_read_b64 v[60:61], v102 offset:160
	ds_read_b64 v[56:57], v102 offset:192
	ds_read_b64 v[54:55], v102 offset:224
	v_mov_b32_e32 v70, 0
	v_mov_b32_e32 v71, 0
	s_cbranch_vccnz .LBB108_9
; %bb.7:                                ;   in Loop: Header=BB108_6 Depth=1
	s_load_dword vcc_lo, s[36:37], 0x0
	v_mov_b32_e32 v71, 0
	v_mov_b32_e32 v70, 0
	s_waitcnt lgkmcnt(0)
	s_mul_hi_u32 vcc_hi, vcc_lo, s16
	s_add_i32 vcc_hi, vcc_lo, vcc_hi
	s_lshr_b32 s86, vcc_hi, s17
	s_cmp_ge_i32 s86, s13
	s_cbranch_scc1 .LBB108_9
; %bb.8:                                ;   in Loop: Header=BB108_6 Depth=1
	s_mul_i32 vcc_hi, s86, s18
	s_sub_i32 vcc_lo, vcc_lo, vcc_hi
	s_mul_i32 s86, s86, s20
	s_mul_i32 vcc_lo, vcc_lo, s9
	v_add_u32_e32 v0, s86, v100
	v_lshl_add_u32 v70, v0, 1, vcc_lo
	v_ashrrev_i32_e32 v71, 31, v70
	v_lshl_add_u64 v[70:71], v[70:71], 2, s[6:7]
	global_load_dwordx2 v[70:71], v[70:71], off
.LBB108_9:                              ;   in Loop: Header=BB108_6 Depth=1
	s_andn2_b64 vcc, exec, s[38:39]
	v_mov_b32_e32 v72, 0
	v_mov_b32_e32 v74, 0
	v_mov_b32_e32 v75, 0
	s_cbranch_vccnz .LBB108_12
; %bb.10:                               ;   in Loop: Header=BB108_6 Depth=1
	s_load_dword vcc_lo, s[36:37], 0x4
	v_mov_b32_e32 v75, 0
	v_mov_b32_e32 v74, 0
	s_waitcnt lgkmcnt(0)
	s_mul_hi_u32 s86, vcc_lo, s16
	s_add_i32 s86, vcc_lo, s86
	s_lshr_b32 vcc_hi, s86, s17
	s_cmp_ge_i32 vcc_hi, s13
	s_cbranch_scc1 .LBB108_12
; %bb.11:                               ;   in Loop: Header=BB108_6 Depth=1
	s_mul_i32 s86, vcc_hi, s18
	s_sub_i32 s86, vcc_lo, s86
	s_mul_i32 vcc_hi, vcc_hi, s20
	s_mul_i32 s86, s86, s9
	v_add_u32_e32 v0, vcc_hi, v100
	v_lshl_add_u32 v74, v0, 1, s86
	v_ashrrev_i32_e32 v75, 31, v74
	v_lshl_add_u64 v[74:75], v[74:75], 2, s[6:7]
	global_load_dwordx2 v[74:75], v[74:75], off
.LBB108_12:                             ;   in Loop: Header=BB108_6 Depth=1
	s_andn2_b64 vcc, exec, s[40:41]
	v_mov_b32_e32 v73, 0
	s_cbranch_vccnz .LBB108_15
; %bb.13:                               ;   in Loop: Header=BB108_6 Depth=1
	s_load_dword vcc_lo, s[36:37], 0x8
	v_mov_b32_e32 v73, 0
	v_mov_b32_e32 v72, 0
	s_waitcnt lgkmcnt(0)
	s_mul_hi_u32 s86, vcc_lo, s16
	s_add_i32 s86, vcc_lo, s86
	s_lshr_b32 vcc_hi, s86, s17
	s_cmp_ge_i32 vcc_hi, s13
	s_cbranch_scc1 .LBB108_15
; %bb.14:                               ;   in Loop: Header=BB108_6 Depth=1
	s_mul_i32 s86, vcc_hi, s18
	s_sub_i32 s86, vcc_lo, s86
	s_mul_i32 vcc_hi, vcc_hi, s20
	s_mul_i32 s86, s86, s9
	v_add_u32_e32 v0, vcc_hi, v100
	v_lshl_add_u32 v72, v0, 1, s86
	v_ashrrev_i32_e32 v73, 31, v72
	v_lshl_add_u64 v[72:73], v[72:73], 2, s[6:7]
	global_load_dwordx2 v[72:73], v[72:73], off
.LBB108_15:                             ;   in Loop: Header=BB108_6 Depth=1
	s_andn2_b64 vcc, exec, s[42:43]
	v_mov_b32_e32 v76, 0
	v_mov_b32_e32 v78, 0
	v_mov_b32_e32 v79, 0
	s_cbranch_vccnz .LBB108_18
; %bb.16:                               ;   in Loop: Header=BB108_6 Depth=1
	s_load_dword vcc_lo, s[36:37], 0xc
	v_mov_b32_e32 v79, 0
	v_mov_b32_e32 v78, 0
	s_waitcnt lgkmcnt(0)
	s_mul_hi_u32 s86, vcc_lo, s16
	s_add_i32 s86, vcc_lo, s86
	s_lshr_b32 vcc_hi, s86, s17
	s_cmp_ge_i32 vcc_hi, s13
	s_cbranch_scc1 .LBB108_18
; %bb.17:                               ;   in Loop: Header=BB108_6 Depth=1
	s_mul_i32 s86, vcc_hi, s18
	s_sub_i32 s86, vcc_lo, s86
	s_mul_i32 vcc_hi, vcc_hi, s20
	s_mul_i32 s86, s86, s9
	v_add_u32_e32 v0, vcc_hi, v100
	v_lshl_add_u32 v78, v0, 1, s86
	v_ashrrev_i32_e32 v79, 31, v78
	v_lshl_add_u64 v[78:79], v[78:79], 2, s[6:7]
	global_load_dwordx2 v[78:79], v[78:79], off
.LBB108_18:                             ;   in Loop: Header=BB108_6 Depth=1
	s_andn2_b64 vcc, exec, s[44:45]
	v_mov_b32_e32 v77, 0
	s_cbranch_vccnz .LBB108_21
; %bb.19:                               ;   in Loop: Header=BB108_6 Depth=1
	s_load_dword vcc_lo, s[36:37], 0x10
	v_mov_b32_e32 v77, 0
	v_mov_b32_e32 v76, 0
	s_waitcnt lgkmcnt(0)
	s_mul_hi_u32 s86, vcc_lo, s16
	s_add_i32 s86, vcc_lo, s86
	s_lshr_b32 vcc_hi, s86, s17
	s_cmp_ge_i32 vcc_hi, s13
	s_cbranch_scc1 .LBB108_21
; %bb.20:                               ;   in Loop: Header=BB108_6 Depth=1
	s_mul_i32 s86, vcc_hi, s18
	s_sub_i32 s86, vcc_lo, s86
	s_mul_i32 vcc_hi, vcc_hi, s20
	s_mul_i32 s86, s86, s9
	v_add_u32_e32 v0, vcc_hi, v100
	v_lshl_add_u32 v76, v0, 1, s86
	v_ashrrev_i32_e32 v77, 31, v76
	v_lshl_add_u64 v[76:77], v[76:77], 2, s[6:7]
	global_load_dwordx2 v[76:77], v[76:77], off
.LBB108_21:                             ;   in Loop: Header=BB108_6 Depth=1
	;; [unrolled: 50-line block ×6, first 2 shown]
	s_andn2_b64 vcc, exec, s[62:63]
	v_mov_b32_e32 v96, 0
	v_mov_b32_e32 v97, 0
	s_cbranch_vccnz .LBB108_5
; %bb.46:                               ;   in Loop: Header=BB108_6 Depth=1
	s_load_dword vcc_lo, s[36:37], 0x34
	v_mov_b32_e32 v97, 0
	v_mov_b32_e32 v96, 0
	s_waitcnt lgkmcnt(0)
	s_mul_hi_u32 s86, vcc_lo, s16
	s_add_i32 s86, vcc_lo, s86
	s_lshr_b32 vcc_hi, s86, s17
	s_cmp_ge_i32 vcc_hi, s13
	s_cbranch_scc1 .LBB108_5
; %bb.47:                               ;   in Loop: Header=BB108_6 Depth=1
	s_mul_i32 s86, vcc_hi, s18
	s_sub_i32 s86, vcc_lo, s86
	s_mul_i32 vcc_hi, vcc_hi, s20
	s_mul_i32 s86, s86, s9
	v_add_u32_e32 v0, vcc_hi, v100
	v_lshl_add_u32 v96, v0, 1, s86
	v_ashrrev_i32_e32 v97, 31, v96
	v_lshl_add_u64 v[96:97], v[96:97], 2, s[6:7]
	global_load_dwordx2 v[96:97], v[96:97], off
	s_branch .LBB108_5
.LBB108_48:
	s_or_b64 exec, exec, s[4:5]
	v_readlane_b32 s24, v103, 6
	v_readlane_b32 s26, v103, 9
	;; [unrolled: 1-line block ×9, first 2 shown]
.LBB108_49:
	s_or_b64 exec, exec, s[28:29]
	s_lshl_b64 s[0:1], s[26:27], 2
	v_mul_u32_u24_e32 v0, 0x408, v99
	v_lshlrev_b32_e32 v1, 2, v98
	v_or_b32_e32 v4, 12, v3
	s_add_u32 s4, s22, s0
	v_add3_u32 v0, 0, v0, v1
	v_and_b32_e32 v1, 0x3f0, v3
	v_and_b32_e32 v4, 0x3fc, v4
	s_addc_u32 s5, s23, s1
	v_add_u32_e32 v1, v0, v1
	v_add_u32_e32 v0, v0, v4
	s_barrier
	ds_write2_b32 v1, a0, a1 offset1:1
	ds_write_b32 v1, a2 offset:8
	ds_write_b32 v0, a3
	ds_write2_b32 v1, a4, a5 offset0:16 offset1:17
	ds_write_b32 v1, a6 offset:72
	ds_write_b32 v0, a7 offset:64
	ds_write2_b32 v1, a8, a9 offset0:32 offset1:33
	ds_write_b32 v1, a10 offset:136
	ds_write_b32 v0, a11 offset:128
	;; [unrolled: 3-line block ×3, first 2 shown]
	s_cmp_gt_i32 s14, 0
	v_add_u32_e32 v0, s2, v2
	s_cselect_b64 s[6:7], -1, 0
	v_cmp_gt_i32_e64 s[0:1], s33, v0
	v_cmp_gt_u32_e32 vcc, 14, v2
	s_and_b64 s[0:1], s[6:7], s[0:1]
	v_lshl_add_u32 v5, v3, 2, 0
	v_add_u32_e32 v4, s11, v3
	v_mul_u32_u24_e32 v6, 0x408, v2
	s_and_b64 s[8:9], vcc, s[0:1]
	s_waitcnt lgkmcnt(0)
	s_barrier
	s_and_saveexec_b64 s[0:1], s[8:9]
	s_cbranch_execz .LBB108_52
; %bb.50:
	v_ashrrev_i32_e32 v1, 31, v0
	v_lshl_add_u64 v[8:9], v[0:1], 2, s[4:5]
	global_load_dword v3, v[8:9], off
	s_waitcnt vmcnt(0)
	v_mul_hi_u32 v1, v3, s19
	v_add_u32_e32 v1, v3, v1
	v_lshrrev_b32_e32 v1, s24, v1
	v_cmp_gt_i32_e32 vcc, s13, v1
	s_and_b64 exec, exec, vcc
	s_cbranch_execz .LBB108_52
; %bb.51:
	v_add_u32_e32 v7, v5, v6
	ds_read2st64_b32 v[8:9], v7 offset1:1
	ds_read2st64_b32 v[10:11], v7 offset0:2 offset1:3
	v_mul_lo_u32 v12, v1, s25
	v_sub_u32_e32 v3, v3, v12
	v_mul_lo_u32 v3, v3, s10
	s_waitcnt lgkmcnt(1)
	v_add_f32_e32 v7, 0, v8
	v_add_f32_e32 v7, v7, v9
	v_mul_lo_u32 v1, v1, s21
	v_readlane_b32 s8, v103, 0
	s_waitcnt lgkmcnt(0)
	v_add_f32_e32 v7, v7, v10
	v_add3_u32 v8, v4, v1, v3
	v_mov_b32_e32 v9, 0
	v_readlane_b32 s9, v103, 1
	v_add_f32_e32 v7, v7, v11
	s_nop 0
	v_lshl_add_u64 v[8:9], v[8:9], 2, s[8:9]
	global_store_dword v[8:9], v7, off
.LBB108_52:
	s_or_b64 exec, exec, s[0:1]
	v_add_u32_e32 v1, 4, v0
	v_cmp_gt_i32_e64 s[0:1], s33, v1
	v_cmp_gt_u32_e32 vcc, 10, v2
	s_and_b64 s[0:1], s[6:7], s[0:1]
	s_and_b64 s[8:9], vcc, s[0:1]
	s_and_saveexec_b64 s[0:1], s[8:9]
	s_cbranch_execz .LBB108_55
; %bb.53:
	s_ashr_i32 s3, s2, 31
	v_mov_b32_e32 v3, 0
	v_lshl_add_u64 v[8:9], v[2:3], 0, s[2:3]
	v_lshl_add_u64 v[8:9], v[8:9], 2, s[4:5]
	global_load_dword v7, v[8:9], off offset:16
	s_waitcnt vmcnt(0)
	v_mul_hi_u32 v1, v7, s19
	v_add_u32_e32 v1, v7, v1
	v_lshrrev_b32_e32 v1, s24, v1
	v_cmp_gt_i32_e32 vcc, s13, v1
	s_and_b64 exec, exec, vcc
	s_cbranch_execz .LBB108_55
; %bb.54:
	v_add_u32_e32 v8, v6, v5
	v_add_u32_e32 v10, 32, v8
	ds_read2st64_b32 v[8:9], v10 offset0:16 offset1:17
	ds_read2st64_b32 v[10:11], v10 offset0:18 offset1:19
	v_mul_lo_u32 v12, v1, s25
	v_sub_u32_e32 v7, v7, v12
	v_mul_lo_u32 v7, v7, s10
	s_waitcnt lgkmcnt(1)
	v_add_f32_e32 v8, 0, v8
	v_add_f32_e32 v8, v8, v9
	s_waitcnt lgkmcnt(0)
	v_add_f32_e32 v8, v8, v10
	v_mul_lo_u32 v1, v1, s21
	v_readlane_b32 s8, v103, 0
	v_add_f32_e32 v10, v8, v11
	v_add3_u32 v8, v4, v1, v7
	v_mov_b32_e32 v9, v3
	v_readlane_b32 s9, v103, 1
	s_nop 1
	v_lshl_add_u64 v[8:9], v[8:9], 2, s[8:9]
	global_store_dword v[8:9], v10, off
.LBB108_55:
	s_or_b64 exec, exec, s[0:1]
	v_add_u32_e32 v0, 8, v0
	v_cmp_gt_i32_e64 s[0:1], s33, v0
	v_cmp_gt_u32_e32 vcc, 6, v2
	s_and_b64 s[0:1], s[6:7], s[0:1]
	s_and_b64 s[8:9], vcc, s[0:1]
	s_and_saveexec_b64 s[0:1], s[8:9]
	s_cbranch_execz .LBB108_58
; %bb.56:
	s_ashr_i32 s3, s2, 31
	v_mov_b32_e32 v3, 0
	v_lshl_add_u64 v[0:1], v[2:3], 0, s[2:3]
	v_lshl_add_u64 v[0:1], v[0:1], 2, s[4:5]
	global_load_dword v1, v[0:1], off offset:32
	s_waitcnt vmcnt(0)
	v_mul_hi_u32 v0, v1, s19
	v_add_u32_e32 v0, v1, v0
	v_lshrrev_b32_e32 v0, s24, v0
	v_cmp_gt_i32_e32 vcc, s13, v0
	s_and_b64 exec, exec, vcc
	s_cbranch_execz .LBB108_58
; %bb.57:
	v_add_u32_e32 v6, v5, v6
	v_add_u32_e32 v8, 64, v6
	ds_read2st64_b32 v[6:7], v8 offset0:32 offset1:33
	ds_read2st64_b32 v[8:9], v8 offset0:34 offset1:35
	v_mul_lo_u32 v10, v0, s25
	v_sub_u32_e32 v1, v1, v10
	v_mul_lo_u32 v1, v1, s10
	s_waitcnt lgkmcnt(1)
	v_add_f32_e32 v6, 0, v6
	v_add_f32_e32 v6, v6, v7
	v_mul_lo_u32 v0, v0, s21
	v_readlane_b32 s8, v103, 0
	s_waitcnt lgkmcnt(0)
	v_add_f32_e32 v6, v6, v8
	v_add3_u32 v0, v4, v0, v1
	v_mov_b32_e32 v1, v3
	v_readlane_b32 s9, v103, 1
	v_add_f32_e32 v6, v6, v9
	s_nop 0
	v_lshl_add_u64 v[0:1], v[0:1], 2, s[8:9]
	global_store_dword v[0:1], v6, off
.LBB108_58:
	s_or_b64 exec, exec, s[0:1]
	v_cmp_gt_u32_e32 vcc, 2, v2
	s_and_saveexec_b64 s[0:1], vcc
	s_cbranch_execz .LBB108_62
; %bb.59:
	v_or_b32_e32 v0, 12, v2
	v_add_u32_e32 v1, s2, v0
	v_cmp_gt_i32_e32 vcc, s33, v1
	s_and_b64 s[0:1], s[6:7], vcc
	s_and_b64 exec, exec, s[0:1]
	s_cbranch_execz .LBB108_62
; %bb.60:
	s_ashr_i32 s3, s2, 31
	v_mov_b32_e32 v3, 0
	v_lshl_add_u64 v[6:7], v[2:3], 0, s[2:3]
	v_lshl_add_u64 v[6:7], v[6:7], 2, s[4:5]
	global_load_dword v2, v[6:7], off offset:48
	s_waitcnt vmcnt(0)
	v_mul_hi_u32 v1, v2, s19
	v_add_u32_e32 v1, v2, v1
	v_lshrrev_b32_e32 v1, s24, v1
	v_cmp_gt_i32_e32 vcc, s13, v1
	s_and_b64 exec, exec, vcc
	s_cbranch_execz .LBB108_62
; %bb.61:
	s_movk_i32 s0, 0x408
	v_mad_u32_u24 v0, v0, s0, v5
	ds_read2st64_b32 v[6:7], v0 offset1:1
	ds_read2st64_b32 v[8:9], v0 offset0:2 offset1:3
	v_mul_lo_u32 v5, v1, s25
	v_sub_u32_e32 v0, v2, v5
	v_mul_lo_u32 v0, v0, s10
	s_waitcnt lgkmcnt(1)
	v_add_f32_e32 v2, 0, v6
	v_add_f32_e32 v2, v2, v7
	s_waitcnt lgkmcnt(0)
	v_add_f32_e32 v2, v2, v8
	v_mul_lo_u32 v1, v1, s21
	v_readlane_b32 s0, v103, 0
	v_add_f32_e32 v5, v2, v9
	v_add3_u32 v2, v4, v1, v0
	v_readlane_b32 s1, v103, 1
	s_nop 1
	v_lshl_add_u64 v[0:1], v[2:3], 2, s[0:1]
	global_store_dword v[0:1], v5, off
.LBB108_62:
	s_endpgm
	.section	.rodata,"a",@progbits
	.p2align	6, 0x0
	.amdhsa_kernel _ZL13mul_mat_f_idsI7__half2Li64ELi14ELi4EEvPKT_PKfPKiS7_S7_Pfiiiiiiiiiiiiii15HIP_vector_typeIjLj3EESA_
		.amdhsa_group_segment_fixed_size 0
		.amdhsa_private_segment_fixed_size 0
		.amdhsa_kernarg_size 128
		.amdhsa_user_sgpr_count 2
		.amdhsa_user_sgpr_dispatch_ptr 0
		.amdhsa_user_sgpr_queue_ptr 0
		.amdhsa_user_sgpr_kernarg_segment_ptr 1
		.amdhsa_user_sgpr_dispatch_id 0
		.amdhsa_user_sgpr_kernarg_preload_length 0
		.amdhsa_user_sgpr_kernarg_preload_offset 0
		.amdhsa_user_sgpr_private_segment_size 0
		.amdhsa_uses_dynamic_stack 0
		.amdhsa_enable_private_segment 0
		.amdhsa_system_sgpr_workgroup_id_x 1
		.amdhsa_system_sgpr_workgroup_id_y 1
		.amdhsa_system_sgpr_workgroup_id_z 1
		.amdhsa_system_sgpr_workgroup_info 0
		.amdhsa_system_vgpr_workitem_id 1
		.amdhsa_next_free_vgpr 120
		.amdhsa_next_free_sgpr 100
		.amdhsa_accum_offset 104
		.amdhsa_reserve_vcc 1
		.amdhsa_float_round_mode_32 0
		.amdhsa_float_round_mode_16_64 0
		.amdhsa_float_denorm_mode_32 3
		.amdhsa_float_denorm_mode_16_64 3
		.amdhsa_dx10_clamp 1
		.amdhsa_ieee_mode 1
		.amdhsa_fp16_overflow 0
		.amdhsa_tg_split 0
		.amdhsa_exception_fp_ieee_invalid_op 0
		.amdhsa_exception_fp_denorm_src 0
		.amdhsa_exception_fp_ieee_div_zero 0
		.amdhsa_exception_fp_ieee_overflow 0
		.amdhsa_exception_fp_ieee_underflow 0
		.amdhsa_exception_fp_ieee_inexact 0
		.amdhsa_exception_int_div_zero 0
	.end_amdhsa_kernel
	.section	.text._ZL13mul_mat_f_idsI7__half2Li64ELi14ELi4EEvPKT_PKfPKiS7_S7_Pfiiiiiiiiiiiiii15HIP_vector_typeIjLj3EESA_,"axG",@progbits,_ZL13mul_mat_f_idsI7__half2Li64ELi14ELi4EEvPKT_PKfPKiS7_S7_Pfiiiiiiiiiiiiii15HIP_vector_typeIjLj3EESA_,comdat
.Lfunc_end108:
	.size	_ZL13mul_mat_f_idsI7__half2Li64ELi14ELi4EEvPKT_PKfPKiS7_S7_Pfiiiiiiiiiiiiii15HIP_vector_typeIjLj3EESA_, .Lfunc_end108-_ZL13mul_mat_f_idsI7__half2Li64ELi14ELi4EEvPKT_PKfPKiS7_S7_Pfiiiiiiiiiiiiii15HIP_vector_typeIjLj3EESA_
                                        ; -- End function
	.section	.AMDGPU.csdata,"",@progbits
; Kernel info:
; codeLenInByte = 7276
; NumSgprs: 106
; NumVgprs: 104
; NumAgprs: 16
; TotalNumVgprs: 120
; ScratchSize: 0
; MemoryBound: 0
; FloatMode: 240
; IeeeMode: 1
; LDSByteSize: 0 bytes/workgroup (compile time only)
; SGPRBlocks: 13
; VGPRBlocks: 14
; NumSGPRsForWavesPerEU: 106
; NumVGPRsForWavesPerEU: 120
; AccumOffset: 104
; Occupancy: 4
; WaveLimiterHint : 1
; COMPUTE_PGM_RSRC2:SCRATCH_EN: 0
; COMPUTE_PGM_RSRC2:USER_SGPR: 2
; COMPUTE_PGM_RSRC2:TRAP_HANDLER: 0
; COMPUTE_PGM_RSRC2:TGID_X_EN: 1
; COMPUTE_PGM_RSRC2:TGID_Y_EN: 1
; COMPUTE_PGM_RSRC2:TGID_Z_EN: 1
; COMPUTE_PGM_RSRC2:TIDIG_COMP_CNT: 1
; COMPUTE_PGM_RSRC3_GFX90A:ACCUM_OFFSET: 25
; COMPUTE_PGM_RSRC3_GFX90A:TG_SPLIT: 0
	.section	.text._ZL9mul_mat_fI7__half2Li64ELi14ELi4ELb1EEvPKT_PKfPKiPfiiiiiiiiiiiiiiii,"axG",@progbits,_ZL9mul_mat_fI7__half2Li64ELi14ELi4ELb1EEvPKT_PKfPKiPfiiiiiiiiiiiiiiii,comdat
	.globl	_ZL9mul_mat_fI7__half2Li64ELi14ELi4ELb1EEvPKT_PKfPKiPfiiiiiiiiiiiiiiii ; -- Begin function _ZL9mul_mat_fI7__half2Li64ELi14ELi4ELb1EEvPKT_PKfPKiPfiiiiiiiiiiiiiiii
	.p2align	8
	.type	_ZL9mul_mat_fI7__half2Li64ELi14ELi4ELb1EEvPKT_PKfPKiPfiiiiiiiiiiiiiiii,@function
_ZL9mul_mat_fI7__half2Li64ELi14ELi4ELb1EEvPKT_PKfPKiPfiiiiiiiiiiiiiiii: ; @_ZL9mul_mat_fI7__half2Li64ELi14ELi4ELb1EEvPKT_PKfPKiPfiiiiiiiiiiiiiiii
; %bb.0:
	s_load_dwordx8 s[44:51], s[0:1], 0x20
	s_load_dword s7, s[0:1], 0x64
	s_load_dwordx4 s[52:55], s[0:1], 0x44
	s_load_dwordx2 s[8:9], s[0:1], 0x10
	v_bfe_u32 v78, v0, 10, 10
	s_waitcnt lgkmcnt(0)
	s_add_i32 s6, s45, 13
	s_mul_hi_i32 s5, s6, 0x92492493
	s_add_i32 s5, s5, s6
	s_lshr_b32 s6, s5, 31
	s_ashr_i32 s5, s5, 3
	s_add_i32 s5, s5, s6
	v_cvt_f32_u32_e32 v1, s5
	s_add_u32 s12, s0, 0x60
	s_addc_u32 s13, s1, 0
	s_sub_i32 s6, 0, s5
	v_rcp_iflag_f32_e32 v1, v1
	s_abs_i32 s22, s55
	v_mul_f32_e32 v1, 0x4f7ffffe, v1
	v_cvt_u32_f32_e32 v1, v1
	v_mul_lo_u32 v2, s6, v1
	v_mul_hi_u32 v2, v1, v2
	v_add_u32_e32 v1, v1, v2
	v_mul_hi_u32 v1, s7, v1
	v_mul_lo_u32 v2, v1, s5
	v_sub_u32_e32 v2, s7, v2
	v_add_u32_e32 v3, 1, v1
	v_subrev_u32_e32 v4, s5, v2
	v_cmp_le_u32_e32 vcc, s5, v2
	s_nop 1
	v_cndmask_b32_e32 v1, v1, v3, vcc
	v_cndmask_b32_e32 v2, v2, v4, vcc
	v_add_u32_e32 v3, 1, v1
	v_cmp_le_u32_e32 vcc, s5, v2
	s_nop 1
	v_cndmask_b32_e32 v1, v1, v3, vcc
	v_cvt_f32_u32_e32 v2, v1
	v_sub_u32_e32 v4, 0, v1
	v_rcp_iflag_f32_e32 v2, v2
	s_nop 0
	v_mul_f32_e32 v2, 0x4f7ffffe, v2
	v_cvt_u32_f32_e32 v3, v2
	v_and_b32_e32 v2, 0x3ff, v0
	v_cmp_eq_u32_e32 vcc, 0, v2
	v_mul_lo_u32 v4, v4, v3
	v_mul_hi_u32 v4, v3, v4
	v_add_u32_e32 v3, v3, v4
	v_mul_hi_u32 v3, s3, v3
	s_and_saveexec_b64 s[6:7], vcc
	s_cbranch_execz .LBB109_2
; %bb.1:
	v_mov_b32_e32 v4, 0x100
	v_lshl_add_u32 v4, v78, 2, v4
	v_mov_b32_e32 v5, -1
	ds_write_b32 v4, v5
.LBB109_2:
	s_or_b64 exec, exec, s[6:7]
	v_mul_lo_u32 v4, v3, v1
	v_sub_u32_e32 v4, s3, v4
	v_add_u32_e32 v5, 1, v3
	v_sub_u32_e32 v6, v4, v1
	v_cmp_ge_u32_e64 s[6:7], v4, v1
	v_cvt_f32_u32_e32 v11, s22
	s_nop 0
	v_cndmask_b32_e64 v3, v3, v5, s[6:7]
	v_cndmask_b32_e64 v4, v4, v6, s[6:7]
	v_add_u32_e32 v5, 1, v3
	v_cmp_ge_u32_e64 s[6:7], v4, v1
	s_nop 1
	v_cndmask_b32_e64 v3, v3, v5, s[6:7]
	v_mul_lo_u32 v1, v3, v1
	v_mul_lo_u32 v3, v3, 14
	v_mul_hi_i32 v5, v3, s51
	v_mul_lo_u32 v4, v3, s51
	v_sub_u32_e32 v10, s3, v1
	v_lshlrev_b64 v[4:5], 2, v[4:5]
	v_add_u32_e32 v1, v78, v3
	v_lshl_add_u64 v[4:5], s[8:9], 0, v[4:5]
	v_cmp_gt_i32_e64 s[8:9], s46, v2
	v_cmp_gt_i32_e64 s[24:25], s45, v1
	v_mov_b32_e32 v1, 0
	s_and_saveexec_b64 s[14:15], s[24:25]
	s_cbranch_execz .LBB109_10
; %bb.3:
	v_mov_b32_e32 v1, 0
	s_and_saveexec_b64 s[16:17], s[8:9]
	s_cbranch_execz .LBB109_9
; %bb.4:
	v_mul_lo_u32 v6, v78, s51
	v_ashrrev_i32_e32 v7, 31, v6
	v_mov_b32_e32 v1, 0x100
	v_lshl_add_u64 v[6:7], v[6:7], 2, v[4:5]
	v_lshl_add_u32 v12, v78, 2, v1
	v_mul_lo_u32 v8, v2, s50
	s_lshl_b32 s3, s50, 6
	s_mov_b64 s[18:19], 0
	v_mov_b32_e32 v1, 0
	v_mov_b32_e32 v13, v2
	s_branch .LBB109_6
.LBB109_5:                              ;   in Loop: Header=BB109_6 Depth=1
	s_or_b64 exec, exec, s[20:21]
	v_add_u32_e32 v13, 64, v13
	v_cmp_le_i32_e64 s[10:11], s46, v13
	s_xor_b64 s[6:7], s[6:7], -1
	s_or_b64 s[6:7], s[6:7], s[10:11]
	s_and_b64 s[6:7], exec, s[6:7]
	s_or_b64 s[18:19], s[6:7], s[18:19]
	v_add_u32_e32 v8, s3, v8
	s_andn2_b64 exec, exec, s[18:19]
	s_cbranch_execz .LBB109_8
.LBB109_6:                              ; =>This Inner Loop Header: Depth=1
	v_ashrrev_i32_e32 v9, 31, v8
	v_lshl_add_u64 v[14:15], v[8:9], 2, v[6:7]
	global_load_dword v9, v[14:15], off
	s_waitcnt vmcnt(0)
	v_cmp_ne_u32_e64 s[6:7], v9, v10
	v_cmp_eq_u32_e64 s[10:11], v9, v10
	s_and_saveexec_b64 s[20:21], s[10:11]
	s_cbranch_execz .LBB109_5
; %bb.7:                                ;   in Loop: Header=BB109_6 Depth=1
	v_mov_b32_e32 v1, 1
	ds_write_b32 v12, v13
	s_branch .LBB109_5
.LBB109_8:
	s_or_b64 exec, exec, s[18:19]
.LBB109_9:
	s_or_b64 exec, exec, s[16:17]
.LBB109_10:
	s_or_b64 exec, exec, s[14:15]
	v_rcp_iflag_f32_e32 v6, v11
	s_and_saveexec_b64 s[6:7], vcc
	s_cbranch_execz .LBB109_12
; %bb.11:
	v_mov_b32_e32 v7, 0x100
	v_lshl_add_u32 v7, v78, 2, v7
	v_mov_b32_e32 v8, -1
	ds_write_b32 v7, v8 offset:16
.LBB109_12:
	s_or_b64 exec, exec, s[6:7]
	v_add_u32_e32 v79, 4, v78
	v_mul_f32_e32 v11, 0x4f7ffffe, v6
	v_add_u32_e32 v6, v79, v3
	v_cmp_gt_i32_e64 s[6:7], s45, v6
	s_mov_b64 s[14:15], exec
                                        ; implicit-def: $vgpr92 : SGPR spill to VGPR lane
	s_nop 0
	v_writelane_b32 v92, s6, 0
	s_nop 1
	v_writelane_b32 v92, s7, 1
	s_and_b64 s[6:7], s[14:15], s[6:7]
	s_mov_b64 exec, s[6:7]
	s_cbranch_execz .LBB109_20
; %bb.13:
	s_and_saveexec_b64 s[16:17], s[8:9]
	s_cbranch_execz .LBB109_19
; %bb.14:
	v_mul_lo_u32 v6, v79, s51
	v_ashrrev_i32_e32 v7, 31, v6
	v_mov_b32_e32 v8, 0x100
	v_lshl_add_u64 v[6:7], v[6:7], 2, v[4:5]
	v_lshl_add_u32 v12, v78, 2, v8
	v_mul_lo_u32 v8, v2, s50
	s_lshl_b32 s3, s50, 6
	s_mov_b64 s[18:19], 0
	v_mov_b32_e32 v13, v2
	s_branch .LBB109_16
.LBB109_15:                             ;   in Loop: Header=BB109_16 Depth=1
	s_or_b64 exec, exec, s[20:21]
	v_add_u32_e32 v13, 64, v13
	v_cmp_le_i32_e64 s[10:11], s46, v13
	s_xor_b64 s[6:7], s[6:7], -1
	s_or_b64 s[6:7], s[6:7], s[10:11]
	s_and_b64 s[6:7], exec, s[6:7]
	s_or_b64 s[18:19], s[6:7], s[18:19]
	v_add_u32_e32 v8, s3, v8
	s_andn2_b64 exec, exec, s[18:19]
	s_cbranch_execz .LBB109_18
.LBB109_16:                             ; =>This Inner Loop Header: Depth=1
	v_ashrrev_i32_e32 v9, 31, v8
	v_lshl_add_u64 v[14:15], v[8:9], 2, v[6:7]
	global_load_dword v9, v[14:15], off
	s_waitcnt vmcnt(0)
	v_cmp_ne_u32_e64 s[6:7], v9, v10
	v_cmp_eq_u32_e64 s[10:11], v9, v10
	s_and_saveexec_b64 s[20:21], s[10:11]
	s_cbranch_execz .LBB109_15
; %bb.17:                               ;   in Loop: Header=BB109_16 Depth=1
	v_mov_b32_e32 v1, 1
	ds_write_b32 v12, v13 offset:16
	s_branch .LBB109_15
.LBB109_18:
	s_or_b64 exec, exec, s[18:19]
.LBB109_19:
	s_or_b64 exec, exec, s[16:17]
.LBB109_20:
	s_or_b64 exec, exec, s[14:15]
	v_cvt_u32_f32_e32 v11, v11
	s_sub_i32 s3, 0, s22
	s_and_saveexec_b64 s[6:7], vcc
	s_cbranch_execz .LBB109_22
; %bb.21:
	v_mov_b32_e32 v6, 0x100
	v_lshl_add_u32 v6, v78, 2, v6
	v_mov_b32_e32 v7, -1
	ds_write_b32 v6, v7 offset:32
.LBB109_22:
	s_or_b64 exec, exec, s[6:7]
	v_add_u32_e32 v80, 8, v78
	v_mul_lo_u32 v12, s3, v11
	v_add_u32_e32 v6, v80, v3
	v_cmp_gt_i32_e64 s[6:7], s45, v6
	s_mov_b64 s[14:15], exec
	s_nop 0
	v_writelane_b32 v92, s6, 2
	s_nop 1
	v_writelane_b32 v92, s7, 3
	s_and_b64 s[6:7], s[14:15], s[6:7]
	s_mov_b64 exec, s[6:7]
	s_cbranch_execz .LBB109_30
; %bb.23:
	s_and_saveexec_b64 s[16:17], s[8:9]
	s_cbranch_execz .LBB109_29
; %bb.24:
	v_mul_lo_u32 v6, v80, s51
	v_ashrrev_i32_e32 v7, 31, v6
	v_mov_b32_e32 v8, 0x100
	v_lshl_add_u64 v[6:7], v[6:7], 2, v[4:5]
	v_lshl_add_u32 v13, v78, 2, v8
	v_mul_lo_u32 v8, v2, s50
	s_lshl_b32 s3, s50, 6
	s_mov_b64 s[18:19], 0
	v_mov_b32_e32 v14, v2
	s_branch .LBB109_26
.LBB109_25:                             ;   in Loop: Header=BB109_26 Depth=1
	s_or_b64 exec, exec, s[20:21]
	v_add_u32_e32 v14, 64, v14
	v_cmp_le_i32_e64 s[10:11], s46, v14
	s_xor_b64 s[6:7], s[6:7], -1
	s_or_b64 s[6:7], s[6:7], s[10:11]
	s_and_b64 s[6:7], exec, s[6:7]
	s_or_b64 s[18:19], s[6:7], s[18:19]
	v_add_u32_e32 v8, s3, v8
	s_andn2_b64 exec, exec, s[18:19]
	s_cbranch_execz .LBB109_28
.LBB109_26:                             ; =>This Inner Loop Header: Depth=1
	v_ashrrev_i32_e32 v9, 31, v8
	v_lshl_add_u64 v[16:17], v[8:9], 2, v[6:7]
	global_load_dword v9, v[16:17], off
	s_waitcnt vmcnt(0)
	v_cmp_ne_u32_e64 s[6:7], v9, v10
	v_cmp_eq_u32_e64 s[10:11], v9, v10
	s_and_saveexec_b64 s[20:21], s[10:11]
	s_cbranch_execz .LBB109_25
; %bb.27:                               ;   in Loop: Header=BB109_26 Depth=1
	v_mov_b32_e32 v1, 1
	ds_write_b32 v13, v14 offset:32
	s_branch .LBB109_25
.LBB109_28:
	s_or_b64 exec, exec, s[18:19]
.LBB109_29:
	s_or_b64 exec, exec, s[16:17]
.LBB109_30:
	s_or_b64 exec, exec, s[14:15]
	v_mul_hi_u32 v6, v11, v12
	s_and_saveexec_b64 s[6:7], vcc
	s_cbranch_execz .LBB109_32
; %bb.31:
	v_mov_b32_e32 v7, 0x100
	v_lshl_add_u32 v7, v78, 2, v7
	v_mov_b32_e32 v8, -1
	ds_write_b32 v7, v8 offset:48
.LBB109_32:
	s_or_b64 exec, exec, s[6:7]
	s_load_dwordx4 s[28:31], s[0:1], 0x54
	v_add_u32_e32 v81, 12, v78
	s_abs_i32 s3, s4
	v_add_u32_e32 v8, v11, v6
	v_add_u32_e32 v6, v81, v3
	v_cmp_gt_i32_e64 s[6:7], s45, v6
	s_mov_b64 s[10:11], exec
	s_nop 0
	v_writelane_b32 v92, s6, 4
	s_nop 1
	v_writelane_b32 v92, s7, 5
	s_and_b64 s[6:7], s[10:11], s[6:7]
	s_mov_b64 exec, s[6:7]
	s_cbranch_execz .LBB109_40
; %bb.33:
	s_and_saveexec_b64 s[14:15], s[8:9]
	s_cbranch_execz .LBB109_39
; %bb.34:
	v_mul_lo_u32 v6, v81, s51
	v_ashrrev_i32_e32 v7, 31, v6
	v_lshl_add_u64 v[4:5], v[6:7], 2, v[4:5]
	v_mov_b32_e32 v6, 0x100
	v_lshl_add_u32 v9, v78, 2, v6
	v_mul_lo_u32 v6, v2, s50
	s_lshl_b32 s5, s50, 6
	s_mov_b64 s[16:17], 0
	v_mov_b32_e32 v11, v2
	s_branch .LBB109_36
.LBB109_35:                             ;   in Loop: Header=BB109_36 Depth=1
	s_or_b64 exec, exec, s[18:19]
	v_add_u32_e32 v11, 64, v11
	v_cmp_le_i32_e64 s[8:9], s46, v11
	s_xor_b64 s[6:7], vcc, -1
	s_or_b64 s[6:7], s[6:7], s[8:9]
	s_and_b64 s[6:7], exec, s[6:7]
	s_or_b64 s[16:17], s[6:7], s[16:17]
	v_add_u32_e32 v6, s5, v6
	s_andn2_b64 exec, exec, s[16:17]
	s_cbranch_execz .LBB109_38
.LBB109_36:                             ; =>This Inner Loop Header: Depth=1
	v_ashrrev_i32_e32 v7, 31, v6
	v_lshl_add_u64 v[12:13], v[6:7], 2, v[4:5]
	global_load_dword v7, v[12:13], off
	s_waitcnt vmcnt(0)
	v_cmp_ne_u32_e32 vcc, v7, v10
	v_cmp_eq_u32_e64 s[8:9], v7, v10
	s_and_saveexec_b64 s[18:19], s[8:9]
	s_cbranch_execz .LBB109_35
; %bb.37:                               ;   in Loop: Header=BB109_36 Depth=1
	v_mov_b32_e32 v1, 1
	ds_write_b32 v9, v11 offset:48
	s_branch .LBB109_35
.LBB109_38:
	s_or_b64 exec, exec, s[16:17]
.LBB109_39:
	s_or_b64 exec, exec, s[14:15]
.LBB109_40:
	s_or_b64 exec, exec, s[10:11]
	s_load_dwordx2 s[6:7], s[12:13], 0xc
	s_load_dwordx2 s[10:11], s[0:1], 0x8
	;; [unrolled: 1-line block ×3, first 2 shown]
	v_cmp_ne_u32_e32 vcc, 0, v1
	v_mul_hi_u32 v4, s3, v8
	s_waitcnt lgkmcnt(0)
	s_and_b32 s5, s7, 0xffff
	v_cndmask_b32_e64 v1, 0, 1, vcc
	v_writelane_b32 v92, s8, 6
	s_lshr_b32 s7, s6, 16
	v_or_b32_dpp v1, v1, v1 row_shl:1 row_mask:0xf bank_mask:0xf bound_ctrl:1
	s_and_b32 s6, s6, 0xffff
	v_writelane_b32 v92, s9, 7
	v_or_b32_dpp v1, v1, v1 row_shl:2 row_mask:0xf bank_mask:0xf bound_ctrl:1
	s_mul_i32 s8, s7, s6
	s_bfe_i32 s8, s8, 0x180000
	v_or_b32_dpp v1, v1, v1 row_shl:4 row_mask:0xf bank_mask:0xf bound_ctrl:1
	s_mul_i32 s5, s8, s5
	s_add_i32 s8, s5, 63
	v_or_b32_dpp v1, v1, v1 row_shl:8 row_mask:0xf bank_mask:0xf bound_ctrl:1
	s_bitcmp1_b32 exec_hi, 0
                                        ; kill: killed $sgpr12 killed $sgpr13
	s_nop 0
	v_mov_b32_dpp v5, v1 wave_shl:1 row_mask:0xf bank_mask:0xf bound_ctrl:1
	s_nop 1
	v_or_b32_dpp v1, v5, v1 row_mirror row_mask:0xf bank_mask:0xf bound_ctrl:1
	s_nop 0
	v_readlane_b32 s5, v1, 32
	s_cselect_b32 s5, s5, 0
	v_readlane_b32 s9, v1, 0
	s_or_b32 s5, s5, s9
	s_andn2_b32 s8, s8, 63
	s_cmp_lg_u32 s8, 64
	v_mov_b32_e32 v1, s5
	s_cbranch_scc0 .LBB109_47
; %bb.41:
	v_bfe_u32 v0, v0, 20, 10
	v_mbcnt_lo_u32_b32 v1, -1, 0
	v_mad_u32_u24 v0, v0, s7, v78
	v_mbcnt_hi_u32_b32 v5, -1, v1
	v_mad_u64_u32 v[0:1], s[6:7], v0, s6, v[2:3]
	v_lshrrev_b32_e32 v1, 6, v0
	v_or_b32_e32 v1, v5, v1
	v_cmp_eq_u32_e32 vcc, 0, v1
	s_and_saveexec_b64 s[8:9], vcc
	s_cbranch_execz .LBB109_43
; %bb.42:
	v_mov_b32_e32 v1, 0
	v_mov_b32_e32 v6, s5
	ds_write_b32 v1, v6
.LBB109_43:
	s_or_b64 exec, exec, s[8:9]
	v_cmp_eq_u32_e32 vcc, 0, v5
	v_cmp_lt_u32_e64 s[8:9], 63, v0
	s_and_b64 s[6:7], s[8:9], vcc
	s_waitcnt lgkmcnt(0)
	s_barrier
	s_and_saveexec_b64 s[8:9], s[6:7]
	s_cbranch_execz .LBB109_46
; %bb.44:
	v_mbcnt_lo_u32_b32 v0, exec_lo, 0
	v_mbcnt_hi_u32_b32 v0, exec_hi, v0
	v_cmp_eq_u32_e32 vcc, 0, v0
	s_and_b64 exec, exec, vcc
	s_cbranch_execz .LBB109_46
; %bb.45:
	v_mov_b32_e32 v0, 0
	v_mov_b32_e32 v1, s5
	ds_or_b32 v0, v1
.LBB109_46:
	s_or_b64 exec, exec, s[8:9]
	v_mov_b32_e32 v0, 0
	s_waitcnt lgkmcnt(0)
	s_barrier
	ds_read_b32 v1, v0
	s_waitcnt lgkmcnt(0)
	s_barrier
.LBB109_47:
	s_load_dwordx2 s[8:9], s[0:1], 0x0
	v_cmp_ne_u32_e32 vcc, 0, v1
	s_ashr_i32 s5, s4, 31
	s_ashr_i32 s6, s55, 31
	s_cbranch_vccz .LBB109_111
; %bb.48:
	v_lshlrev_b32_e32 v82, 6, v78
	v_add_u32_e32 v84, v82, v2
	v_cmp_le_i32_e32 vcc, s44, v84
	v_and_b32_e32 v83, 15, v2
                                        ; implicit-def: $sgpr7
	s_and_saveexec_b64 s[0:1], vcc
	s_xor_b64 s[0:1], exec, s[0:1]
; %bb.49:
	v_and_b32_e32 v83, 15, v2
	s_mov_b32 s7, 0
                                        ; implicit-def: $vgpr84
                                        ; implicit-def: $vgpr4
                                        ; implicit-def: $vgpr10
; %bb.50:
	s_or_saveexec_b64 s[0:1], s[0:1]
	s_lshl_b32 s12, s2, 6
	v_accvgpr_write_b32 a0, s7
	v_accvgpr_write_b32 a1, s7
	;; [unrolled: 1-line block ×16, first 2 shown]
	v_writelane_b32 v92, s0, 8
	s_nop 1
	v_writelane_b32 v92, s1, 9
	s_xor_b64 exec, exec, s[0:1]
	s_cbranch_execz .LBB109_96
; %bb.51:
	v_mul_lo_u32 v0, v4, s22
	v_sub_u32_e32 v0, s3, v0
	v_add_u32_e32 v1, 1, v4
	v_subrev_u32_e32 v5, s22, v0
	v_cmp_le_u32_e32 vcc, s22, v0
	v_writelane_b32 v92, s24, 10
	s_xor_b32 s0, s5, s6
	v_cndmask_b32_e32 v1, v4, v1, vcc
	v_cndmask_b32_e32 v0, v0, v5, vcc
	v_add_u32_e32 v4, 1, v1
	v_cmp_le_u32_e32 vcc, s22, v0
	v_writelane_b32 v92, s25, 11
	v_writelane_b32 v92, s12, 12
	v_cndmask_b32_e32 v0, v1, v4, vcc
	v_xor_b32_e32 v0, s0, v0
	v_subrev_u32_e32 v0, s0, v0
	s_mul_i32 s0, s12, s47
	s_movk_i32 s2, 0x1080
	v_mov_b32_e32 v85, 0x100
	v_writelane_b32 v92, s4, 13
	v_mul_hi_i32 v1, v0, s28
	v_mul_lo_u32 v0, v0, s28
	v_mul_lo_u32 v4, v10, s52
	s_ashr_i32 s1, s0, 31
	v_mad_u32_u24 v10, v78, s2, v85
	s_mul_hi_i32 s3, s29, s4
	v_writelane_b32 v92, s28, 14
	s_mul_i32 s2, s29, s4
	v_ashrrev_i32_e32 v5, 31, v4
	s_lshl_b64 s[0:1], s[0:1], 2
	s_lshl_b64 s[2:3], s[2:3], 2
	v_lshlrev_b64 v[8:9], 2, v[4:5]
	v_writelane_b32 v92, s29, 15
	v_mul_hi_i32 v5, s48, v3
	v_mul_lo_u32 v4, s48, v3
	s_add_u32 s2, s10, s2
	v_writelane_b32 v92, s30, 16
	v_lshlrev_b64 v[4:5], 3, v[4:5]
	s_addc_u32 s3, s11, s3
	v_writelane_b32 v92, s31, 17
	v_lshl_add_u64 v[4:5], s[2:3], 0, v[4:5]
	s_lshl_b32 s2, s48, 3
	v_writelane_b32 v92, s2, 18
	s_mul_i32 s2, s48, 6
	v_lshlrev_b64 v[6:7], 2, v[0:1]
	v_writelane_b32 v92, s2, 19
	s_lshl_b32 s2, s48, 4
	s_waitcnt lgkmcnt(0)
	v_lshl_add_u64 v[0:1], s[8:9], 0, v[6:7]
	v_writelane_b32 v92, s2, 20
	s_mul_i32 s2, s48, 10
	v_lshl_add_u64 v[0:1], v[0:1], 0, v[8:9]
	v_writelane_b32 v92, s2, 21
	s_mul_i32 s2, s48, 12
	v_lshl_add_u64 v[0:1], v[0:1], 0, s[0:1]
	v_writelane_b32 v92, s2, 22
	v_lshl_add_u64 v[6:7], v[6:7], 0, s[0:1]
	s_mul_i32 s0, s48, 26
	v_writelane_b32 v92, s0, 23
	s_mul_i32 s0, s48, 24
	v_writelane_b32 v92, s0, 24
	;; [unrolled: 2-line block ×5, first 2 shown]
	s_mul_i32 s0, s48, 14
	v_lshrrev_b32_e32 v12, 1, v2
	v_writelane_b32 v92, s0, 28
	s_lshl_b32 s0, s48, 1
	v_mul_u32_u24_e32 v11, 0x108, v83
	v_and_b32_e32 v12, 0x1f8, v12
	v_lshl_add_u64 v[8:9], v[6:7], 0, v[8:9]
	v_writelane_b32 v92, s0, 29
	s_mul_i32 s0, s47, 3
	v_lshl_add_u32 v86, v2, 2, v10
	v_add3_u32 v87, v10, v11, v12
	v_or_b32_e32 v10, 1, v3
	v_add_u32_e32 v11, 2, v3
	s_lshl_b32 s46, s48, 2
	v_add_u32_e32 v12, 3, v3
	v_add_u32_e32 v13, 4, v3
	;; [unrolled: 1-line block ×11, first 2 shown]
	s_ashr_i32 s3, s47, 31
	s_mov_b32 s2, s47
	v_lshlrev_b32_e32 v23, 1, v2
	v_lshlrev_b32_e32 v6, 2, v84
	v_mov_b32_e32 v7, 0
	v_lshl_add_u64 v[8:9], s[8:9], 0, v[8:9]
	v_writelane_b32 v92, s0, 30
	s_mul_i32 s0, s47, 5
	v_lshl_add_u32 v88, v78, 7, v23
	s_lshl_b64 s[2:3], s[2:3], 2
	v_lshl_add_u64 v[8:9], v[8:9], 0, v[6:7]
	s_lshl_b32 s68, s47, 1
	s_lshl_b32 s70, s47, 2
	v_writelane_b32 v92, s0, 31
	s_mul_i32 s72, s47, 6
	s_mul_i32 s73, s47, 7
	s_lshl_b32 s74, s47, 3
	s_mul_i32 s75, s47, 9
	s_mul_i32 s76, s47, 10
	;; [unrolled: 1-line block ×7, first 2 shown]
	s_lshl_b32 s82, s47, 4
	s_mul_i32 s83, s47, 17
	s_mul_i32 s84, s47, 18
	;; [unrolled: 1-line block ×15, first 2 shown]
	s_lshl_b32 s98, s47, 5
	s_mul_i32 s99, s47, 33
	s_mul_i32 s50, s47, 34
	;; [unrolled: 1-line block ×10, first 2 shown]
	v_cmp_gt_i32_e64 s[8:9], s45, v3
	s_mul_i32 s60, s47, 43
	s_mul_i32 s61, s47, 44
	v_accvgpr_write_b32 a15, 0
	v_accvgpr_write_b32 a14, 0
	;; [unrolled: 1-line block ×16, first 2 shown]
	s_mul_i32 s62, s47, 45
	s_mul_i32 s63, s47, 46
	;; [unrolled: 1-line block ×19, first 2 shown]
	v_cmp_gt_i32_e64 s[10:11], s45, v10
	v_cmp_gt_i32_e64 s[12:13], s45, v11
	v_cmp_gt_i32_e64 s[14:15], s45, v12
	v_cmp_gt_i32_e64 s[16:17], s45, v13
	v_cmp_gt_i32_e64 s[18:19], s45, v14
	v_cmp_gt_i32_e64 s[20:21], s45, v15
	v_cmp_gt_i32_e64 s[22:23], s45, v16
	v_cmp_gt_i32_e64 s[24:25], s45, v17
	v_cmp_gt_i32_e64 s[26:27], s45, v18
	v_cmp_gt_i32_e64 s[28:29], s45, v19
	v_cmp_gt_i32_e64 s[30:31], s45, v20
	v_cmp_gt_i32_e64 s[34:35], s45, v21
	v_cmp_gt_i32_e64 s[36:37], s45, v22
	s_mov_b32 s45, s46
	s_mov_b64 s[46:47], 0
	s_mov_b64 s[56:57], 0x400
	s_branch .LBB109_53
.LBB109_52:                             ;   in Loop: Header=BB109_53 Depth=1
	s_waitcnt vmcnt(0)
	v_cvt_f16_f32_e32 v6, v74
	v_cvt_f16_f32_e32 v74, v75
	v_add_u32_e32 v75, 0xc00, v86
	ds_write_b32 v86, v7 offset:4024
	v_add_u32_e32 v84, 0x100, v84
	v_pack_b32_f16 v6, v6, v74
	ds_write2_b32 v75, v6, v7 offset0:106 offset1:172
	ds_read2_b64 v[74:77], v87 offset0:8 offset1:12
	v_cmp_le_i32_e32 vcc, s44, v84
	v_add_u32_e32 v88, 0x200, v88
	v_lshl_add_u64 v[8:9], v[8:9], 0, s[56:57]
	s_waitcnt lgkmcnt(0)
	v_mfma_f32_16x16x16_f16 a[12:15], v[16:17], v[74:75], a[12:15]
	s_or_b64 s[46:47], vcc, s[46:47]
	v_mfma_f32_16x16x16_f16 a[8:11], v[42:43], v[74:75], a[8:11]
	v_mfma_f32_16x16x16_f16 a[4:7], v[56:57], v[74:75], a[4:7]
	;; [unrolled: 1-line block ×4, first 2 shown]
	ds_read2_b64 v[14:17], v87 offset0:16 offset1:20
	v_mfma_f32_16x16x16_f16 a[8:11], v[40:41], v[76:77], a[8:11]
	v_mfma_f32_16x16x16_f16 a[4:7], v[54:55], v[76:77], a[4:7]
	;; [unrolled: 1-line block ×3, first 2 shown]
	s_waitcnt lgkmcnt(0)
	v_mfma_f32_16x16x16_f16 a[12:15], v[12:13], v[14:15], a[12:15]
	v_mfma_f32_16x16x16_f16 a[8:11], v[36:37], v[14:15], a[8:11]
	v_mfma_f32_16x16x16_f16 a[4:7], v[52:53], v[14:15], a[4:7]
	v_mfma_f32_16x16x16_f16 a[0:3], v[66:67], v[14:15], a[0:3]
	v_mfma_f32_16x16x16_f16 a[12:15], v[10:11], v[16:17], a[12:15]
	ds_read2_b64 v[10:13], v87 offset0:24 offset1:28
	v_mfma_f32_16x16x16_f16 a[8:11], v[34:35], v[16:17], a[8:11]
	v_mfma_f32_16x16x16_f16 a[4:7], v[50:51], v[16:17], a[4:7]
	v_mfma_f32_16x16x16_f16 a[0:3], v[62:63], v[16:17], a[0:3]
	s_waitcnt lgkmcnt(0)
	v_mfma_f32_16x16x16_f16 a[12:15], v[24:25], v[10:11], a[12:15]
	v_mfma_f32_16x16x16_f16 a[8:11], v[32:33], v[10:11], a[8:11]
	;; [unrolled: 1-line block ×8, first 2 shown]
	ds_read2_b64 v[10:13], v87 offset0:32 offset1:36
	s_waitcnt lgkmcnt(0)
	v_mfma_f32_16x16x16_f16 a[12:15], v[20:21], v[10:11], a[12:15]
	v_mfma_f32_16x16x16_f16 a[8:11], v[28:29], v[10:11], a[8:11]
	;; [unrolled: 1-line block ×8, first 2 shown]
	s_andn2_b64 exec, exec, s[46:47]
	s_cbranch_execz .LBB109_95
.LBB109_53:                             ; =>This Inner Loop Header: Depth=1
	v_readlane_b32 vcc_lo, v92, 30
	v_lshl_add_u64 v[10:11], v[8:9], 0, s[2:3]
	global_load_dword v6, v[8:9], off
	global_load_dword v26, v[10:11], off
	v_add_u32_e32 v12, vcc_lo, v84
	v_readlane_b32 vcc_lo, v92, 31
	v_add_u32_e32 v10, s68, v84
	v_add_u32_e32 v14, s70, v84
	v_add_u32_e32 v16, vcc_lo, v84
	v_add_u32_e32 v22, s74, v84
	v_ashrrev_i32_e32 v11, 31, v10
	v_ashrrev_i32_e32 v15, 31, v14
	;; [unrolled: 1-line block ×3, first 2 shown]
	v_add_u32_e32 v18, s72, v84
	v_add_u32_e32 v20, s73, v84
	v_ashrrev_i32_e32 v23, 31, v22
	v_add_u32_e32 v24, s75, v84
	v_lshl_add_u64 v[10:11], v[10:11], 2, v[0:1]
	v_ashrrev_i32_e32 v13, 31, v12
	v_lshl_add_u64 v[14:15], v[14:15], 2, v[0:1]
	v_lshl_add_u64 v[16:17], v[16:17], 2, v[0:1]
	v_ashrrev_i32_e32 v19, 31, v18
	v_ashrrev_i32_e32 v21, 31, v20
	v_lshl_add_u64 v[22:23], v[22:23], 2, v[0:1]
	v_ashrrev_i32_e32 v25, 31, v24
	v_lshl_add_u64 v[12:13], v[12:13], 2, v[0:1]
	v_lshl_add_u64 v[18:19], v[18:19], 2, v[0:1]
	v_lshl_add_u64 v[20:21], v[20:21], 2, v[0:1]
	v_lshl_add_u64 v[24:25], v[24:25], 2, v[0:1]
	global_load_dword v27, v[10:11], off
	global_load_dword v28, v[12:13], off
	;; [unrolled: 1-line block ×6, first 2 shown]
	s_nop 0
	global_load_dword v22, v[22:23], off
	s_nop 0
	global_load_dword v23, v[24:25], off
	v_add_u32_e32 v10, s76, v84
	v_add_u32_e32 v14, s78, v84
	v_add_u32_e32 v16, s79, v84
	v_ashrrev_i32_e32 v11, 31, v10
	v_add_u32_e32 v12, s77, v84
	v_ashrrev_i32_e32 v15, 31, v14
	v_ashrrev_i32_e32 v17, 31, v16
	v_add_u32_e32 v18, s80, v84
	v_add_u32_e32 v20, s81, v84
	v_lshl_add_u64 v[10:11], v[10:11], 2, v[0:1]
	v_ashrrev_i32_e32 v13, 31, v12
	v_lshl_add_u64 v[14:15], v[14:15], 2, v[0:1]
	v_lshl_add_u64 v[16:17], v[16:17], 2, v[0:1]
	v_ashrrev_i32_e32 v19, 31, v18
	v_ashrrev_i32_e32 v21, 31, v20
	v_lshl_add_u64 v[12:13], v[12:13], 2, v[0:1]
	v_lshl_add_u64 v[18:19], v[18:19], 2, v[0:1]
	;; [unrolled: 1-line block ×3, first 2 shown]
	global_load_dword v24, v[10:11], off
	global_load_dword v25, v[12:13], off
	s_nop 0
	global_load_dword v14, v[14:15], off
	s_nop 0
	global_load_dword v15, v[16:17], off
	s_nop 0
	global_load_dword v16, v[18:19], off
	global_load_dword v17, v[20:21], off
	v_add_u32_e32 v10, s82, v84
	v_add_u32_e32 v12, s83, v84
	v_ashrrev_i32_e32 v11, 31, v10
	v_ashrrev_i32_e32 v13, 31, v12
	v_lshl_add_u64 v[10:11], v[10:11], 2, v[0:1]
	v_add_u32_e32 v18, s84, v84
	v_lshl_add_u64 v[12:13], v[12:13], 2, v[0:1]
	global_load_dword v34, v[10:11], off
	global_load_dword v35, v[12:13], off
	v_ashrrev_i32_e32 v19, 31, v18
	v_add_u32_e32 v20, s85, v84
	v_lshl_add_u64 v[18:19], v[18:19], 2, v[0:1]
	v_ashrrev_i32_e32 v21, 31, v20
	v_lshl_add_u64 v[20:21], v[20:21], 2, v[0:1]
	s_andn2_b64 vcc, exec, s[8:9]
	s_waitcnt vmcnt(17)
	ds_write_b32 v86, v6 offset:64
	s_waitcnt vmcnt(16)
	ds_write_b32 v86, v26 offset:328
	s_waitcnt vmcnt(15)
	ds_write_b32 v86, v27 offset:592
	s_waitcnt vmcnt(14)
	ds_write_b32 v86, v28 offset:856
	s_waitcnt vmcnt(13)
	ds_write_b32 v86, v29 offset:1120
	s_waitcnt vmcnt(12)
	ds_write_b32 v86, v30 offset:1384
	s_waitcnt vmcnt(11)
	ds_write_b32 v86, v31 offset:1648
	s_waitcnt vmcnt(10)
	ds_write_b32 v86, v32 offset:1912
	s_waitcnt vmcnt(9)
	ds_write_b32 v86, v22 offset:2176
	s_waitcnt vmcnt(8)
	ds_write_b32 v86, v23 offset:2440
	s_waitcnt vmcnt(7)
	ds_write_b32 v86, v24 offset:2704
	s_waitcnt vmcnt(6)
	ds_write_b32 v86, v25 offset:2968
	s_waitcnt vmcnt(5)
	ds_write_b32 v86, v14 offset:3232
	s_waitcnt vmcnt(4)
	ds_write_b32 v86, v15 offset:3496
	s_waitcnt vmcnt(3)
	ds_write_b32 v86, v16 offset:3760
	s_waitcnt vmcnt(2)
	ds_write_b32 v86, v17 offset:4024
	v_add_u32_e32 v22, s86, v84
	v_add_u32_e32 v24, s87, v84
	;; [unrolled: 1-line block ×6, first 2 shown]
	v_ashrrev_i32_e32 v23, 31, v22
	v_ashrrev_i32_e32 v25, 31, v24
	;; [unrolled: 1-line block ×6, first 2 shown]
	ds_read_b64 v[16:17], v87 offset:64
	ds_read_b64 v[14:15], v87 offset:96
	;; [unrolled: 1-line block ×4, first 2 shown]
	v_lshl_add_u64 v[22:23], v[22:23], 2, v[0:1]
	v_lshl_add_u64 v[24:25], v[24:25], 2, v[0:1]
	v_lshl_add_u64 v[26:27], v[26:27], 2, v[0:1]
	v_lshl_add_u64 v[28:29], v[28:29], 2, v[0:1]
	v_lshl_add_u64 v[30:31], v[30:31], 2, v[0:1]
	v_lshl_add_u64 v[32:33], v[32:33], 2, v[0:1]
	global_load_dword v6, v[18:19], off
	global_load_dword v36, v[20:21], off
	global_load_dword v37, v[22:23], off
	global_load_dword v38, v[24:25], off
	global_load_dword v39, v[26:27], off
	global_load_dword v40, v[28:29], off
	global_load_dword v41, v[30:31], off
	global_load_dword v42, v[32:33], off
	v_add_u32_e32 v18, s92, v84
	v_ashrrev_i32_e32 v19, 31, v18
	v_add_u32_e32 v20, s93, v84
	v_add_u32_e32 v22, s94, v84
	v_add_u32_e32 v24, s95, v84
	v_add_u32_e32 v26, s96, v84
	v_add_u32_e32 v28, s97, v84
	v_add_u32_e32 v30, s98, v84
	v_add_u32_e32 v32, s99, v84
	v_lshl_add_u64 v[18:19], v[18:19], 2, v[0:1]
	v_ashrrev_i32_e32 v21, 31, v20
	v_ashrrev_i32_e32 v23, 31, v22
	v_ashrrev_i32_e32 v25, 31, v24
	v_ashrrev_i32_e32 v27, 31, v26
	v_ashrrev_i32_e32 v29, 31, v28
	v_ashrrev_i32_e32 v31, 31, v30
	v_ashrrev_i32_e32 v33, 31, v32
	v_lshl_add_u64 v[20:21], v[20:21], 2, v[0:1]
	v_lshl_add_u64 v[22:23], v[22:23], 2, v[0:1]
	v_lshl_add_u64 v[24:25], v[24:25], 2, v[0:1]
	v_lshl_add_u64 v[26:27], v[26:27], 2, v[0:1]
	v_lshl_add_u64 v[28:29], v[28:29], 2, v[0:1]
	v_lshl_add_u64 v[30:31], v[30:31], 2, v[0:1]
	v_lshl_add_u64 v[32:33], v[32:33], 2, v[0:1]
	global_load_dword v43, v[18:19], off
	global_load_dword v44, v[20:21], off
	global_load_dword v45, v[22:23], off
	global_load_dword v46, v[24:25], off
	global_load_dword v47, v[26:27], off
	global_load_dword v48, v[28:29], off
	global_load_dword v49, v[30:31], off
	global_load_dword v50, v[32:33], off
	v_add_u32_e32 v18, s50, v84
	v_ashrrev_i32_e32 v19, 31, v18
	v_add_u32_e32 v20, s51, v84
	v_add_u32_e32 v22, s58, v84
	v_add_u32_e32 v24, s5, v84
	v_add_u32_e32 v26, s6, v84
	v_add_u32_e32 v28, s7, v84
	v_add_u32_e32 v30, s55, v84
	v_add_u32_e32 v32, s0, v84
	v_lshl_add_u64 v[18:19], v[18:19], 2, v[0:1]
	v_ashrrev_i32_e32 v21, 31, v20
	v_ashrrev_i32_e32 v23, 31, v22
	v_ashrrev_i32_e32 v25, 31, v24
	v_ashrrev_i32_e32 v27, 31, v26
	v_ashrrev_i32_e32 v29, 31, v28
	v_ashrrev_i32_e32 v31, 31, v30
	v_ashrrev_i32_e32 v33, 31, v32
	v_lshl_add_u64 v[20:21], v[20:21], 2, v[0:1]
	;; [unrolled: 32-line block ×4, first 2 shown]
	v_lshl_add_u64 v[22:23], v[22:23], 2, v[0:1]
	v_lshl_add_u64 v[24:25], v[24:25], 2, v[0:1]
	;; [unrolled: 1-line block ×6, first 2 shown]
	global_load_dword v67, v[18:19], off
	global_load_dword v68, v[20:21], off
	;; [unrolled: 1-line block ×8, first 2 shown]
	v_add_u32_e32 v18, s4, v84
	v_ashrrev_i32_e32 v19, 31, v18
	v_add_u32_e32 v20, s52, v84
	v_add_u32_e32 v22, s59, v84
	;; [unrolled: 1-line block ×5, first 2 shown]
	v_lshl_add_u64 v[18:19], v[18:19], 2, v[0:1]
	v_ashrrev_i32_e32 v21, 31, v20
	v_ashrrev_i32_e32 v23, 31, v22
	;; [unrolled: 1-line block ×5, first 2 shown]
	v_lshl_add_u64 v[20:21], v[20:21], 2, v[0:1]
	v_lshl_add_u64 v[22:23], v[22:23], 2, v[0:1]
	;; [unrolled: 1-line block ×5, first 2 shown]
	global_load_dword v75, v[18:19], off
	global_load_dword v76, v[20:21], off
	;; [unrolled: 1-line block ×6, first 2 shown]
	ds_read_b64 v[24:25], v87 offset:192
	ds_read_b64 v[22:23], v87 offset:224
	ds_read_b64 v[20:21], v87 offset:256
	ds_read_b64 v[18:19], v87 offset:288
	s_waitcnt vmcnt(47)
	ds_write_b32 v86, v34 offset:64
	s_waitcnt vmcnt(46)
	ds_write_b32 v86, v35 offset:328
	s_waitcnt vmcnt(45)
	ds_write_b32 v86, v6 offset:592
	s_waitcnt vmcnt(44)
	ds_write_b32 v86, v36 offset:856
	s_waitcnt vmcnt(43)
	ds_write_b32 v86, v37 offset:1120
	s_waitcnt vmcnt(42)
	ds_write_b32 v86, v38 offset:1384
	s_waitcnt vmcnt(41)
	ds_write_b32 v86, v39 offset:1648
	s_waitcnt vmcnt(40)
	ds_write_b32 v86, v40 offset:1912
	s_waitcnt vmcnt(39)
	ds_write_b32 v86, v41 offset:2176
	s_waitcnt vmcnt(38)
	ds_write_b32 v86, v42 offset:2440
	s_waitcnt vmcnt(37)
	ds_write_b32 v86, v43 offset:2704
	s_waitcnt vmcnt(36)
	ds_write_b32 v86, v44 offset:2968
	s_waitcnt vmcnt(35)
	ds_write_b32 v86, v45 offset:3232
	s_waitcnt vmcnt(34)
	ds_write_b32 v86, v46 offset:3496
	s_waitcnt vmcnt(33)
	ds_write_b32 v86, v47 offset:3760
	s_waitcnt vmcnt(32)
	ds_write_b32 v86, v48 offset:4024
	ds_read_b64 v[42:43], v87 offset:64
	ds_read_b64 v[40:41], v87 offset:96
	ds_read_b64 v[36:37], v87 offset:128
	ds_read_b64 v[34:35], v87 offset:160
	ds_read_b64 v[32:33], v87 offset:192
	ds_read_b64 v[30:31], v87 offset:224
	ds_read_b64 v[28:29], v87 offset:256
	ds_read_b64 v[26:27], v87 offset:288
	s_waitcnt vmcnt(31)
	ds_write_b32 v86, v49 offset:64
	s_waitcnt vmcnt(30)
	ds_write_b32 v86, v50 offset:328
	s_waitcnt vmcnt(29)
	ds_write_b32 v86, v51 offset:592
	s_waitcnt vmcnt(28)
	ds_write_b32 v86, v52 offset:856
	s_waitcnt vmcnt(27)
	ds_write_b32 v86, v53 offset:1120
	s_waitcnt vmcnt(26)
	ds_write_b32 v86, v54 offset:1384
	s_waitcnt vmcnt(25)
	ds_write_b32 v86, v55 offset:1648
	s_waitcnt vmcnt(24)
	ds_write_b32 v86, v56 offset:1912
	s_waitcnt vmcnt(23)
	ds_write_b32 v86, v57 offset:2176
	s_waitcnt vmcnt(22)
	ds_write_b32 v86, v58 offset:2440
	s_waitcnt vmcnt(21)
	ds_write_b32 v86, v59 offset:2704
	s_waitcnt vmcnt(20)
	ds_write_b32 v86, v60 offset:2968
	s_waitcnt vmcnt(19)
	ds_write_b32 v86, v61 offset:3232
	s_waitcnt vmcnt(18)
	ds_write_b32 v86, v62 offset:3496
	s_waitcnt vmcnt(17)
	ds_write_b32 v86, v63 offset:3760
	s_waitcnt vmcnt(16)
	ds_write_b32 v86, v64 offset:4024
	ds_read_b64 v[56:57], v87 offset:64
	ds_read_b64 v[54:55], v87 offset:96
	ds_read_b64 v[52:53], v87 offset:128
	ds_read_b64 v[50:51], v87 offset:160
	ds_read_b64 v[48:49], v87 offset:192
	ds_read_b64 v[46:47], v87 offset:224
	ds_read_b64 v[44:45], v87 offset:256
	ds_read_b64 v[38:39], v87 offset:288
	s_waitcnt vmcnt(15)
	ds_write_b32 v86, v65 offset:64
	s_waitcnt vmcnt(14)
	ds_write_b32 v86, v66 offset:328
	s_waitcnt vmcnt(13)
	ds_write_b32 v86, v67 offset:592
	s_waitcnt vmcnt(12)
	ds_write_b32 v86, v68 offset:856
	s_waitcnt vmcnt(11)
	ds_write_b32 v86, v69 offset:1120
	s_waitcnt vmcnt(10)
	ds_write_b32 v86, v70 offset:1384
	s_waitcnt vmcnt(9)
	ds_write_b32 v86, v71 offset:1648
	s_waitcnt vmcnt(8)
	ds_write_b32 v86, v72 offset:1912
	s_waitcnt vmcnt(7)
	ds_write_b32 v86, v73 offset:2176
	s_waitcnt vmcnt(6)
	ds_write_b32 v86, v74 offset:2440
	s_waitcnt vmcnt(5)
	ds_write_b32 v86, v75 offset:2704
	s_waitcnt vmcnt(4)
	ds_write_b32 v86, v76 offset:2968
	s_waitcnt vmcnt(3)
	ds_write_b32 v86, v77 offset:3232
	s_waitcnt vmcnt(2)
	ds_write_b32 v86, v89 offset:3496
	s_waitcnt vmcnt(1)
	ds_write_b32 v86, v90 offset:3760
	s_waitcnt vmcnt(0)
	ds_write_b32 v86, v91 offset:4024
	ds_read_b64 v[72:73], v87 offset:64
	ds_read_b64 v[70:71], v87 offset:96
	ds_read_b64 v[66:67], v87 offset:128
	ds_read_b64 v[62:63], v87 offset:160
	ds_read_b64 v[68:69], v87 offset:192
	ds_read_b64 v[64:65], v87 offset:224
	;; [unrolled: 1-line block ×4, first 2 shown]
	v_mov_b32_e32 v74, 0
	v_mov_b32_e32 v75, 0
	s_cbranch_vccnz .LBB109_56
; %bb.54:                               ;   in Loop: Header=BB109_53 Depth=1
	ds_read_b32 v6, v85
	v_mov_b32_e32 v75, 0
	v_mov_b32_e32 v74, 0
	s_waitcnt lgkmcnt(0)
	v_cmp_gt_i32_e32 vcc, 0, v6
	s_cbranch_vccnz .LBB109_56
; %bb.55:                               ;   in Loop: Header=BB109_53 Depth=1
	v_mul_lo_u32 v6, v6, s53
	v_add_u32_e32 v74, v88, v6
	v_ashrrev_i32_e32 v75, 31, v74
	v_lshl_add_u64 v[74:75], v[74:75], 2, v[4:5]
	global_load_dwordx2 v[74:75], v[74:75], off
.LBB109_56:                             ;   in Loop: Header=BB109_53 Depth=1
	s_waitcnt vmcnt(0)
	v_cvt_f16_f32_e32 v6, v74
	v_cvt_f16_f32_e32 v74, v75
	s_andn2_b64 vcc, exec, s[10:11]
	v_mov_b32_e32 v76, 0
	v_mov_b32_e32 v77, 0
	v_pack_b32_f16 v6, v6, v74
	v_mov_b32_e32 v74, 0
	ds_write_b32 v86, v6 offset:64
	s_cbranch_vccnz .LBB109_59
; %bb.57:                               ;   in Loop: Header=BB109_53 Depth=1
	ds_read_b32 v6, v85 offset:4
	v_mov_b32_e32 v77, 0
	v_mov_b32_e32 v76, 0
	s_waitcnt lgkmcnt(0)
	v_cmp_gt_i32_e32 vcc, 0, v6
	s_cbranch_vccnz .LBB109_59
; %bb.58:                               ;   in Loop: Header=BB109_53 Depth=1
	v_mul_lo_u32 v6, v6, s53
	v_readlane_b32 vcc_lo, v92, 29
	s_nop 1
	v_add_u32_e32 v6, vcc_lo, v6
	v_add_u32_e32 v76, v6, v88
	v_ashrrev_i32_e32 v77, 31, v76
	v_lshl_add_u64 v[76:77], v[76:77], 2, v[4:5]
	global_load_dwordx2 v[76:77], v[76:77], off
.LBB109_59:                             ;   in Loop: Header=BB109_53 Depth=1
	s_waitcnt vmcnt(0)
	v_cvt_f16_f32_e32 v6, v76
	v_cvt_f16_f32_e32 v75, v77
	s_andn2_b64 vcc, exec, s[12:13]
	v_pack_b32_f16 v6, v6, v75
	v_mov_b32_e32 v75, 0
	ds_write_b32 v86, v6 offset:328
	s_cbranch_vccnz .LBB109_62
; %bb.60:                               ;   in Loop: Header=BB109_53 Depth=1
	ds_read_b32 v6, v85 offset:8
	v_mov_b32_e32 v75, 0
	v_mov_b32_e32 v74, 0
	s_waitcnt lgkmcnt(0)
	v_cmp_gt_i32_e32 vcc, 0, v6
	s_cbranch_vccnz .LBB109_62
; %bb.61:                               ;   in Loop: Header=BB109_53 Depth=1
	v_mul_lo_u32 v6, v6, s53
	v_add_u32_e32 v6, s45, v6
	v_add_u32_e32 v74, v6, v88
	v_ashrrev_i32_e32 v75, 31, v74
	v_lshl_add_u64 v[74:75], v[74:75], 2, v[4:5]
	global_load_dwordx2 v[74:75], v[74:75], off
.LBB109_62:                             ;   in Loop: Header=BB109_53 Depth=1
	s_waitcnt vmcnt(0)
	v_cvt_f16_f32_e32 v6, v74
	v_cvt_f16_f32_e32 v74, v75
	s_andn2_b64 vcc, exec, s[14:15]
	v_mov_b32_e32 v76, 0
	v_mov_b32_e32 v77, 0
	v_pack_b32_f16 v6, v6, v74
	v_mov_b32_e32 v74, 0
	ds_write_b32 v86, v6 offset:592
	s_cbranch_vccnz .LBB109_65
; %bb.63:                               ;   in Loop: Header=BB109_53 Depth=1
	ds_read_b32 v6, v85 offset:12
	v_mov_b32_e32 v77, 0
	v_mov_b32_e32 v76, 0
	s_waitcnt lgkmcnt(0)
	v_cmp_gt_i32_e32 vcc, 0, v6
	s_cbranch_vccnz .LBB109_65
; %bb.64:                               ;   in Loop: Header=BB109_53 Depth=1
	v_mul_lo_u32 v6, v6, s53
	v_readlane_b32 vcc_lo, v92, 19
	s_nop 1
	v_add_u32_e32 v6, vcc_lo, v6
	v_add_u32_e32 v76, v6, v88
	v_ashrrev_i32_e32 v77, 31, v76
	v_lshl_add_u64 v[76:77], v[76:77], 2, v[4:5]
	global_load_dwordx2 v[76:77], v[76:77], off
.LBB109_65:                             ;   in Loop: Header=BB109_53 Depth=1
	s_waitcnt vmcnt(0)
	v_cvt_f16_f32_e32 v6, v76
	v_cvt_f16_f32_e32 v75, v77
	s_andn2_b64 vcc, exec, s[16:17]
	v_pack_b32_f16 v6, v6, v75
	v_mov_b32_e32 v75, 0
	ds_write_b32 v86, v6 offset:856
	s_cbranch_vccnz .LBB109_68
; %bb.66:                               ;   in Loop: Header=BB109_53 Depth=1
	ds_read_b32 v6, v85 offset:16
	v_mov_b32_e32 v75, 0
	v_mov_b32_e32 v74, 0
	s_waitcnt lgkmcnt(0)
	v_cmp_gt_i32_e32 vcc, 0, v6
	s_cbranch_vccnz .LBB109_68
; %bb.67:                               ;   in Loop: Header=BB109_53 Depth=1
	v_mul_lo_u32 v6, v6, s53
	v_readlane_b32 vcc_lo, v92, 18
	s_nop 1
	v_add_u32_e32 v6, vcc_lo, v6
	v_add_u32_e32 v74, v6, v88
	v_ashrrev_i32_e32 v75, 31, v74
	v_lshl_add_u64 v[74:75], v[74:75], 2, v[4:5]
	global_load_dwordx2 v[74:75], v[74:75], off
.LBB109_68:                             ;   in Loop: Header=BB109_53 Depth=1
	s_waitcnt vmcnt(0)
	v_cvt_f16_f32_e32 v6, v74
	v_cvt_f16_f32_e32 v74, v75
	s_andn2_b64 vcc, exec, s[18:19]
	v_mov_b32_e32 v76, 0
	v_mov_b32_e32 v77, 0
	v_pack_b32_f16 v6, v6, v74
	v_mov_b32_e32 v74, 0
	ds_write_b32 v86, v6 offset:1120
	s_cbranch_vccnz .LBB109_71
; %bb.69:                               ;   in Loop: Header=BB109_53 Depth=1
	ds_read_b32 v6, v85 offset:20
	v_mov_b32_e32 v77, 0
	v_mov_b32_e32 v76, 0
	s_waitcnt lgkmcnt(0)
	v_cmp_gt_i32_e32 vcc, 0, v6
	s_cbranch_vccnz .LBB109_71
; %bb.70:                               ;   in Loop: Header=BB109_53 Depth=1
	v_mul_lo_u32 v6, v6, s53
	v_readlane_b32 vcc_lo, v92, 21
	s_nop 1
	v_add_u32_e32 v6, vcc_lo, v6
	v_add_u32_e32 v76, v6, v88
	v_ashrrev_i32_e32 v77, 31, v76
	v_lshl_add_u64 v[76:77], v[76:77], 2, v[4:5]
	global_load_dwordx2 v[76:77], v[76:77], off
.LBB109_71:                             ;   in Loop: Header=BB109_53 Depth=1
	s_waitcnt vmcnt(0)
	v_cvt_f16_f32_e32 v6, v76
	v_cvt_f16_f32_e32 v75, v77
	s_andn2_b64 vcc, exec, s[20:21]
	v_pack_b32_f16 v6, v6, v75
	v_mov_b32_e32 v75, 0
	ds_write_b32 v86, v6 offset:1384
	s_cbranch_vccnz .LBB109_74
; %bb.72:                               ;   in Loop: Header=BB109_53 Depth=1
	ds_read_b32 v6, v85 offset:24
	v_mov_b32_e32 v75, 0
	v_mov_b32_e32 v74, 0
	s_waitcnt lgkmcnt(0)
	v_cmp_gt_i32_e32 vcc, 0, v6
	s_cbranch_vccnz .LBB109_74
; %bb.73:                               ;   in Loop: Header=BB109_53 Depth=1
	v_mul_lo_u32 v6, v6, s53
	v_readlane_b32 vcc_lo, v92, 22
	s_nop 1
	v_add_u32_e32 v6, vcc_lo, v6
	v_add_u32_e32 v74, v6, v88
	v_ashrrev_i32_e32 v75, 31, v74
	v_lshl_add_u64 v[74:75], v[74:75], 2, v[4:5]
	global_load_dwordx2 v[74:75], v[74:75], off
.LBB109_74:                             ;   in Loop: Header=BB109_53 Depth=1
	;; [unrolled: 52-line block ×5, first 2 shown]
	s_waitcnt vmcnt(0)
	v_cvt_f16_f32_e32 v6, v74
	v_cvt_f16_f32_e32 v74, v75
	s_andn2_b64 vcc, exec, s[36:37]
	v_mov_b32_e32 v75, 0
	v_pack_b32_f16 v6, v6, v74
	v_mov_b32_e32 v74, 0
	ds_write_b32 v86, v6 offset:3232
	s_cbranch_vccnz .LBB109_52
; %bb.93:                               ;   in Loop: Header=BB109_53 Depth=1
	ds_read_b32 v6, v85 offset:52
	v_mov_b32_e32 v75, 0
	v_mov_b32_e32 v74, 0
	s_waitcnt lgkmcnt(0)
	v_cmp_gt_i32_e32 vcc, 0, v6
	s_cbranch_vccnz .LBB109_52
; %bb.94:                               ;   in Loop: Header=BB109_53 Depth=1
	v_mul_lo_u32 v6, v6, s53
	v_readlane_b32 vcc_lo, v92, 23
	s_nop 1
	v_add_u32_e32 v6, vcc_lo, v6
	v_add_u32_e32 v74, v6, v88
	v_ashrrev_i32_e32 v75, 31, v74
	v_lshl_add_u64 v[74:75], v[74:75], 2, v[4:5]
	global_load_dwordx2 v[74:75], v[74:75], off
	s_branch .LBB109_52
.LBB109_95:
	s_or_b64 exec, exec, s[46:47]
	v_readlane_b32 s24, v92, 10
	v_readlane_b32 s28, v92, 14
	;; [unrolled: 1-line block ×8, first 2 shown]
.LBB109_96:
	v_readlane_b32 s0, v92, 8
	v_readlane_b32 s1, v92, 9
	s_or_b64 exec, exec, s[0:1]
	v_mul_u32_u24_e32 v0, 0x408, v83
	s_movk_i32 s1, 0x100
	v_lshlrev_b32_e32 v1, 2, v82
	v_add3_u32 v0, s1, v0, v1
	v_and_b32_e32 v4, 0x3f0, v2
	v_add_u32_e32 v5, v0, v4
	s_waitcnt lgkmcnt(0)
	s_barrier
	ds_write2_b32 v5, a12, a13 offset0:16 offset1:17
	v_or_b32_e32 v5, 12, v2
	v_add_u32_e32 v1, 64, v0
	v_and_b32_e32 v5, 0x3fc, v5
	v_add_u32_e32 v4, v1, v4
	v_add_u32_e32 v0, v0, v5
	ds_write_b32 v4, a14 offset:8
	ds_write_b32 v0, a15 offset:64
	ds_write2_b32 v4, a8, a9 offset0:16 offset1:17
	ds_write_b32 v4, a10 offset:72
	v_add_u32_e32 v0, v1, v5
	ds_write_b32 v0, a11 offset:64
	ds_write2_b32 v4, a4, a5 offset0:32 offset1:33
	ds_write_b32 v4, a6 offset:136
	ds_write_b32 v0, a7 offset:128
	ds_write2_b32 v4, a0, a1 offset0:48 offset1:49
	ds_write_b32 v4, a2 offset:200
	ds_write_b32 v0, a3 offset:192
	v_mov_b32_e32 v0, 0x100
	s_movk_i32 s0, 0x408
	v_lshl_add_u32 v9, v2, 2, v0
	v_mad_u32_u24 v1, v78, s0, v9
	s_waitcnt lgkmcnt(0)
	s_barrier
	ds_read2_b32 v[6:7], v1 offset0:16 offset1:80
	ds_read2_b32 v[4:5], v1 offset0:144 offset1:208
	v_cmp_gt_u32_e32 vcc, 14, v78
	v_mov_b32_e32 v10, -1
	s_and_saveexec_b64 s[0:1], vcc
	s_cbranch_execz .LBB109_98
; %bb.97:
	v_lshl_add_u32 v0, v78, 2, v0
	ds_read_b32 v10, v0
.LBB109_98:
	s_or_b64 exec, exec, s[0:1]
	s_mul_hi_i32 s1, s30, s4
	s_mul_i32 s0, s30, s4
	s_lshl_b64 s[0:1], s[0:1], 2
	v_readlane_b32 s2, v92, 6
	v_mul_hi_i32 v1, v3, s49
	v_mul_lo_u32 v0, v3, s49
	v_readlane_b32 s3, v92, 7
	s_add_u32 s0, s2, s0
	s_addc_u32 s1, s3, s1
	v_lshlrev_b64 v[0:1], 2, v[0:1]
	s_waitcnt lgkmcnt(0)
	v_cmp_lt_i32_e32 vcc, -1, v10
	v_mul_u32_u24_e32 v11, 0x408, v78
	v_add_u32_e32 v8, s12, v2
	v_lshl_add_u64 v[0:1], s[0:1], 0, v[0:1]
	s_and_b64 s[2:3], vcc, s[24:25]
	s_and_saveexec_b64 s[0:1], s[2:3]
	s_cbranch_execz .LBB109_100
; %bb.99:
	v_add_f32_e32 v2, 0, v6
	v_add_f32_e32 v2, v2, v7
	;; [unrolled: 1-line block ×4, first 2 shown]
	v_mul_lo_u32 v2, v10, s54
	v_mul_lo_u32 v3, v78, s49
	v_add3_u32 v2, v8, v3, v2
	v_mov_b32_e32 v3, 0
	v_lshl_add_u64 v[2:3], v[2:3], 2, v[0:1]
	global_store_dword v[2:3], v4, off
.LBB109_100:
	s_or_b64 exec, exec, s[0:1]
	v_add_u32_e32 v6, v11, v9
	v_add_u32_e32 v2, 0x60, v6
	ds_read2st64_b32 v[4:5], v2 offset0:16 offset1:17
	ds_read2st64_b32 v[2:3], v2 offset0:18 offset1:19
	v_cmp_gt_u32_e32 vcc, 10, v78
	v_mov_b32_e32 v7, -1
	s_and_saveexec_b64 s[0:1], vcc
	s_cbranch_execz .LBB109_102
; %bb.101:
	v_mov_b32_e32 v7, 0x100
	v_lshl_add_u32 v7, v78, 2, v7
	ds_read_b32 v7, v7 offset:16
.LBB109_102:
	s_or_b64 exec, exec, s[0:1]
	v_readlane_b32 s0, v92, 0
	s_waitcnt lgkmcnt(0)
	v_cmp_lt_i32_e32 vcc, -1, v7
	v_readlane_b32 s1, v92, 1
	s_and_b64 s[2:3], vcc, s[0:1]
	s_and_saveexec_b64 s[0:1], s[2:3]
	s_cbranch_execz .LBB109_104
; %bb.103:
	v_add_f32_e32 v4, 0, v4
	v_add_f32_e32 v4, v4, v5
	;; [unrolled: 1-line block ×4, first 2 shown]
	v_mul_lo_u32 v2, v7, s54
	v_mul_lo_u32 v3, v79, s49
	v_add3_u32 v2, v8, v3, v2
	v_mov_b32_e32 v3, 0
	v_lshl_add_u64 v[2:3], v[2:3], 2, v[0:1]
	global_store_dword v[2:3], v4, off
.LBB109_104:
	s_or_b64 exec, exec, s[0:1]
	v_add_u32_e32 v2, 0x80, v6
	ds_read2st64_b32 v[4:5], v2 offset0:32 offset1:33
	ds_read2st64_b32 v[2:3], v2 offset0:34 offset1:35
	v_cmp_gt_u32_e32 vcc, 6, v78
	v_mov_b32_e32 v7, -1
	s_and_saveexec_b64 s[0:1], vcc
	s_cbranch_execz .LBB109_106
; %bb.105:
	v_mov_b32_e32 v7, 0x100
	v_lshl_add_u32 v7, v78, 2, v7
	ds_read_b32 v7, v7 offset:32
.LBB109_106:
	s_or_b64 exec, exec, s[0:1]
	v_readlane_b32 s0, v92, 2
	s_waitcnt lgkmcnt(0)
	v_cmp_lt_i32_e32 vcc, -1, v7
	v_readlane_b32 s1, v92, 3
	s_and_b64 s[2:3], vcc, s[0:1]
	s_and_saveexec_b64 s[0:1], s[2:3]
	s_cbranch_execz .LBB109_108
; %bb.107:
	v_add_f32_e32 v4, 0, v4
	v_add_f32_e32 v4, v4, v5
	;; [unrolled: 1-line block ×4, first 2 shown]
	v_mul_lo_u32 v2, v7, s54
	v_mul_lo_u32 v3, v80, s49
	v_add3_u32 v2, v8, v3, v2
	v_mov_b32_e32 v3, 0
	v_lshl_add_u64 v[2:3], v[2:3], 2, v[0:1]
	global_store_dword v[2:3], v4, off
.LBB109_108:
	s_or_b64 exec, exec, s[0:1]
	v_cmp_gt_u32_e32 vcc, 2, v78
	s_and_saveexec_b64 s[0:1], vcc
	s_cbranch_execz .LBB109_111
; %bb.109:
	v_mov_b32_e32 v2, 0x100
	v_lshl_add_u32 v2, v78, 2, v2
	ds_read_b32 v2, v2 offset:48
	v_readlane_b32 s0, v92, 4
	v_readlane_b32 s1, v92, 5
	s_waitcnt lgkmcnt(0)
	v_cmp_lt_i32_e32 vcc, -1, v2
	s_and_b64 s[0:1], vcc, s[0:1]
	s_and_b64 exec, exec, s[0:1]
	s_cbranch_execz .LBB109_111
; %bb.110:
	v_add_u32_e32 v3, 0xa0, v6
	ds_read2st64_b32 v[4:5], v3 offset0:48 offset1:49
	v_mul_lo_u32 v6, v2, s54
	ds_read2st64_b32 v[2:3], v3 offset0:50 offset1:51
	v_mul_lo_u32 v7, v81, s49
	v_add3_u32 v6, v8, v7, v6
	s_waitcnt lgkmcnt(1)
	v_add_f32_e32 v4, 0, v4
	v_add_f32_e32 v4, v4, v5
	s_waitcnt lgkmcnt(0)
	v_add_f32_e32 v2, v4, v2
	v_mov_b32_e32 v7, 0
	v_add_f32_e32 v2, v2, v3
	v_lshl_add_u64 v[0:1], v[6:7], 2, v[0:1]
	global_store_dword v[0:1], v2, off
.LBB109_111:
	s_endpgm
	.section	.rodata,"a",@progbits
	.p2align	6, 0x0
	.amdhsa_kernel _ZL9mul_mat_fI7__half2Li64ELi14ELi4ELb1EEvPKT_PKfPKiPfiiiiiiiiiiiiiiii
		.amdhsa_group_segment_fixed_size 256
		.amdhsa_private_segment_fixed_size 0
		.amdhsa_kernarg_size 352
		.amdhsa_user_sgpr_count 2
		.amdhsa_user_sgpr_dispatch_ptr 0
		.amdhsa_user_sgpr_queue_ptr 0
		.amdhsa_user_sgpr_kernarg_segment_ptr 1
		.amdhsa_user_sgpr_dispatch_id 0
		.amdhsa_user_sgpr_kernarg_preload_length 0
		.amdhsa_user_sgpr_kernarg_preload_offset 0
		.amdhsa_user_sgpr_private_segment_size 0
		.amdhsa_uses_dynamic_stack 0
		.amdhsa_enable_private_segment 0
		.amdhsa_system_sgpr_workgroup_id_x 1
		.amdhsa_system_sgpr_workgroup_id_y 1
		.amdhsa_system_sgpr_workgroup_id_z 1
		.amdhsa_system_sgpr_workgroup_info 0
		.amdhsa_system_vgpr_workitem_id 2
		.amdhsa_next_free_vgpr 112
		.amdhsa_next_free_sgpr 100
		.amdhsa_accum_offset 96
		.amdhsa_reserve_vcc 1
		.amdhsa_float_round_mode_32 0
		.amdhsa_float_round_mode_16_64 0
		.amdhsa_float_denorm_mode_32 3
		.amdhsa_float_denorm_mode_16_64 3
		.amdhsa_dx10_clamp 1
		.amdhsa_ieee_mode 1
		.amdhsa_fp16_overflow 0
		.amdhsa_tg_split 0
		.amdhsa_exception_fp_ieee_invalid_op 0
		.amdhsa_exception_fp_denorm_src 0
		.amdhsa_exception_fp_ieee_div_zero 0
		.amdhsa_exception_fp_ieee_overflow 0
		.amdhsa_exception_fp_ieee_underflow 0
		.amdhsa_exception_fp_ieee_inexact 0
		.amdhsa_exception_int_div_zero 0
	.end_amdhsa_kernel
	.section	.text._ZL9mul_mat_fI7__half2Li64ELi14ELi4ELb1EEvPKT_PKfPKiPfiiiiiiiiiiiiiiii,"axG",@progbits,_ZL9mul_mat_fI7__half2Li64ELi14ELi4ELb1EEvPKT_PKfPKiPfiiiiiiiiiiiiiiii,comdat
.Lfunc_end109:
	.size	_ZL9mul_mat_fI7__half2Li64ELi14ELi4ELb1EEvPKT_PKfPKiPfiiiiiiiiiiiiiiii, .Lfunc_end109-_ZL9mul_mat_fI7__half2Li64ELi14ELi4ELb1EEvPKT_PKfPKiPfiiiiiiiiiiiiiiii
                                        ; -- End function
	.section	.AMDGPU.csdata,"",@progbits
; Kernel info:
; codeLenInByte = 8876
; NumSgprs: 106
; NumVgprs: 93
; NumAgprs: 16
; TotalNumVgprs: 112
; ScratchSize: 0
; MemoryBound: 0
; FloatMode: 240
; IeeeMode: 1
; LDSByteSize: 256 bytes/workgroup (compile time only)
; SGPRBlocks: 13
; VGPRBlocks: 13
; NumSGPRsForWavesPerEU: 106
; NumVGPRsForWavesPerEU: 112
; AccumOffset: 96
; Occupancy: 4
; WaveLimiterHint : 0
; COMPUTE_PGM_RSRC2:SCRATCH_EN: 0
; COMPUTE_PGM_RSRC2:USER_SGPR: 2
; COMPUTE_PGM_RSRC2:TRAP_HANDLER: 0
; COMPUTE_PGM_RSRC2:TGID_X_EN: 1
; COMPUTE_PGM_RSRC2:TGID_Y_EN: 1
; COMPUTE_PGM_RSRC2:TGID_Z_EN: 1
; COMPUTE_PGM_RSRC2:TIDIG_COMP_CNT: 2
; COMPUTE_PGM_RSRC3_GFX90A:ACCUM_OFFSET: 23
; COMPUTE_PGM_RSRC3_GFX90A:TG_SPLIT: 0
	.section	.text._ZL9mul_mat_fI7__half2Li64ELi14ELi4ELb0EEvPKT_PKfPKiPfiiiiiiiiiiiiiiii,"axG",@progbits,_ZL9mul_mat_fI7__half2Li64ELi14ELi4ELb0EEvPKT_PKfPKiPfiiiiiiiiiiiiiiii,comdat
	.globl	_ZL9mul_mat_fI7__half2Li64ELi14ELi4ELb0EEvPKT_PKfPKiPfiiiiiiiiiiiiiiii ; -- Begin function _ZL9mul_mat_fI7__half2Li64ELi14ELi4ELb0EEvPKT_PKfPKiPfiiiiiiiiiiiiiiii
	.p2align	8
	.type	_ZL9mul_mat_fI7__half2Li64ELi14ELi4ELb0EEvPKT_PKfPKiPfiiiiiiiiiiiiiiii,@function
_ZL9mul_mat_fI7__half2Li64ELi14ELi4ELb0EEvPKT_PKfPKiPfiiiiiiiiiiiiiiii: ; @_ZL9mul_mat_fI7__half2Li64ELi14ELi4ELb0EEvPKT_PKfPKiPfiiiiiiiiiiiiiiii
; %bb.0:
	s_load_dword s5, s[0:1], 0x20
	s_load_dwordx4 s[16:19], s[0:1], 0x2c
	v_bfe_u32 v82, v0, 10, 10
	v_lshlrev_b32_e32 v84, 6, v82
	v_and_b32_e32 v83, 0x3ff, v0
	v_add_u32_e32 v86, v84, v83
	s_mov_b32 s20, 0
	s_waitcnt lgkmcnt(0)
	s_ashr_i32 s19, s4, 31
	v_cmp_le_i32_e32 vcc, s5, v86
	v_and_b32_e32 v85, 15, v83
	s_and_saveexec_b64 s[6:7], vcc
	s_xor_b64 s[6:7], exec, s[6:7]
; %bb.1:
	v_and_b32_e32 v85, 15, v83
                                        ; implicit-def: $vgpr86
; %bb.2:
	s_or_saveexec_b64 s[24:25], s[6:7]
	s_load_dwordx8 s[8:15], s[0:1], 0x40
	s_load_dwordx2 s[6:7], s[0:1], 0x18
	s_lshl_b32 s2, s2, 6
	v_accvgpr_write_b32 a0, s20
	v_accvgpr_write_b32 a1, s20
	;; [unrolled: 1-line block ×16, first 2 shown]
	s_xor_b64 exec, exec, s[24:25]
	s_cbranch_execz .LBB110_6
; %bb.3:
	s_waitcnt lgkmcnt(0)
	s_abs_i32 s26, s8
	v_cvt_f32_u32_e32 v0, s26
	s_abs_i32 s27, s12
	v_cvt_f32_u32_e32 v1, s27
	s_sub_i32 s20, 0, s26
	v_rcp_iflag_f32_e32 v0, v0
	s_abs_i32 s28, s3
	v_rcp_iflag_f32_e32 v1, v1
	s_sub_i32 s21, 0, s27
	v_mul_f32_e32 v0, 0x4f7ffffe, v0
	v_cvt_u32_f32_e32 v0, v0
	v_mul_f32_e32 v1, 0x4f7ffffe, v1
	v_cvt_u32_f32_e32 v1, v1
	s_abs_i32 s29, s4
	v_mul_lo_u32 v2, s20, v0
	v_mul_hi_u32 v2, v0, v2
	v_add_u32_e32 v0, v0, v2
	v_mul_hi_u32 v0, s28, v0
	v_mul_lo_u32 v3, s21, v1
	v_mul_lo_u32 v2, v0, s26
	v_mul_hi_u32 v3, v1, v3
	v_sub_u32_e32 v2, s28, v2
	v_add_u32_e32 v1, v1, v3
	v_add_u32_e32 v3, 1, v0
	v_subrev_u32_e32 v4, s26, v2
	v_cmp_le_u32_e32 vcc, s26, v2
	s_load_dwordx4 s[20:23], s[0:1], 0x0
	s_ashr_i32 s0, s3, 31
	v_cndmask_b32_e32 v0, v0, v3, vcc
	v_cndmask_b32_e32 v2, v2, v4, vcc
	s_ashr_i32 s1, s8, 31
	v_add_u32_e32 v3, 1, v0
	v_cmp_le_u32_e32 vcc, s26, v2
	s_xor_b32 s0, s0, s1
	v_mul_hi_u32 v1, s29, v1
	v_cndmask_b32_e32 v0, v0, v3, vcc
	v_xor_b32_e32 v0, s0, v0
	v_subrev_u32_e32 v2, s0, v0
	v_mul_lo_u32 v0, v1, s27
	v_sub_u32_e32 v0, s29, v0
	v_add_u32_e32 v3, 1, v1
	v_subrev_u32_e32 v4, s27, v0
	v_cmp_le_u32_e32 vcc, s27, v0
	s_ashr_i32 s8, s12, 31
	s_xor_b32 s0, s19, s8
	v_cndmask_b32_e32 v1, v1, v3, vcc
	v_cndmask_b32_e32 v0, v0, v4, vcc
	v_add_u32_e32 v3, 1, v1
	v_cmp_le_u32_e32 vcc, s27, v0
	v_mul_lo_u32 v2, v2, s9
	s_mul_hi_i32 s9, s14, s4
	v_cndmask_b32_e32 v0, v1, v3, vcc
	v_xor_b32_e32 v0, s0, v0
	v_subrev_u32_e32 v0, s0, v0
	s_mul_i32 s0, s2, s16
	v_ashrrev_i32_e32 v3, 31, v2
	s_mul_i32 s8, s14, s4
	s_mul_i32 s12, s3, s10
	s_ashr_i32 s1, s0, 31
	v_mul_hi_i32 v1, v0, s13
	v_mul_lo_u32 v0, v0, s13
	s_lshl_b64 s[0:1], s[0:1], 2
	v_lshlrev_b64 v[2:3], 2, v[2:3]
	s_ashr_i32 s13, s12, 31
	s_lshl_b64 s[26:27], s[8:9], 2
	s_movk_i32 s8, 0x1080
	v_lshrrev_b32_e32 v9, 1, v83
	v_lshlrev_b64 v[4:5], 2, v[0:1]
	v_lshl_add_u64 v[6:7], v[2:3], 0, s[0:1]
	s_lshl_b64 s[0:1], s[12:13], 2
	v_mad_u32_u24 v2, v82, s8, 0
	v_lshlrev_b32_e32 v8, 2, v83
	v_mul_u32_u24_e32 v3, 0x108, v85
	v_and_b32_e32 v9, 0x1f8, v9
	s_waitcnt lgkmcnt(0)
	v_lshl_add_u64 v[0:1], s[20:21], 0, v[4:5]
	s_add_u32 s22, s22, s0
	v_add_u32_e32 v87, v2, v8
	v_add3_u32 v88, v2, v3, v9
	v_lshlrev_b32_e32 v2, 8, v82
	v_mov_b32_e32 v3, 0
	v_lshl_add_u64 v[4:5], v[6:7], 0, v[4:5]
	s_addc_u32 s23, s23, s1
	v_lshl_add_u64 v[4:5], v[4:5], 0, v[2:3]
	v_lshlrev_b32_e32 v2, 9, v82
	v_lshl_add_u64 v[0:1], v[6:7], 0, v[0:1]
	s_add_u32 s0, s22, s26
	v_mov_b32_e32 v9, v3
	v_lshl_add_u64 v[6:7], s[26:27], 0, v[2:3]
	v_lshlrev_b32_e32 v2, 3, v83
	s_addc_u32 s1, s23, s27
	s_ashr_i32 s9, s16, 31
	s_mov_b32 s8, s16
	s_ashr_i32 s13, s17, 31
	s_mov_b32 s12, s17
	v_lshl_add_u64 v[4:5], v[4:5], 0, v[8:9]
	v_lshl_add_u64 v[6:7], v[6:7], 0, v[2:3]
	s_lshl_b64 s[8:9], s[8:9], 2
	v_lshl_add_u64 v[4:5], s[20:21], 0, v[4:5]
	s_lshl_b64 s[12:13], s[12:13], 3
	v_lshl_add_u64 v[6:7], s[22:23], 0, v[6:7]
	s_mul_i32 s10, s16, 63
	s_lshl_b32 s14, s17, 1
	s_mul_i32 s19, s17, 3
	s_lshl_b32 s26, s17, 2
	s_mul_i32 s27, s17, 5
	s_mul_i32 s28, s17, 6
	;; [unrolled: 1-line block ×3, first 2 shown]
	s_lshl_b32 s30, s17, 3
	s_mul_i32 s31, s17, 9
	s_mul_i32 s33, s17, 10
	;; [unrolled: 1-line block ×5, first 2 shown]
	s_lshl_b32 s37, s16, 1
	s_mul_i32 s38, s16, 3
	s_lshl_b32 s39, s16, 2
	s_mul_i32 s40, s16, 5
	s_mul_i32 s41, s16, 6
	s_mul_i32 s42, s16, 7
	s_lshl_b32 s43, s16, 3
	s_mul_i32 s44, s16, 9
	s_mul_i32 s45, s16, 10
	s_mul_i32 s46, s16, 11
	s_mul_i32 s47, s16, 12
	s_mul_i32 s48, s16, 13
	s_mul_i32 s49, s16, 14
	s_mul_i32 s50, s16, 15
	s_lshl_b32 s51, s16, 4
	s_mul_i32 s52, s16, 17
	s_mul_i32 s53, s16, 18
	;; [unrolled: 1-line block ×15, first 2 shown]
	s_lshl_b32 s67, s16, 5
	s_mul_i32 s68, s16, 33
	s_mul_i32 s69, s16, 34
	;; [unrolled: 1-line block ×11, first 2 shown]
	v_accvgpr_write_b32 a15, 0
	v_accvgpr_write_b32 a14, 0
	;; [unrolled: 1-line block ×16, first 2 shown]
	s_mul_i32 s79, s16, 44
	s_mul_i32 s80, s16, 45
	;; [unrolled: 1-line block ×19, first 2 shown]
	s_mov_b64 s[16:17], 0
	s_mov_b64 s[20:21], 0x400
	;; [unrolled: 1-line block ×3, first 2 shown]
.LBB110_4:                              ; =>This Inner Loop Header: Depth=1
	v_add_u32_e32 v80, s37, v86
	v_add_u32_e32 v32, s38, v86
	v_add_u32_e32 v78, s39, v86
	v_add_u32_e32 v42, s40, v86
	v_add_u32_e32 v76, s41, v86
	v_add_u32_e32 v44, s42, v86
	v_add_u32_e32 v74, s43, v86
	v_add_u32_e32 v56, s44, v86
	v_add_u32_e32 v72, s45, v86
	v_add_u32_e32 v52, s46, v86
	v_add_u32_e32 v70, s47, v86
	v_add_u32_e32 v64, s48, v86
	v_add_u32_e32 v60, s50, v86
	v_add_u32_e32 v66, s51, v86
	v_lshl_add_u64 v[30:31], v[4:5], 0, s[8:9]
	v_add_u32_e32 v68, s49, v86
	v_add_u32_e32 v58, s52, v86
	;; [unrolled: 1-line block ×9, first 2 shown]
	v_ashrrev_i32_e32 v81, 31, v80
	v_ashrrev_i32_e32 v33, 31, v32
	v_ashrrev_i32_e32 v79, 31, v78
	v_ashrrev_i32_e32 v43, 31, v42
	v_ashrrev_i32_e32 v77, 31, v76
	v_ashrrev_i32_e32 v45, 31, v44
	v_ashrrev_i32_e32 v75, 31, v74
	v_ashrrev_i32_e32 v57, 31, v56
	v_ashrrev_i32_e32 v73, 31, v72
	v_ashrrev_i32_e32 v53, 31, v52
	v_ashrrev_i32_e32 v71, 31, v70
	v_ashrrev_i32_e32 v65, 31, v64
	v_ashrrev_i32_e32 v61, 31, v60
	v_ashrrev_i32_e32 v67, 31, v66
	v_add_u32_e32 v48, s57, v86
	v_add_u32_e32 v40, s59, v86
	;; [unrolled: 1-line block ×7, first 2 shown]
	global_load_dword v93, v[30:31], off
	v_lshl_add_u64 v[30:31], v[80:81], 2, v[0:1]
	v_lshl_add_u64 v[32:33], v[32:33], 2, v[0:1]
	;; [unrolled: 1-line block ×11, first 2 shown]
	v_ashrrev_i32_e32 v69, 31, v68
	v_lshl_add_u64 v[64:65], v[64:65], 2, v[0:1]
	v_lshl_add_u64 v[60:61], v[60:61], 2, v[0:1]
	;; [unrolled: 1-line block ×3, first 2 shown]
	v_ashrrev_i32_e32 v59, 31, v58
	v_ashrrev_i32_e32 v63, 31, v62
	;; [unrolled: 1-line block ×8, first 2 shown]
	v_add_u32_e32 v18, s65, v86
	v_add_u32_e32 v10, s68, v86
	;; [unrolled: 1-line block ×3, first 2 shown]
	global_load_dword v80, v[30:31], off
	global_load_dword v91, v[32:33], off
	s_nop 0
	global_load_dword v78, v[78:79], off
	s_nop 0
	;; [unrolled: 2-line block ×6, first 2 shown]
	global_load_dword v90, v[56:57], off
	global_load_dword v77, v[72:73], off
	;; [unrolled: 1-line block ×4, first 2 shown]
	v_lshl_add_u64 v[68:69], v[68:69], 2, v[0:1]
	global_load_dword v89, v[64:65], off
	global_load_dword v70, v[68:69], off
	;; [unrolled: 1-line block ×4, first 2 shown]
	v_lshl_add_u64 v[58:59], v[58:59], 2, v[0:1]
	v_lshl_add_u64 v[66:67], v[62:63], 2, v[0:1]
	;; [unrolled: 1-line block ×4, first 2 shown]
	v_ashrrev_i32_e32 v49, 31, v48
	v_lshl_add_u64 v[46:47], v[46:47], 2, v[0:1]
	v_ashrrev_i32_e32 v41, 31, v40
	v_lshl_add_u64 v[38:39], v[38:39], 2, v[0:1]
	v_lshl_add_u64 v[34:35], v[34:35], 2, v[0:1]
	;; [unrolled: 1-line block ×3, first 2 shown]
	v_ashrrev_i32_e32 v25, 31, v24
	v_ashrrev_i32_e32 v29, 31, v28
	;; [unrolled: 1-line block ×5, first 2 shown]
	v_add_u32_e32 v12, s70, v86
	v_add_u32_e32 v26, s71, v86
	global_load_dword v62, v[58:59], off
	global_load_dword v63, v[66:67], off
	s_nop 0
	global_load_dword v66, v[50:51], off
	global_load_dword v67, v[54:55], off
	v_lshl_add_u64 v[54:55], v[48:49], 2, v[0:1]
	global_load_dword v48, v[46:47], off
	global_load_dword v49, v[54:55], off
	v_lshl_add_u64 v[40:41], v[40:41], 2, v[0:1]
	global_load_dword v68, v[38:39], off
	global_load_dword v69, v[40:41], off
	global_load_dword v71, v[34:35], off
	global_load_dword v72, v[36:37], off
	v_lshl_add_u64 v[24:25], v[24:25], 2, v[0:1]
	v_lshl_add_u64 v[36:37], v[28:29], 2, v[0:1]
	v_ashrrev_i32_e32 v19, 31, v18
	v_lshl_add_u64 v[14:15], v[14:15], 2, v[0:1]
	v_lshl_add_u64 v[8:9], v[8:9], 2, v[0:1]
	;; [unrolled: 1-line block ×3, first 2 shown]
	v_ashrrev_i32_e32 v11, 31, v10
	v_ashrrev_i32_e32 v23, 31, v22
	v_add_u32_e32 v16, s72, v86
	v_add_u32_e32 v30, s73, v86
	global_load_dword v28, v[24:25], off
	global_load_dword v29, v[36:37], off
	v_lshl_add_u64 v[36:37], v[18:19], 2, v[0:1]
	global_load_dword v18, v[14:15], off
	global_load_dword v19, v[36:37], off
	;; [unrolled: 1-line block ×4, first 2 shown]
	v_lshl_add_u64 v[10:11], v[10:11], 2, v[0:1]
	v_lshl_add_u64 v[20:21], v[22:23], 2, v[0:1]
	v_ashrrev_i32_e32 v13, 31, v12
	v_ashrrev_i32_e32 v27, 31, v26
	v_add_u32_e32 v32, s74, v86
	v_add_u32_e32 v42, s75, v86
	global_load_dword v96, v[10:11], off
	global_load_dword v97, v[20:21], off
	v_lshl_add_u64 v[12:13], v[12:13], 2, v[0:1]
	v_lshl_add_u64 v[20:21], v[26:27], 2, v[0:1]
	v_ashrrev_i32_e32 v17, 31, v16
	v_ashrrev_i32_e32 v31, 31, v30
	v_add_u32_e32 v44, s76, v86
	v_add_u32_e32 v56, s77, v86
	global_load_dword v26, v[12:13], off
	global_load_dword v27, v[20:21], off
	;; [unrolled: 8-line block ×4, first 2 shown]
	v_lshl_add_u64 v[22:23], v[44:45], 2, v[0:1]
	v_lshl_add_u64 v[30:31], v[56:57], 2, v[0:1]
	v_ashrrev_i32_e32 v53, 31, v52
	v_ashrrev_i32_e32 v65, 31, v64
	v_add_u32_e32 v50, s82, v86
	v_add_u32_e32 v38, s84, v86
	;; [unrolled: 1-line block ×4, first 2 shown]
	global_load_dword v42, v[22:23], off
	global_load_dword v43, v[30:31], off
	v_lshl_add_u64 v[30:31], v[52:53], 2, v[0:1]
	v_lshl_add_u64 v[36:37], v[64:65], 2, v[0:1]
	v_ashrrev_i32_e32 v61, 31, v60
	v_ashrrev_i32_e32 v59, 31, v58
	v_add_u32_e32 v46, s83, v86
	v_add_u32_e32 v34, s85, v86
	v_add_u32_e32 v14, s87, v86
	v_add_u32_e32 v10, s89, v86
	v_add_u32_e32 v12, s90, v86
	global_load_dword v44, v[30:31], off
	global_load_dword v45, v[36:37], off
	v_lshl_add_u64 v[36:37], v[60:61], 2, v[0:1]
	v_lshl_add_u64 v[40:41], v[58:59], 2, v[0:1]
	v_ashrrev_i32_e32 v51, 31, v50
	v_ashrrev_i32_e32 v39, 31, v38
	;; [unrolled: 1-line block ×4, first 2 shown]
	v_add_u32_e32 v16, s91, v86
	v_add_u32_e32 v20, s92, v86
	global_load_dword v52, v[36:37], off
	global_load_dword v53, v[40:41], off
	v_ashrrev_i32_e32 v47, 31, v46
	v_lshl_add_u64 v[40:41], v[50:51], 2, v[0:1]
	v_ashrrev_i32_e32 v35, 31, v34
	v_lshl_add_u64 v[38:39], v[38:39], 2, v[0:1]
	v_ashrrev_i32_e32 v15, 31, v14
	v_lshl_add_u64 v[24:25], v[24:25], 2, v[0:1]
	v_lshl_add_u64 v[8:9], v[8:9], 2, v[0:1]
	v_ashrrev_i32_e32 v11, 31, v10
	v_ashrrev_i32_e32 v13, 31, v12
	v_add_u32_e32 v22, s93, v86
	v_add_u32_e32 v30, s94, v86
	v_lshl_add_u64 v[50:51], v[46:47], 2, v[0:1]
	global_load_dword v46, v[40:41], off
	global_load_dword v56, v[50:51], off
	v_lshl_add_u64 v[34:35], v[34:35], 2, v[0:1]
	global_load_dword v38, v[38:39], off
	s_nop 0
	global_load_dword v39, v[34:35], off
	v_lshl_add_u64 v[14:15], v[14:15], 2, v[0:1]
	global_load_dword v57, v[24:25], off
	global_load_dword v64, v[14:15], off
	;; [unrolled: 1-line block ×3, first 2 shown]
	s_nop 0
	global_load_dword v24, v[4:5], off
	v_lshl_add_u64 v[8:9], v[10:11], 2, v[0:1]
	v_lshl_add_u64 v[10:11], v[12:13], 2, v[0:1]
	v_ashrrev_i32_e32 v17, 31, v16
	v_ashrrev_i32_e32 v21, 31, v20
	v_add_u32_e32 v36, s95, v86
	v_add_u32_e32 v40, s96, v86
	global_load_dword v100, v[8:9], off
	global_load_dword v101, v[10:11], off
	s_nop 0
	global_load_dwordx2 v[8:9], v[6:7], off
	v_lshl_add_u64 v[10:11], v[16:17], 2, v[0:1]
	v_lshl_add_u64 v[12:13], v[20:21], 2, v[0:1]
	v_ashrrev_i32_e32 v23, 31, v22
	v_ashrrev_i32_e32 v31, 31, v30
	v_add_u32_e32 v34, s97, v86
	global_load_dword v102, v[10:11], off
	global_load_dword v103, v[12:13], off
	v_lshl_add_u64 v[12:13], v[22:23], 2, v[0:1]
	v_lshl_add_u64 v[16:17], v[30:31], 2, v[0:1]
	v_ashrrev_i32_e32 v37, 31, v36
	v_ashrrev_i32_e32 v41, 31, v40
	v_add_u32_e32 v14, s10, v86
	global_load_dword v104, v[12:13], off
	global_load_dword v105, v[16:17], off
	v_lshl_add_u64 v[16:17], v[36:37], 2, v[0:1]
	v_lshl_add_u64 v[20:21], v[40:41], 2, v[0:1]
	v_ashrrev_i32_e32 v35, 31, v34
	v_lshl_add_u64 v[10:11], v[6:7], 0, s[12:13]
	global_load_dword v106, v[16:17], off
	global_load_dword v107, v[20:21], off
	v_ashrrev_i32_e32 v15, 31, v14
	v_lshl_add_u64 v[20:21], v[34:35], 2, v[0:1]
	v_lshl_add_u64 v[14:15], v[14:15], 2, v[0:1]
	global_load_dword v108, v[20:21], off
	global_load_dword v109, v[14:15], off
	v_add_u32_e32 v12, s14, v86
	global_load_dwordx2 v[10:11], v[10:11], off
	v_add_u32_e32 v16, s19, v86
	v_add_u32_e32 v14, s26, v86
	;; [unrolled: 1-line block ×6, first 2 shown]
	v_ashrrev_i32_e32 v13, 31, v12
	v_ashrrev_i32_e32 v17, 31, v16
	;; [unrolled: 1-line block ×7, first 2 shown]
	s_waitcnt vmcnt(62)
	ds_write_b32 v87, v93 offset:264
	v_lshl_add_u64 v[12:13], v[12:13], 3, s[0:1]
	v_lshl_add_u64 v[16:17], v[16:17], 3, s[0:1]
	;; [unrolled: 1-line block ×9, first 2 shown]
	s_waitcnt vmcnt(12)
	ds_write_b32 v87, v24
	v_add_u32_e32 v24, s31, v86
	v_ashrrev_i32_e32 v25, 31, v24
	ds_write_b32 v87, v80 offset:528
	ds_write_b32 v87, v91 offset:792
	ds_write_b32 v87, v78 offset:1056
	ds_write_b32 v87, v79 offset:1320
	ds_write_b32 v87, v76 offset:1584
	ds_write_b32 v87, v81 offset:1848
	ds_write_b32 v87, v75 offset:2112
	ds_write_b32 v87, v90 offset:2376
	s_waitcnt vmcnt(9)
	v_cvt_f16_f32_e32 v47, v8
	v_add_u32_e32 v8, s27, v86
	v_cvt_f16_f32_e32 v50, v9
	v_ashrrev_i32_e32 v9, 31, v8
	ds_write_b32 v87, v77 offset:2640
	ds_write_b32 v87, v92 offset:2904
	;; [unrolled: 1-line block ×4, first 2 shown]
	v_lshl_add_u64 v[8:9], v[8:9], 3, s[0:1]
	v_lshl_add_u64 v[24:25], v[24:25], 3, s[0:1]
	s_waitcnt vmcnt(0)
	v_cvt_f16_f32_e32 v58, v10
	v_add_u32_e32 v10, s28, v86
	v_cvt_f16_f32_e32 v59, v11
	v_ashrrev_i32_e32 v11, 31, v10
	v_lshl_add_u64 v[10:11], v[10:11], 3, s[0:1]
	global_load_dwordx2 v[12:13], v[12:13], off
	s_nop 0
	global_load_dwordx2 v[16:17], v[16:17], off
	s_nop 0
	;; [unrolled: 2-line block ×9, first 2 shown]
	global_load_dwordx2 v[34:35], v[34:35], off
	ds_write_b32 v87, v70 offset:3696
	ds_write_b32 v87, v73 offset:3960
	s_waitcnt vmcnt(9)
	v_cvt_f16_f32_e32 v73, v12
	v_cvt_f16_f32_e32 v74, v13
	s_waitcnt vmcnt(8)
	v_cvt_f16_f32_e32 v75, v16
	s_waitcnt vmcnt(6)
	v_cvt_f16_f32_e32 v79, v8
	v_add_u32_e32 v8, s35, v86
	v_cvt_f16_f32_e32 v80, v9
	v_ashrrev_i32_e32 v9, 31, v8
	v_lshl_add_u64 v[8:9], v[8:9], 3, s[0:1]
	global_load_dwordx2 v[8:9], v[8:9], off
	v_cvt_f16_f32_e32 v76, v17
	v_cvt_f16_f32_e32 v77, v14
	;; [unrolled: 1-line block ×3, first 2 shown]
	s_waitcnt vmcnt(6)
	v_cvt_f16_f32_e32 v81, v10
	v_cvt_f16_f32_e32 v89, v11
	s_waitcnt vmcnt(5)
	v_cvt_f16_f32_e32 v90, v20
	v_cvt_f16_f32_e32 v91, v21
	;; [unrolled: 3-line block ×6, first 2 shown]
	s_waitcnt vmcnt(0)
	v_cvt_f16_f32_e32 v116, v8
	v_add_u32_e32 v8, s36, v86
	v_cvt_f16_f32_e32 v117, v9
	v_ashrrev_i32_e32 v9, 31, v8
	v_lshl_add_u64 v[8:9], v[8:9], 3, s[0:1]
	global_load_dwordx2 v[8:9], v[8:9], off
	v_add_u32_e32 v86, 0x100, v86
	v_cmp_le_i32_e32 vcc, s5, v86
	s_or_b64 s[16:17], vcc, s[16:17]
	s_waitcnt vmcnt(0)
	v_cvt_f16_f32_e32 v118, v8
	v_cvt_f16_f32_e32 v119, v9
	ds_read_b64 v[54:55], v88
	ds_read_b64 v[40:41], v88 offset:32
	ds_read_b64 v[36:37], v88 offset:64
	;; [unrolled: 1-line block ×7, first 2 shown]
	ds_write_b32 v87, v2
	ds_write_b32 v87, v62 offset:264
	ds_write_b32 v87, v63 offset:528
	;; [unrolled: 1-line block ×15, first 2 shown]
	v_pack_b32_f16 v2, v47, v50
	ds_read_b64 v[62:63], v88
	ds_read_b64 v[50:51], v88 offset:32
	ds_read_b64 v[48:49], v88 offset:64
	;; [unrolled: 1-line block ×7, first 2 shown]
	ds_write_b32 v87, v94
	ds_write_b32 v87, v96 offset:264
	ds_write_b32 v87, v97 offset:528
	;; [unrolled: 1-line block ×15, first 2 shown]
	v_pack_b32_f16 v72, v58, v59
	ds_read_b64 v[68:69], v88
	ds_read_b64 v[60:61], v88 offset:32
	ds_read_b64 v[58:59], v88 offset:64
	;; [unrolled: 1-line block ×7, first 2 shown]
	ds_write_b32 v87, v56
	ds_write_b32 v87, v38 offset:264
	ds_write_b32 v87, v39 offset:528
	;; [unrolled: 1-line block ×15, first 2 shown]
	ds_read_b64 v[70:71], v88
	ds_read_b64 v[66:67], v88 offset:32
	ds_read_b64 v[64:65], v88 offset:64
	;; [unrolled: 1-line block ×7, first 2 shown]
	ds_write_b32 v87, v2
	ds_write_b32 v87, v72 offset:264
	v_pack_b32_f16 v2, v73, v74
	v_pack_b32_f16 v72, v75, v76
	;; [unrolled: 1-line block ×12, first 2 shown]
	ds_write_b32 v87, v2 offset:528
	ds_write_b32 v87, v72 offset:792
	;; [unrolled: 1-line block ×14, first 2 shown]
	ds_read_b64 v[72:73], v88
	s_waitcnt lgkmcnt(0)
	v_mfma_f32_16x16x16_f16 a[12:15], v[54:55], v[72:73], a[12:15]
	ds_read_b64 v[54:55], v88 offset:32
	s_waitcnt lgkmcnt(0)
	v_mfma_f32_16x16x16_f16 a[12:15], v[40:41], v[54:55], a[12:15]
	ds_read_b64 v[40:41], v88 offset:64
	v_mfma_f32_16x16x16_f16 a[8:11], v[62:63], v[72:73], a[8:11]
	v_mfma_f32_16x16x16_f16 a[4:7], v[68:69], v[72:73], a[4:7]
	;; [unrolled: 1-line block ×3, first 2 shown]
	s_waitcnt lgkmcnt(0)
	v_mfma_f32_16x16x16_f16 a[12:15], v[36:37], v[40:41], a[12:15]
	ds_read_b64 v[36:37], v88 offset:96
	v_mfma_f32_16x16x16_f16 a[8:11], v[50:51], v[54:55], a[8:11]
	v_mfma_f32_16x16x16_f16 a[4:7], v[60:61], v[54:55], a[4:7]
	;; [unrolled: 1-line block ×6, first 2 shown]
	s_waitcnt lgkmcnt(0)
	v_mfma_f32_16x16x16_f16 a[12:15], v[24:25], v[36:37], a[12:15]
	ds_read_b64 v[24:25], v88 offset:128
	v_mfma_f32_16x16x16_f16 a[8:11], v[34:35], v[36:37], a[8:11]
	v_mfma_f32_16x16x16_f16 a[4:7], v[46:47], v[36:37], a[4:7]
	v_mfma_f32_16x16x16_f16 a[0:3], v[56:57], v[36:37], a[0:3]
	s_waitcnt lgkmcnt(0)
	v_mfma_f32_16x16x16_f16 a[12:15], v[20:21], v[24:25], a[12:15]
	ds_read_b64 v[20:21], v88 offset:160
	v_mfma_f32_16x16x16_f16 a[8:11], v[30:31], v[24:25], a[8:11]
	v_mfma_f32_16x16x16_f16 a[4:7], v[44:45], v[24:25], a[4:7]
	v_mfma_f32_16x16x16_f16 a[0:3], v[52:53], v[24:25], a[0:3]
	;; [unrolled: 6-line block ×4, first 2 shown]
	s_waitcnt lgkmcnt(0)
	v_mfma_f32_16x16x16_f16 a[12:15], v[8:9], v[10:11], a[12:15]
	v_mfma_f32_16x16x16_f16 a[8:11], v[12:13], v[10:11], a[8:11]
	;; [unrolled: 1-line block ×4, first 2 shown]
	s_andn2_b64 exec, exec, s[16:17]
	s_cbranch_execnz .LBB110_4
; %bb.5:
	s_or_b64 exec, exec, s[16:17]
.LBB110_6:
	s_or_b64 exec, exec, s[24:25]
	v_mul_u32_u24_e32 v0, 0x408, v85
	v_lshlrev_b32_e32 v1, 2, v84
	v_or_b32_e32 v2, 12, v83
	v_add3_u32 v0, 0, v0, v1
	v_and_b32_e32 v1, 0x3f0, v83
	v_and_b32_e32 v2, 0x3fc, v2
	v_add_u32_e32 v1, v0, v1
	v_add_u32_e32 v0, v0, v2
	s_waitcnt lgkmcnt(0)
	s_mul_hi_i32 s1, s15, s4
	s_mul_i32 s0, s15, s4
	s_mul_i32 s4, s3, s11
	s_barrier
	s_movk_i32 s3, 0x408
	ds_write2_b32 v1, a12, a13 offset1:1
	ds_write_b32 v1, a14 offset:8
	ds_write_b32 v0, a15
	ds_write2_b32 v1, a8, a9 offset0:16 offset1:17
	ds_write_b32 v1, a10 offset:72
	ds_write_b32 v0, a11 offset:64
	ds_write2_b32 v1, a4, a5 offset0:32 offset1:33
	ds_write_b32 v1, a6 offset:136
	ds_write_b32 v0, a7 offset:128
	;; [unrolled: 3-line block ×3, first 2 shown]
	v_lshl_add_u32 v1, v83, 2, 0
	v_mad_u32_u24 v10, v82, s3, v1
	s_waitcnt lgkmcnt(0)
	s_barrier
	ds_read2st64_b32 v[2:3], v10 offset1:1
	ds_read2st64_b32 v[4:5], v10 offset0:2 offset1:3
	v_add_u32_e32 v6, 32, v10
	s_lshl_b64 s[0:1], s[0:1], 2
	s_add_u32 s6, s6, s0
	s_waitcnt lgkmcnt(1)
	v_add_f32_e32 v2, 0, v2
	v_add_f32_e32 v2, v2, v3
	s_waitcnt lgkmcnt(0)
	v_add_f32_e32 v2, v2, v4
	v_add_f32_e32 v11, v2, v5
	ds_read2st64_b32 v[4:5], v6 offset0:16 offset1:17
	ds_read2st64_b32 v[6:7], v6 offset0:18 offset1:19
	s_addc_u32 s7, s7, s1
	s_ashr_i32 s5, s4, 31
	s_lshl_b64 s[0:1], s[4:5], 2
	v_add_u32_e32 v0, s2, v83
	s_add_u32 s0, s6, s0
	v_mad_u64_u32 v[2:3], s[4:5], v82, s18, v[0:1]
	s_waitcnt lgkmcnt(1)
	v_add_f32_e32 v4, 0, v4
	s_addc_u32 s1, s7, s1
	v_mov_b32_e32 v3, 0
	v_add_f32_e32 v4, v4, v5
	v_lshl_add_u64 v[8:9], v[2:3], 2, s[0:1]
	s_waitcnt lgkmcnt(0)
	v_add_f32_e32 v4, v4, v6
	v_add_u32_e32 v6, 64, v10
	global_store_dword v[8:9], v11, off
	v_add_f32_e32 v11, v4, v7
	ds_read2st64_b32 v[4:5], v6 offset0:32 offset1:33
	ds_read2st64_b32 v[6:7], v6 offset0:34 offset1:35
	s_lshl_b32 s2, s18, 2
	v_add_u32_e32 v2, s2, v2
	v_lshl_add_u64 v[8:9], v[2:3], 2, s[0:1]
	s_waitcnt lgkmcnt(1)
	v_add_f32_e32 v4, 0, v4
	v_add_f32_e32 v4, v4, v5
	s_waitcnt lgkmcnt(0)
	v_add_f32_e32 v4, v4, v6
	v_add_u32_e32 v2, s2, v2
	v_add_f32_e32 v6, v4, v7
	v_lshl_add_u64 v[4:5], v[2:3], 2, s[0:1]
	v_cmp_gt_u32_e32 vcc, 2, v82
	global_store_dword v[8:9], v11, off
	global_store_dword v[4:5], v6, off
	s_and_saveexec_b64 s[4:5], vcc
	s_cbranch_execz .LBB110_8
; %bb.7:
	v_or_b32_e32 v2, 12, v82
	v_mad_u32_u24 v1, v2, s3, v1
	ds_read2st64_b32 v[4:5], v1 offset1:1
	ds_read2st64_b32 v[6:7], v1 offset0:2 offset1:3
	v_mad_u64_u32 v[0:1], s[2:3], v2, s18, v[0:1]
	v_mov_b32_e32 v1, v3
	s_waitcnt lgkmcnt(1)
	v_add_f32_e32 v2, 0, v4
	v_add_f32_e32 v2, v2, v5
	s_waitcnt lgkmcnt(0)
	v_add_f32_e32 v2, v2, v6
	v_add_f32_e32 v2, v2, v7
	v_lshl_add_u64 v[0:1], v[0:1], 2, s[0:1]
	global_store_dword v[0:1], v2, off
.LBB110_8:
	s_endpgm
	.section	.rodata,"a",@progbits
	.p2align	6, 0x0
	.amdhsa_kernel _ZL9mul_mat_fI7__half2Li64ELi14ELi4ELb0EEvPKT_PKfPKiPfiiiiiiiiiiiiiiii
		.amdhsa_group_segment_fixed_size 0
		.amdhsa_private_segment_fixed_size 0
		.amdhsa_kernarg_size 96
		.amdhsa_user_sgpr_count 2
		.amdhsa_user_sgpr_dispatch_ptr 0
		.amdhsa_user_sgpr_queue_ptr 0
		.amdhsa_user_sgpr_kernarg_segment_ptr 1
		.amdhsa_user_sgpr_dispatch_id 0
		.amdhsa_user_sgpr_kernarg_preload_length 0
		.amdhsa_user_sgpr_kernarg_preload_offset 0
		.amdhsa_user_sgpr_private_segment_size 0
		.amdhsa_uses_dynamic_stack 0
		.amdhsa_enable_private_segment 0
		.amdhsa_system_sgpr_workgroup_id_x 1
		.amdhsa_system_sgpr_workgroup_id_y 1
		.amdhsa_system_sgpr_workgroup_id_z 1
		.amdhsa_system_sgpr_workgroup_info 0
		.amdhsa_system_vgpr_workitem_id 1
		.amdhsa_next_free_vgpr 136
		.amdhsa_next_free_sgpr 98
		.amdhsa_accum_offset 120
		.amdhsa_reserve_vcc 1
		.amdhsa_float_round_mode_32 0
		.amdhsa_float_round_mode_16_64 0
		.amdhsa_float_denorm_mode_32 3
		.amdhsa_float_denorm_mode_16_64 3
		.amdhsa_dx10_clamp 1
		.amdhsa_ieee_mode 1
		.amdhsa_fp16_overflow 0
		.amdhsa_tg_split 0
		.amdhsa_exception_fp_ieee_invalid_op 0
		.amdhsa_exception_fp_denorm_src 0
		.amdhsa_exception_fp_ieee_div_zero 0
		.amdhsa_exception_fp_ieee_overflow 0
		.amdhsa_exception_fp_ieee_underflow 0
		.amdhsa_exception_fp_ieee_inexact 0
		.amdhsa_exception_int_div_zero 0
	.end_amdhsa_kernel
	.section	.text._ZL9mul_mat_fI7__half2Li64ELi14ELi4ELb0EEvPKT_PKfPKiPfiiiiiiiiiiiiiiii,"axG",@progbits,_ZL9mul_mat_fI7__half2Li64ELi14ELi4ELb0EEvPKT_PKfPKiPfiiiiiiiiiiiiiiii,comdat
.Lfunc_end110:
	.size	_ZL9mul_mat_fI7__half2Li64ELi14ELi4ELb0EEvPKT_PKfPKiPfiiiiiiiiiiiiiiii, .Lfunc_end110-_ZL9mul_mat_fI7__half2Li64ELi14ELi4ELb0EEvPKT_PKfPKiPfiiiiiiiiiiiiiiii
                                        ; -- End function
	.section	.AMDGPU.csdata,"",@progbits
; Kernel info:
; codeLenInByte = 5204
; NumSgprs: 104
; NumVgprs: 120
; NumAgprs: 16
; TotalNumVgprs: 136
; ScratchSize: 0
; MemoryBound: 0
; FloatMode: 240
; IeeeMode: 1
; LDSByteSize: 0 bytes/workgroup (compile time only)
; SGPRBlocks: 12
; VGPRBlocks: 16
; NumSGPRsForWavesPerEU: 104
; NumVGPRsForWavesPerEU: 136
; AccumOffset: 120
; Occupancy: 3
; WaveLimiterHint : 0
; COMPUTE_PGM_RSRC2:SCRATCH_EN: 0
; COMPUTE_PGM_RSRC2:USER_SGPR: 2
; COMPUTE_PGM_RSRC2:TRAP_HANDLER: 0
; COMPUTE_PGM_RSRC2:TGID_X_EN: 1
; COMPUTE_PGM_RSRC2:TGID_Y_EN: 1
; COMPUTE_PGM_RSRC2:TGID_Z_EN: 1
; COMPUTE_PGM_RSRC2:TIDIG_COMP_CNT: 1
; COMPUTE_PGM_RSRC3_GFX90A:ACCUM_OFFSET: 29
; COMPUTE_PGM_RSRC3_GFX90A:TG_SPLIT: 0
	.section	.text._ZL13mul_mat_f_idsI7__half2Li64ELi14ELi5EEvPKT_PKfPKiS7_S7_Pfiiiiiiiiiiiiii15HIP_vector_typeIjLj3EESA_,"axG",@progbits,_ZL13mul_mat_f_idsI7__half2Li64ELi14ELi5EEvPKT_PKfPKiS7_S7_Pfiiiiiiiiiiiiii15HIP_vector_typeIjLj3EESA_,comdat
	.globl	_ZL13mul_mat_f_idsI7__half2Li64ELi14ELi5EEvPKT_PKfPKiS7_S7_Pfiiiiiiiiiiiiii15HIP_vector_typeIjLj3EESA_ ; -- Begin function _ZL13mul_mat_f_idsI7__half2Li64ELi14ELi5EEvPKT_PKfPKiS7_S7_Pfiiiiiiiiiiiiii15HIP_vector_typeIjLj3EESA_
	.p2align	8
	.type	_ZL13mul_mat_f_idsI7__half2Li64ELi14ELi5EEvPKT_PKfPKiS7_S7_Pfiiiiiiiiiiiiii15HIP_vector_typeIjLj3EESA_,@function
_ZL13mul_mat_f_idsI7__half2Li64ELi14ELi5EEvPKT_PKfPKiS7_S7_Pfiiiiiiiiiiiiii15HIP_vector_typeIjLj3EESA_: ; @_ZL13mul_mat_f_idsI7__half2Li64ELi14ELi5EEvPKT_PKfPKiS7_S7_Pfiiiiiiiiiiiiii15HIP_vector_typeIjLj3EESA_
; %bb.0:
	s_load_dwordx2 s[6:7], s[0:1], 0x20
	s_mov_b32 s34, s3
	s_ashr_i32 s35, s3, 31
	s_lshl_b64 s[8:9], s[34:35], 2
	s_waitcnt lgkmcnt(0)
	s_add_u32 s6, s6, s8
	s_addc_u32 s7, s7, s9
	s_load_dwordx2 s[26:27], s[6:7], 0x0
	s_waitcnt lgkmcnt(0)
	s_sub_i32 s33, s27, s26
	s_add_i32 s3, s33, 13
	s_mul_hi_i32 s5, s3, 0x92492493
	s_add_i32 s5, s5, s3
	s_lshr_b32 s3, s5, 31
	s_ashr_i32 s5, s5, 3
	s_add_i32 s5, s5, s3
	s_cmp_ge_i32 s4, s5
	s_cbranch_scc1 .LBB111_59
; %bb.1:
	v_bfe_u32 v16, v0, 10, 10
	v_lshlrev_b32_e32 v114, 6, v16
	v_and_b32_e32 v17, 0x3ff, v0
	s_load_dwordx4 s[12:15], s[0:1], 0x30
	s_load_dwordx2 s[20:21], s[0:1], 0x40
	s_load_dwordx4 s[8:11], s[0:1], 0x4c
	s_load_dwordx4 s[16:19], s[0:1], 0x68
	s_load_dwordx2 s[24:25], s[0:1], 0x78
	v_add_u32_e32 v116, v114, v17
	s_ashr_i32 s27, s26, 31
	s_waitcnt lgkmcnt(0)
	v_cmp_le_i32_e32 vcc, s12, v116
	v_and_b32_e32 v115, 15, v17
                                        ; implicit-def: $sgpr3
	s_and_saveexec_b64 s[6:7], vcc
	s_xor_b64 s[6:7], exec, s[6:7]
; %bb.2:
	v_and_b32_e32 v115, 15, v17
	s_mov_b32 s3, 0
                                        ; implicit-def: $vgpr116
; %bb.3:
	s_or_saveexec_b64 s[28:29], s[6:7]
	s_load_dwordx2 s[22:23], s[0:1], 0x18
	s_load_dwordx2 s[6:7], s[0:1], 0x28
                                        ; implicit-def: $vgpr119 : SGPR spill to VGPR lane
	s_lshl_b32 s11, s2, 6
	s_mul_i32 s2, s4, 14
	v_mov_b32_e32 v15, s3
	v_mov_b32_e32 v14, s3
	s_waitcnt lgkmcnt(0)
	v_writelane_b32 v119, s6, 0
	v_mov_b32_e32 v13, s3
	v_mov_b32_e32 v12, s3
	;; [unrolled: 1-line block ×14, first 2 shown]
	v_writelane_b32 v119, s7, 1
	s_xor_b64 exec, exec, s[28:29]
	s_cbranch_execz .LBB111_49
; %bb.4:
	v_writelane_b32 v119, s28, 2
	s_movk_i32 s3, 0x1080
	v_mad_u32_u24 v1, v16, s3, 0
	v_writelane_b32 v119, s29, 3
	v_writelane_b32 v119, s22, 4
	v_lshrrev_b32_e32 v3, 1, v17
	v_mov_b32_e32 v19, 0
	v_writelane_b32 v119, s23, 5
	v_writelane_b32 v119, s24, 6
	s_load_dwordx4 s[4:7], s[0:1], 0x0
	s_load_dwordx2 s[22:23], s[0:1], 0x10
	v_writelane_b32 v119, s25, 7
	s_mul_i32 s0, s34, s8
	s_mul_i32 s24, s11, s15
	s_ashr_i32 s1, s0, 31
	s_ashr_i32 s25, s24, 31
	s_lshl_b64 s[24:25], s[24:25], 2
	s_lshl_b64 s[0:1], s[0:1], 2
	s_add_u32 s24, s0, s24
	v_writelane_b32 v119, s11, 8
	s_addc_u32 s25, s1, s25
	s_waitcnt lgkmcnt(0)
	s_add_u32 s0, s24, s4
	v_writelane_b32 v119, s26, 9
	s_addc_u32 s1, s25, s5
	v_lshlrev_b32_e32 v0, 2, v17
	v_writelane_b32 v119, s27, 10
	s_lshl_b64 s[26:27], s[26:27], 2
	s_add_u32 s8, s22, s26
	s_addc_u32 s11, s23, s27
	s_cmp_lt_i32 s2, s33
	s_cselect_b64 s[34:35], -1, 0
	s_ashr_i32 s3, s2, 31
	s_lshl_b64 s[22:23], s[2:3], 2
	s_add_u32 s36, s8, s22
	s_addc_u32 s37, s11, s23
	s_or_b32 s3, s2, 1
	s_cmp_lt_i32 s3, s33
	s_cselect_b64 s[38:39], -1, 0
	s_add_i32 s3, s2, 2
	s_cmp_lt_i32 s3, s33
	s_cselect_b64 s[40:41], -1, 0
	s_add_i32 s3, s2, 3
	;; [unrolled: 3-line block ×3, first 2 shown]
	v_mul_u32_u24_e32 v2, 0x108, v115
	v_and_b32_e32 v3, 0x1f8, v3
	s_cmp_lt_i32 s3, s33
	v_lshlrev_b32_e32 v18, 8, v16
	v_add_u32_e32 v117, v1, v0
	v_add3_u32 v118, v1, v2, v3
	s_cselect_b64 s[44:45], -1, 0
	s_add_i32 s3, s2, 5
	v_lshl_add_u64 v[2:3], s[24:25], 0, v[18:19]
	v_mov_b32_e32 v1, v19
	s_cmp_lt_i32 s3, s33
	v_lshl_add_u64 v[0:1], v[2:3], 0, v[0:1]
	s_cselect_b64 s[46:47], -1, 0
	s_add_i32 s3, s2, 6
	v_lshl_add_u64 v[20:21], s[4:5], 0, v[0:1]
	s_mul_i32 s4, s15, 3
	s_cmp_lt_i32 s3, s33
	v_writelane_b32 v119, s4, 11
	s_mul_i32 s4, s15, 5
	s_cselect_b64 s[48:49], -1, 0
	s_add_i32 s3, s2, 7
	v_writelane_b32 v119, s4, 12
	s_mul_i32 s4, s15, 6
	s_cmp_lt_i32 s3, s33
	v_writelane_b32 v119, s4, 13
	s_mul_i32 s4, s15, 7
	s_cselect_b64 s[50:51], -1, 0
	s_add_i32 s3, s2, 8
	v_writelane_b32 v119, s4, 14
	;; [unrolled: 7-line block ×7, first 2 shown]
	s_mul_i32 s4, s15, 20
	s_cmp_lt_i32 s3, s33
	v_writelane_b32 v119, s4, 25
	s_mul_i32 s4, s15, 21
	s_cselect_b64 s[62:63], -1, 0
	s_ashr_i32 s23, s15, 31
	s_mov_b32 s22, s15
	v_writelane_b32 v119, s4, 26
	s_mul_i32 s4, s15, 22
	s_lshl_b64 s[64:65], s[22:23], 2
	s_lshl_b32 s3, s15, 1
	s_lshl_b32 s68, s15, 2
	;; [unrolled: 1-line block ×4, first 2 shown]
	v_writelane_b32 v119, s4, 27
	s_mul_i32 s87, s15, 23
	s_mul_i32 s88, s15, 24
	;; [unrolled: 1-line block ×5, first 2 shown]
	v_mov_b32_e32 v8, 0
	v_mov_b32_e32 v9, v19
	;; [unrolled: 1-line block ×16, first 2 shown]
	s_mul_i32 s92, s15, 28
	s_mul_i32 s93, s15, 29
	;; [unrolled: 1-line block ×4, first 2 shown]
	s_lshl_b32 s96, s15, 5
	s_mul_i32 s97, s15, 33
	s_mul_i32 s98, s15, 34
	;; [unrolled: 1-line block ×31, first 2 shown]
	s_mov_b64 s[4:5], 0
	s_mov_b64 s[66:67], 0x500
	s_branch .LBB111_6
.LBB111_5:                              ;   in Loop: Header=BB111_6 Depth=1
	s_waitcnt vmcnt(0)
	v_cvt_f16_f32_e32 v18, v86
	v_cvt_f16_f32_e32 v86, v87
	;; [unrolled: 1-line block ×6, first 2 shown]
	v_pack_b32_f16 v18, v18, v86
	v_pack_b32_f16 v86, v87, v90
	ds_write2_b32 v117, v18, v86 offset1:66
	v_cvt_f16_f32_e32 v86, v94
	v_cvt_f16_f32_e32 v87, v95
	v_pack_b32_f16 v18, v88, v89
	v_cvt_f16_f32_e32 v88, v92
	v_cvt_f16_f32_e32 v89, v93
	;; [unrolled: 1-line block ×4, first 2 shown]
	v_pack_b32_f16 v86, v86, v87
	ds_write2_b32 v117, v18, v86 offset0:132 offset1:198
	v_pack_b32_f16 v18, v88, v89
	v_cvt_f16_f32_e32 v87, v96
	v_cvt_f16_f32_e32 v88, v97
	v_pack_b32_f16 v86, v90, v91
	v_cvt_f16_f32_e32 v89, v102
	v_cvt_f16_f32_e32 v90, v103
	v_add_u32_e32 v91, 0x400, v117
	ds_write2_b32 v91, v18, v86 offset0:8 offset1:74
	v_pack_b32_f16 v18, v87, v88
	v_cvt_f16_f32_e32 v87, v100
	v_cvt_f16_f32_e32 v88, v101
	v_pack_b32_f16 v86, v89, v90
	ds_write2_b32 v91, v18, v86 offset0:140 offset1:206
	v_cvt_f16_f32_e32 v18, v106
	v_cvt_f16_f32_e32 v86, v107
	v_pack_b32_f16 v87, v87, v88
	v_cvt_f16_f32_e32 v88, v104
	v_cvt_f16_f32_e32 v89, v105
	v_pack_b32_f16 v18, v18, v86
	v_add_u32_e32 v86, 0x800, v117
	ds_write2_b32 v86, v87, v18 offset0:16 offset1:82
	v_pack_b32_f16 v18, v88, v89
	v_cvt_f16_f32_e32 v87, v110
	v_cvt_f16_f32_e32 v88, v111
	;; [unrolled: 1-line block ×6, first 2 shown]
	v_pack_b32_f16 v87, v87, v88
	ds_write2_b32 v86, v18, v87 offset0:148 offset1:214
	v_pack_b32_f16 v18, v89, v90
	v_pack_b32_f16 v86, v91, v92
	v_add_u32_e32 v87, 0xc00, v117
	ds_write2_b32 v87, v18, v86 offset0:24 offset1:90
	ds_write2_b32 v87, v19, v19 offset0:156 offset1:222
	ds_read2_b64 v[86:89], v118 offset1:4
	s_waitcnt lgkmcnt(0)
	v_mfma_f32_16x16x16_f16 v[0:3], v[70:71], v[86:87], v[0:3]
	v_add_u32_e32 v116, 0x140, v116
	v_cmp_le_i32_e32 vcc, s12, v116
	v_lshl_add_u64 v[20:21], v[20:21], 0, s[66:67]
	v_mfma_f32_16x16x16_f16 v[8:11], v[38:39], v[86:87], v[8:11]
	s_or_b64 s[4:5], vcc, s[4:5]
	v_mfma_f32_16x16x16_f16 v[4:7], v[54:55], v[86:87], v[4:7]
	v_mfma_f32_16x16x16_f16 v[12:15], v[84:85], v[86:87], v[12:15]
	v_mfma_f32_16x16x16_f16 v[0:3], v[68:69], v[88:89], v[0:3]
	ds_read2_b64 v[68:71], v118 offset0:8 offset1:12
	v_mfma_f32_16x16x16_f16 v[8:11], v[34:35], v[88:89], v[8:11]
	v_mfma_f32_16x16x16_f16 v[4:7], v[50:51], v[88:89], v[4:7]
	v_mfma_f32_16x16x16_f16 v[12:15], v[82:83], v[88:89], v[12:15]
	s_waitcnt lgkmcnt(0)
	v_mfma_f32_16x16x16_f16 v[8:11], v[32:33], v[68:69], v[8:11]
	v_mfma_f32_16x16x16_f16 v[4:7], v[48:49], v[68:69], v[4:7]
	v_mfma_f32_16x16x16_f16 v[0:3], v[66:67], v[68:69], v[0:3]
	v_mfma_f32_16x16x16_f16 v[12:15], v[78:79], v[68:69], v[12:15]
	v_mfma_f32_16x16x16_f16 v[8:11], v[30:31], v[70:71], v[8:11]
	ds_read2_b64 v[30:33], v118 offset0:16 offset1:20
	v_mfma_f32_16x16x16_f16 v[4:7], v[46:47], v[70:71], v[4:7]
	v_mfma_f32_16x16x16_f16 v[0:3], v[64:65], v[70:71], v[0:3]
	v_mfma_f32_16x16x16_f16 v[12:15], v[74:75], v[70:71], v[12:15]
	s_waitcnt lgkmcnt(0)
	v_mfma_f32_16x16x16_f16 v[8:11], v[28:29], v[30:31], v[8:11]
	v_mfma_f32_16x16x16_f16 v[4:7], v[44:45], v[30:31], v[4:7]
	;; [unrolled: 10-line block ×3, first 2 shown]
	v_mfma_f32_16x16x16_f16 v[0:3], v[56:57], v[26:27], v[0:3]
	v_mfma_f32_16x16x16_f16 v[12:15], v[72:73], v[26:27], v[12:15]
	;; [unrolled: 1-line block ×6, first 2 shown]
	s_andn2_b64 exec, exec, s[4:5]
	s_cbranch_execz .LBB111_48
.LBB111_6:                              ; =>This Inner Loop Header: Depth=1
	v_readlane_b32 s86, v119, 11
	v_lshl_add_u64 v[22:23], v[20:21], 0, s[64:65]
	global_load_dword v18, v[20:21], off
	global_load_dword v48, v[22:23], off
	v_add_u32_e32 v24, s86, v116
	v_readlane_b32 s86, v119, 12
	v_add_u32_e32 v22, s3, v116
	v_ashrrev_i32_e32 v23, 31, v22
	v_add_u32_e32 v28, s86, v116
	v_readlane_b32 s86, v119, 13
	v_add_u32_e32 v26, s68, v116
	v_lshl_add_u64 v[22:23], v[22:23], 2, s[0:1]
	v_add_u32_e32 v30, s86, v116
	v_readlane_b32 s86, v119, 14
	v_ashrrev_i32_e32 v25, 31, v24
	v_ashrrev_i32_e32 v27, 31, v26
	v_add_u32_e32 v32, s86, v116
	v_ashrrev_i32_e32 v29, 31, v28
	v_ashrrev_i32_e32 v31, 31, v30
	;; [unrolled: 1-line block ×3, first 2 shown]
	v_lshl_add_u64 v[24:25], v[24:25], 2, s[0:1]
	v_lshl_add_u64 v[26:27], v[26:27], 2, s[0:1]
	;; [unrolled: 1-line block ×5, first 2 shown]
	global_load_dword v49, v[22:23], off
	global_load_dword v50, v[24:25], off
	global_load_dword v51, v[26:27], off
	global_load_dword v52, v[28:29], off
	global_load_dword v53, v[30:31], off
	global_load_dword v54, v[32:33], off
	v_readlane_b32 s86, v119, 15
	v_add_u32_e32 v22, s72, v116
	v_add_u32_e32 v38, s80, v116
	;; [unrolled: 1-line block ×3, first 2 shown]
	v_readlane_b32 s86, v119, 16
	v_ashrrev_i32_e32 v23, 31, v22
	v_ashrrev_i32_e32 v25, 31, v24
	v_add_u32_e32 v26, s86, v116
	v_readlane_b32 s86, v119, 17
	v_ashrrev_i32_e32 v27, 31, v26
	v_ashrrev_i32_e32 v39, 31, v38
	v_add_u32_e32 v28, s86, v116
	v_readlane_b32 s86, v119, 18
	v_ashrrev_i32_e32 v29, 31, v28
	v_lshl_add_u64 v[22:23], v[22:23], 2, s[0:1]
	v_add_u32_e32 v30, s86, v116
	v_readlane_b32 s86, v119, 19
	v_ashrrev_i32_e32 v31, 31, v30
	v_lshl_add_u64 v[24:25], v[24:25], 2, s[0:1]
	;; [unrolled: 4-line block ×6, first 2 shown]
	v_add_u32_e32 v42, s86, v116
	v_readlane_b32 s86, v119, 24
	v_lshl_add_u64 v[32:33], v[32:33], 2, s[0:1]
	v_lshl_add_u64 v[34:35], v[34:35], 2, s[0:1]
	v_add_u32_e32 v44, s86, v116
	v_readlane_b32 s86, v119, 25
	v_lshl_add_u64 v[36:37], v[36:37], 2, s[0:1]
	v_lshl_add_u64 v[38:39], v[38:39], 2, s[0:1]
	v_add_u32_e32 v46, s86, v116
	v_readlane_b32 s86, v119, 26
	global_load_dword v55, v[22:23], off
	global_load_dword v56, v[24:25], off
	;; [unrolled: 1-line block ×9, first 2 shown]
	s_nop 0
	global_load_dword v40, v[40:41], off
	v_add_u32_e32 v22, s86, v116
	v_readlane_b32 s86, v119, 27
	v_ashrrev_i32_e32 v43, 31, v42
	v_ashrrev_i32_e32 v45, 31, v44
	v_ashrrev_i32_e32 v47, 31, v46
	v_ashrrev_i32_e32 v23, 31, v22
	v_add_u32_e32 v24, s86, v116
	v_add_u32_e32 v26, s87, v116
	;; [unrolled: 1-line block ×4, first 2 shown]
	v_lshl_add_u64 v[42:43], v[42:43], 2, s[0:1]
	v_lshl_add_u64 v[44:45], v[44:45], 2, s[0:1]
	;; [unrolled: 1-line block ×4, first 2 shown]
	s_waitcnt vmcnt(17)
	ds_write_b32 v117, v18
	s_waitcnt vmcnt(16)
	ds_write_b32 v117, v48 offset:264
	s_waitcnt vmcnt(15)
	ds_write_b32 v117, v49 offset:528
	s_waitcnt vmcnt(14)
	ds_write_b32 v117, v50 offset:792
	s_waitcnt vmcnt(13)
	ds_write_b32 v117, v51 offset:1056
	s_waitcnt vmcnt(12)
	ds_write_b32 v117, v52 offset:1320
	s_waitcnt vmcnt(11)
	ds_write_b32 v117, v53 offset:1584
	s_waitcnt vmcnt(10)
	ds_write_b32 v117, v54 offset:1848
	v_ashrrev_i32_e32 v25, 31, v24
	v_ashrrev_i32_e32 v27, 31, v26
	;; [unrolled: 1-line block ×4, first 2 shown]
	v_lshl_add_u64 v[24:25], v[24:25], 2, s[0:1]
	v_lshl_add_u64 v[26:27], v[26:27], 2, s[0:1]
	;; [unrolled: 1-line block ×4, first 2 shown]
	global_load_dword v18, v[42:43], off
	global_load_dword v41, v[44:45], off
	s_nop 0
	global_load_dword v42, v[46:47], off
	global_load_dword v43, v[22:23], off
	;; [unrolled: 1-line block ×4, first 2 shown]
	s_nop 0
	global_load_dword v46, v[28:29], off
	global_load_dword v47, v[30:31], off
	v_add_u32_e32 v22, s90, v116
	v_ashrrev_i32_e32 v23, 31, v22
	v_add_u32_e32 v24, s91, v116
	v_add_u32_e32 v26, s92, v116
	v_add_u32_e32 v28, s93, v116
	v_add_u32_e32 v30, s94, v116
	v_add_u32_e32 v32, s95, v116
	v_add_u32_e32 v34, s96, v116
	v_add_u32_e32 v36, s97, v116
	v_lshl_add_u64 v[22:23], v[22:23], 2, s[0:1]
	v_ashrrev_i32_e32 v25, 31, v24
	v_ashrrev_i32_e32 v27, 31, v26
	v_ashrrev_i32_e32 v29, 31, v28
	v_ashrrev_i32_e32 v31, 31, v30
	v_ashrrev_i32_e32 v33, 31, v32
	v_ashrrev_i32_e32 v35, 31, v34
	v_ashrrev_i32_e32 v37, 31, v36
	v_lshl_add_u64 v[24:25], v[24:25], 2, s[0:1]
	v_lshl_add_u64 v[26:27], v[26:27], 2, s[0:1]
	v_lshl_add_u64 v[28:29], v[28:29], 2, s[0:1]
	v_lshl_add_u64 v[30:31], v[30:31], 2, s[0:1]
	v_lshl_add_u64 v[32:33], v[32:33], 2, s[0:1]
	v_lshl_add_u64 v[34:35], v[34:35], 2, s[0:1]
	v_lshl_add_u64 v[36:37], v[36:37], 2, s[0:1]
	global_load_dword v48, v[22:23], off
	global_load_dword v49, v[24:25], off
	global_load_dword v50, v[26:27], off
	global_load_dword v51, v[28:29], off
	global_load_dword v52, v[30:31], off
	global_load_dword v53, v[32:33], off
	global_load_dword v64, v[34:35], off
	global_load_dword v65, v[36:37], off
	v_add_u32_e32 v22, s98, v116
	v_ashrrev_i32_e32 v23, 31, v22
	v_add_u32_e32 v24, s99, v116
	v_add_u32_e32 v26, s24, v116
	v_add_u32_e32 v28, s25, v116
	v_add_u32_e32 v30, s22, v116
	v_add_u32_e32 v32, s23, v116
	v_add_u32_e32 v34, s28, v116
	v_add_u32_e32 v36, s29, v116
	v_lshl_add_u64 v[22:23], v[22:23], 2, s[0:1]
	v_ashrrev_i32_e32 v25, 31, v24
	v_ashrrev_i32_e32 v27, 31, v26
	v_ashrrev_i32_e32 v29, 31, v28
	v_ashrrev_i32_e32 v31, 31, v30
	v_ashrrev_i32_e32 v33, 31, v32
	v_ashrrev_i32_e32 v35, 31, v34
	v_ashrrev_i32_e32 v37, 31, v36
	v_lshl_add_u64 v[24:25], v[24:25], 2, s[0:1]
	v_lshl_add_u64 v[26:27], v[26:27], 2, s[0:1]
	v_lshl_add_u64 v[28:29], v[28:29], 2, s[0:1]
	v_lshl_add_u64 v[30:31], v[30:31], 2, s[0:1]
	v_lshl_add_u64 v[32:33], v[32:33], 2, s[0:1]
	v_lshl_add_u64 v[34:35], v[34:35], 2, s[0:1]
	v_lshl_add_u64 v[36:37], v[36:37], 2, s[0:1]
	global_load_dword v66, v[22:23], off
	global_load_dword v67, v[24:25], off
	global_load_dword v68, v[26:27], off
	global_load_dword v69, v[28:29], off
	global_load_dword v70, v[30:31], off
	global_load_dword v71, v[32:33], off
	;; [unrolled: 32-line block ×4, first 2 shown]
	global_load_dword v88, v[34:35], off
	global_load_dword v89, v[36:37], off
	v_add_u32_e32 v22, s81, v116
	v_ashrrev_i32_e32 v23, 31, v22
	v_add_u32_e32 v24, s82, v116
	v_add_u32_e32 v26, s83, v116
	;; [unrolled: 1-line block ×5, first 2 shown]
	v_lshl_add_u64 v[22:23], v[22:23], 2, s[0:1]
	v_ashrrev_i32_e32 v25, 31, v24
	v_ashrrev_i32_e32 v27, 31, v26
	;; [unrolled: 1-line block ×5, first 2 shown]
	v_lshl_add_u64 v[24:25], v[24:25], 2, s[0:1]
	v_lshl_add_u64 v[26:27], v[26:27], 2, s[0:1]
	v_lshl_add_u64 v[28:29], v[28:29], 2, s[0:1]
	v_lshl_add_u64 v[30:31], v[30:31], 2, s[0:1]
	v_lshl_add_u64 v[32:33], v[32:33], 2, s[0:1]
	global_load_dword v90, v[22:23], off
	global_load_dword v91, v[24:25], off
	;; [unrolled: 1-line block ×6, first 2 shown]
	s_waitcnt vmcnt(55)
	ds_write_b32 v117, v55 offset:2112
	s_waitcnt vmcnt(54)
	ds_write_b32 v117, v56 offset:2376
	s_waitcnt vmcnt(53)
	ds_write_b32 v117, v57 offset:2640
	s_waitcnt vmcnt(52)
	ds_write_b32 v117, v58 offset:2904
	s_waitcnt vmcnt(51)
	ds_write_b32 v117, v59 offset:3168
	s_waitcnt vmcnt(50)
	ds_write_b32 v117, v60 offset:3432
	s_waitcnt vmcnt(49)
	ds_write_b32 v117, v61 offset:3696
	s_waitcnt vmcnt(48)
	ds_write_b32 v117, v62 offset:3960
	ds_read_b64 v[38:39], v118
	ds_read_b64 v[34:35], v118 offset:32
	ds_read_b64 v[32:33], v118 offset:64
	ds_read_b64 v[30:31], v118 offset:96
	ds_read_b64 v[28:29], v118 offset:128
	ds_read_b64 v[26:27], v118 offset:160
	ds_read_b64 v[24:25], v118 offset:192
	ds_read_b64 v[22:23], v118 offset:224
	s_waitcnt vmcnt(47)
	ds_write_b32 v117, v63
	s_waitcnt vmcnt(46)
	ds_write_b32 v117, v40 offset:264
	s_waitcnt vmcnt(45)
	ds_write_b32 v117, v18 offset:528
	s_waitcnt vmcnt(44)
	ds_write_b32 v117, v41 offset:792
	s_waitcnt vmcnt(43)
	ds_write_b32 v117, v42 offset:1056
	s_waitcnt vmcnt(42)
	ds_write_b32 v117, v43 offset:1320
	s_waitcnt vmcnt(41)
	ds_write_b32 v117, v44 offset:1584
	s_waitcnt vmcnt(40)
	ds_write_b32 v117, v45 offset:1848
	s_waitcnt vmcnt(39)
	ds_write_b32 v117, v46 offset:2112
	s_waitcnt vmcnt(38)
	ds_write_b32 v117, v47 offset:2376
	s_waitcnt vmcnt(37)
	ds_write_b32 v117, v48 offset:2640
	s_waitcnt vmcnt(36)
	ds_write_b32 v117, v49 offset:2904
	s_waitcnt vmcnt(35)
	ds_write_b32 v117, v50 offset:3168
	s_waitcnt vmcnt(34)
	ds_write_b32 v117, v51 offset:3432
	s_waitcnt vmcnt(33)
	ds_write_b32 v117, v52 offset:3696
	s_waitcnt vmcnt(32)
	ds_write_b32 v117, v53 offset:3960
	ds_read_b64 v[54:55], v118
	ds_read_b64 v[50:51], v118 offset:32
	ds_read_b64 v[48:49], v118 offset:64
	ds_read_b64 v[46:47], v118 offset:96
	ds_read_b64 v[44:45], v118 offset:128
	ds_read_b64 v[42:43], v118 offset:160
	ds_read_b64 v[40:41], v118 offset:192
	ds_read_b64 v[36:37], v118 offset:224
	s_waitcnt vmcnt(31)
	ds_write_b32 v117, v64
	s_waitcnt vmcnt(30)
	ds_write_b32 v117, v65 offset:264
	s_waitcnt vmcnt(29)
	ds_write_b32 v117, v66 offset:528
	s_waitcnt vmcnt(28)
	ds_write_b32 v117, v67 offset:792
	s_waitcnt vmcnt(27)
	ds_write_b32 v117, v68 offset:1056
	s_waitcnt vmcnt(26)
	ds_write_b32 v117, v69 offset:1320
	s_waitcnt vmcnt(25)
	ds_write_b32 v117, v70 offset:1584
	s_waitcnt vmcnt(24)
	ds_write_b32 v117, v71 offset:1848
	;; [unrolled: 40-line block ×3, first 2 shown]
	s_waitcnt vmcnt(7)
	ds_write_b32 v117, v88 offset:2112
	s_waitcnt vmcnt(6)
	ds_write_b32 v117, v89 offset:2376
	;; [unrolled: 2-line block ×8, first 2 shown]
	ds_read_b64 v[84:85], v118
	ds_read_b64 v[82:83], v118 offset:32
	ds_read_b64 v[78:79], v118 offset:64
	;; [unrolled: 1-line block ×7, first 2 shown]
	s_andn2_b64 vcc, exec, s[34:35]
	v_mov_b32_e32 v86, 0
	v_mov_b32_e32 v87, 0
	s_cbranch_vccnz .LBB111_9
; %bb.7:                                ;   in Loop: Header=BB111_6 Depth=1
	s_load_dword vcc_lo, s[36:37], 0x0
	v_mov_b32_e32 v87, 0
	v_mov_b32_e32 v86, 0
	s_waitcnt lgkmcnt(0)
	s_mul_hi_u32 vcc_hi, vcc_lo, s16
	s_add_i32 vcc_hi, vcc_lo, vcc_hi
	s_lshr_b32 s86, vcc_hi, s17
	s_cmp_ge_i32 s86, s13
	s_cbranch_scc1 .LBB111_9
; %bb.8:                                ;   in Loop: Header=BB111_6 Depth=1
	s_mul_i32 vcc_hi, s86, s18
	s_sub_i32 vcc_lo, vcc_lo, vcc_hi
	s_mul_i32 s86, s86, s20
	s_mul_i32 vcc_lo, vcc_lo, s9
	v_add_u32_e32 v18, s86, v116
	v_lshl_add_u32 v86, v18, 1, vcc_lo
	v_ashrrev_i32_e32 v87, 31, v86
	v_lshl_add_u64 v[86:87], v[86:87], 2, s[6:7]
	global_load_dwordx2 v[86:87], v[86:87], off
.LBB111_9:                              ;   in Loop: Header=BB111_6 Depth=1
	s_andn2_b64 vcc, exec, s[38:39]
	v_mov_b32_e32 v88, 0
	v_mov_b32_e32 v90, 0
	v_mov_b32_e32 v91, 0
	s_cbranch_vccnz .LBB111_12
; %bb.10:                               ;   in Loop: Header=BB111_6 Depth=1
	s_load_dword vcc_lo, s[36:37], 0x4
	v_mov_b32_e32 v91, 0
	v_mov_b32_e32 v90, 0
	s_waitcnt lgkmcnt(0)
	s_mul_hi_u32 s86, vcc_lo, s16
	s_add_i32 s86, vcc_lo, s86
	s_lshr_b32 vcc_hi, s86, s17
	s_cmp_ge_i32 vcc_hi, s13
	s_cbranch_scc1 .LBB111_12
; %bb.11:                               ;   in Loop: Header=BB111_6 Depth=1
	s_mul_i32 s86, vcc_hi, s18
	s_sub_i32 s86, vcc_lo, s86
	s_mul_i32 vcc_hi, vcc_hi, s20
	s_mul_i32 s86, s86, s9
	v_add_u32_e32 v18, vcc_hi, v116
	v_lshl_add_u32 v90, v18, 1, s86
	v_ashrrev_i32_e32 v91, 31, v90
	v_lshl_add_u64 v[90:91], v[90:91], 2, s[6:7]
	global_load_dwordx2 v[90:91], v[90:91], off
.LBB111_12:                             ;   in Loop: Header=BB111_6 Depth=1
	s_andn2_b64 vcc, exec, s[40:41]
	v_mov_b32_e32 v89, 0
	s_cbranch_vccnz .LBB111_15
; %bb.13:                               ;   in Loop: Header=BB111_6 Depth=1
	s_load_dword vcc_lo, s[36:37], 0x8
	v_mov_b32_e32 v89, 0
	v_mov_b32_e32 v88, 0
	s_waitcnt lgkmcnt(0)
	s_mul_hi_u32 s86, vcc_lo, s16
	s_add_i32 s86, vcc_lo, s86
	s_lshr_b32 vcc_hi, s86, s17
	s_cmp_ge_i32 vcc_hi, s13
	s_cbranch_scc1 .LBB111_15
; %bb.14:                               ;   in Loop: Header=BB111_6 Depth=1
	s_mul_i32 s86, vcc_hi, s18
	s_sub_i32 s86, vcc_lo, s86
	s_mul_i32 vcc_hi, vcc_hi, s20
	s_mul_i32 s86, s86, s9
	v_add_u32_e32 v18, vcc_hi, v116
	v_lshl_add_u32 v88, v18, 1, s86
	v_ashrrev_i32_e32 v89, 31, v88
	v_lshl_add_u64 v[88:89], v[88:89], 2, s[6:7]
	global_load_dwordx2 v[88:89], v[88:89], off
.LBB111_15:                             ;   in Loop: Header=BB111_6 Depth=1
	s_andn2_b64 vcc, exec, s[42:43]
	v_mov_b32_e32 v92, 0
	v_mov_b32_e32 v94, 0
	v_mov_b32_e32 v95, 0
	s_cbranch_vccnz .LBB111_18
; %bb.16:                               ;   in Loop: Header=BB111_6 Depth=1
	s_load_dword vcc_lo, s[36:37], 0xc
	v_mov_b32_e32 v95, 0
	v_mov_b32_e32 v94, 0
	s_waitcnt lgkmcnt(0)
	s_mul_hi_u32 s86, vcc_lo, s16
	s_add_i32 s86, vcc_lo, s86
	s_lshr_b32 vcc_hi, s86, s17
	s_cmp_ge_i32 vcc_hi, s13
	s_cbranch_scc1 .LBB111_18
; %bb.17:                               ;   in Loop: Header=BB111_6 Depth=1
	s_mul_i32 s86, vcc_hi, s18
	s_sub_i32 s86, vcc_lo, s86
	s_mul_i32 vcc_hi, vcc_hi, s20
	s_mul_i32 s86, s86, s9
	v_add_u32_e32 v18, vcc_hi, v116
	v_lshl_add_u32 v94, v18, 1, s86
	v_ashrrev_i32_e32 v95, 31, v94
	v_lshl_add_u64 v[94:95], v[94:95], 2, s[6:7]
	global_load_dwordx2 v[94:95], v[94:95], off
.LBB111_18:                             ;   in Loop: Header=BB111_6 Depth=1
	s_andn2_b64 vcc, exec, s[44:45]
	v_mov_b32_e32 v93, 0
	s_cbranch_vccnz .LBB111_21
; %bb.19:                               ;   in Loop: Header=BB111_6 Depth=1
	s_load_dword vcc_lo, s[36:37], 0x10
	v_mov_b32_e32 v93, 0
	v_mov_b32_e32 v92, 0
	s_waitcnt lgkmcnt(0)
	s_mul_hi_u32 s86, vcc_lo, s16
	s_add_i32 s86, vcc_lo, s86
	s_lshr_b32 vcc_hi, s86, s17
	s_cmp_ge_i32 vcc_hi, s13
	s_cbranch_scc1 .LBB111_21
; %bb.20:                               ;   in Loop: Header=BB111_6 Depth=1
	s_mul_i32 s86, vcc_hi, s18
	s_sub_i32 s86, vcc_lo, s86
	s_mul_i32 vcc_hi, vcc_hi, s20
	s_mul_i32 s86, s86, s9
	v_add_u32_e32 v18, vcc_hi, v116
	v_lshl_add_u32 v92, v18, 1, s86
	v_ashrrev_i32_e32 v93, 31, v92
	v_lshl_add_u64 v[92:93], v[92:93], 2, s[6:7]
	global_load_dwordx2 v[92:93], v[92:93], off
.LBB111_21:                             ;   in Loop: Header=BB111_6 Depth=1
	;; [unrolled: 50-line block ×6, first 2 shown]
	s_andn2_b64 vcc, exec, s[62:63]
	v_mov_b32_e32 v112, 0
	v_mov_b32_e32 v113, 0
	s_cbranch_vccnz .LBB111_5
; %bb.46:                               ;   in Loop: Header=BB111_6 Depth=1
	s_load_dword vcc_lo, s[36:37], 0x34
	v_mov_b32_e32 v113, 0
	v_mov_b32_e32 v112, 0
	s_waitcnt lgkmcnt(0)
	s_mul_hi_u32 s86, vcc_lo, s16
	s_add_i32 s86, vcc_lo, s86
	s_lshr_b32 vcc_hi, s86, s17
	s_cmp_ge_i32 vcc_hi, s13
	s_cbranch_scc1 .LBB111_5
; %bb.47:                               ;   in Loop: Header=BB111_6 Depth=1
	s_mul_i32 s86, vcc_hi, s18
	s_sub_i32 s86, vcc_lo, s86
	s_mul_i32 vcc_hi, vcc_hi, s20
	s_mul_i32 s86, s86, s9
	v_add_u32_e32 v18, vcc_hi, v116
	v_lshl_add_u32 v112, v18, 1, s86
	v_ashrrev_i32_e32 v113, 31, v112
	v_lshl_add_u64 v[112:113], v[112:113], 2, s[6:7]
	global_load_dwordx2 v[112:113], v[112:113], off
	s_branch .LBB111_5
.LBB111_48:
	s_or_b64 exec, exec, s[4:5]
	v_readlane_b32 s24, v119, 6
	v_readlane_b32 s26, v119, 9
	;; [unrolled: 1-line block ×9, first 2 shown]
.LBB111_49:
	s_or_b64 exec, exec, s[28:29]
	v_mul_u32_u24_e32 v18, 0x508, v115
	v_lshlrev_b32_e32 v19, 2, v114
	v_add3_u32 v18, 0, v18, v19
	v_and_b32_e32 v19, 0x3f0, v17
	v_add_u32_e32 v19, v18, v19
	s_lshl_b64 s[0:1], s[26:27], 2
	s_barrier
	ds_write2_b32 v19, v8, v9 offset1:1
	ds_write_b32 v19, v10 offset:8
	v_or_b32_e32 v8, 12, v17
	s_add_u32 s4, s22, s0
	v_and_b32_e32 v8, 0x3fc, v8
	s_addc_u32 s5, s23, s1
	v_add_u32_e32 v8, v18, v8
	ds_write_b32 v8, v11
	ds_write2_b32 v19, v4, v5 offset0:16 offset1:17
	ds_write_b32 v19, v6 offset:72
	ds_write_b32 v8, v7 offset:64
	ds_write2_b32 v19, v0, v1 offset0:32 offset1:33
	ds_write_b32 v19, v2 offset:136
	ds_write_b32 v8, v3 offset:128
	ds_write2_b32 v19, v12, v13 offset0:48 offset1:49
	ds_write_b32 v19, v14 offset:200
	ds_write_b32 v8, v15 offset:192
	s_cmp_gt_i32 s14, 0
	v_add_u32_e32 v0, s2, v16
	s_cselect_b64 s[6:7], -1, 0
	v_cmp_gt_i32_e64 s[0:1], s33, v0
	v_cmp_gt_u32_e32 vcc, 14, v16
	s_and_b64 s[0:1], s[6:7], s[0:1]
	v_lshl_add_u32 v3, v17, 2, 0
	v_add_u32_e32 v2, s11, v17
	v_mul_u32_u24_e32 v4, 0x508, v16
	s_and_b64 s[8:9], vcc, s[0:1]
	s_waitcnt lgkmcnt(0)
	s_barrier
	s_and_saveexec_b64 s[0:1], s[8:9]
	s_cbranch_execz .LBB111_52
; %bb.50:
	v_ashrrev_i32_e32 v1, 31, v0
	v_lshl_add_u64 v[6:7], v[0:1], 2, s[4:5]
	global_load_dword v5, v[6:7], off
	s_waitcnt vmcnt(0)
	v_mul_hi_u32 v1, v5, s19
	v_add_u32_e32 v1, v5, v1
	v_lshrrev_b32_e32 v1, s24, v1
	v_cmp_gt_i32_e32 vcc, s13, v1
	s_and_b64 exec, exec, vcc
	s_cbranch_execz .LBB111_52
; %bb.51:
	v_add_u32_e32 v10, v3, v4
	ds_read2st64_b32 v[6:7], v10 offset1:1
	ds_read2st64_b32 v[8:9], v10 offset0:2 offset1:3
	ds_read_b32 v10, v10 offset:1024
	v_mul_lo_u32 v11, v1, s25
	v_sub_u32_e32 v5, v5, v11
	v_mul_lo_u32 v5, v5, s10
	s_waitcnt lgkmcnt(2)
	v_add_f32_e32 v6, 0, v6
	v_add_f32_e32 v6, v6, v7
	s_waitcnt lgkmcnt(1)
	v_add_f32_e32 v6, v6, v8
	v_add_f32_e32 v6, v6, v9
	v_mul_lo_u32 v1, v1, s21
	v_readlane_b32 s8, v119, 0
	s_waitcnt lgkmcnt(0)
	v_add_f32_e32 v8, v6, v10
	v_add3_u32 v6, v2, v1, v5
	v_mov_b32_e32 v7, 0
	v_readlane_b32 s9, v119, 1
	s_nop 1
	v_lshl_add_u64 v[6:7], v[6:7], 2, s[8:9]
	global_store_dword v[6:7], v8, off
.LBB111_52:
	s_or_b64 exec, exec, s[0:1]
	v_add_u32_e32 v1, 5, v0
	v_cmp_gt_i32_e64 s[0:1], s33, v1
	v_cmp_gt_u32_e32 vcc, 9, v16
	s_and_b64 s[0:1], s[6:7], s[0:1]
	s_and_b64 s[8:9], vcc, s[0:1]
	s_and_saveexec_b64 s[0:1], s[8:9]
	s_cbranch_execz .LBB111_55
; %bb.53:
	s_ashr_i32 s3, s2, 31
	v_mov_b32_e32 v17, 0
	v_lshl_add_u64 v[6:7], v[16:17], 0, s[2:3]
	v_lshl_add_u64 v[6:7], v[6:7], 2, s[4:5]
	global_load_dword v5, v[6:7], off offset:20
	s_waitcnt vmcnt(0)
	v_mul_hi_u32 v1, v5, s19
	v_add_u32_e32 v1, v5, v1
	v_lshrrev_b32_e32 v1, s24, v1
	v_cmp_gt_i32_e32 vcc, s13, v1
	s_and_b64 exec, exec, vcc
	s_cbranch_execz .LBB111_55
; %bb.54:
	v_add_u32_e32 v10, v4, v3
	v_add_u32_e32 v8, 40, v10
	ds_read2st64_b32 v[6:7], v8 offset0:25 offset1:26
	ds_read2st64_b32 v[8:9], v8 offset0:27 offset1:28
	ds_read_b32 v10, v10 offset:7464
	v_mul_lo_u32 v11, v1, s25
	v_sub_u32_e32 v5, v5, v11
	v_mul_lo_u32 v5, v5, s10
	s_waitcnt lgkmcnt(2)
	v_add_f32_e32 v6, 0, v6
	v_add_f32_e32 v6, v6, v7
	s_waitcnt lgkmcnt(1)
	v_add_f32_e32 v6, v6, v8
	v_add_f32_e32 v6, v6, v9
	v_mul_lo_u32 v1, v1, s21
	v_readlane_b32 s8, v119, 0
	s_waitcnt lgkmcnt(0)
	v_add_f32_e32 v8, v6, v10
	v_add3_u32 v6, v2, v1, v5
	v_mov_b32_e32 v7, v17
	v_readlane_b32 s9, v119, 1
	s_nop 1
	v_lshl_add_u64 v[6:7], v[6:7], 2, s[8:9]
	global_store_dword v[6:7], v8, off
.LBB111_55:
	s_or_b64 exec, exec, s[0:1]
	v_cmp_gt_u32_e32 vcc, 4, v16
	s_and_saveexec_b64 s[0:1], vcc
	s_cbranch_execz .LBB111_59
; %bb.56:
	v_add_u32_e32 v0, 10, v0
	v_cmp_gt_i32_e32 vcc, s33, v0
	s_and_b64 s[0:1], s[6:7], vcc
	s_and_b64 exec, exec, s[0:1]
	s_cbranch_execz .LBB111_59
; %bb.57:
	s_ashr_i32 s3, s2, 31
	v_mov_b32_e32 v17, 0
	v_lshl_add_u64 v[0:1], v[16:17], 0, s[2:3]
	v_lshl_add_u64 v[0:1], v[0:1], 2, s[4:5]
	global_load_dword v1, v[0:1], off offset:40
	s_waitcnt vmcnt(0)
	v_mul_hi_u32 v0, v1, s19
	v_add_u32_e32 v0, v1, v0
	v_lshrrev_b32_e32 v0, s24, v0
	v_cmp_gt_i32_e32 vcc, s13, v0
	s_and_b64 exec, exec, vcc
	s_cbranch_execz .LBB111_59
; %bb.58:
	v_add_u32_e32 v3, v3, v4
	v_add_u32_e32 v6, 0x50, v3
	ds_read2st64_b32 v[4:5], v6 offset0:50 offset1:51
	ds_read2st64_b32 v[6:7], v6 offset0:52 offset1:53
	ds_read_b32 v3, v3 offset:13904
	v_mul_lo_u32 v8, v0, s25
	v_sub_u32_e32 v1, v1, v8
	v_mul_lo_u32 v1, v1, s10
	s_waitcnt lgkmcnt(2)
	v_add_f32_e32 v4, 0, v4
	v_add_f32_e32 v4, v4, v5
	s_waitcnt lgkmcnt(1)
	v_add_f32_e32 v4, v4, v6
	v_mul_lo_u32 v0, v0, s21
	v_readlane_b32 s0, v119, 0
	v_add_f32_e32 v4, v4, v7
	v_add3_u32 v16, v2, v0, v1
	v_readlane_b32 s1, v119, 1
	s_waitcnt lgkmcnt(0)
	v_add_f32_e32 v3, v4, v3
	v_lshl_add_u64 v[0:1], v[16:17], 2, s[0:1]
	global_store_dword v[0:1], v3, off
.LBB111_59:
	s_endpgm
	.section	.rodata,"a",@progbits
	.p2align	6, 0x0
	.amdhsa_kernel _ZL13mul_mat_f_idsI7__half2Li64ELi14ELi5EEvPKT_PKfPKiS7_S7_Pfiiiiiiiiiiiiii15HIP_vector_typeIjLj3EESA_
		.amdhsa_group_segment_fixed_size 0
		.amdhsa_private_segment_fixed_size 0
		.amdhsa_kernarg_size 128
		.amdhsa_user_sgpr_count 2
		.amdhsa_user_sgpr_dispatch_ptr 0
		.amdhsa_user_sgpr_queue_ptr 0
		.amdhsa_user_sgpr_kernarg_segment_ptr 1
		.amdhsa_user_sgpr_dispatch_id 0
		.amdhsa_user_sgpr_kernarg_preload_length 0
		.amdhsa_user_sgpr_kernarg_preload_offset 0
		.amdhsa_user_sgpr_private_segment_size 0
		.amdhsa_uses_dynamic_stack 0
		.amdhsa_enable_private_segment 0
		.amdhsa_system_sgpr_workgroup_id_x 1
		.amdhsa_system_sgpr_workgroup_id_y 1
		.amdhsa_system_sgpr_workgroup_id_z 1
		.amdhsa_system_sgpr_workgroup_info 0
		.amdhsa_system_vgpr_workitem_id 1
		.amdhsa_next_free_vgpr 120
		.amdhsa_next_free_sgpr 100
		.amdhsa_accum_offset 120
		.amdhsa_reserve_vcc 1
		.amdhsa_float_round_mode_32 0
		.amdhsa_float_round_mode_16_64 0
		.amdhsa_float_denorm_mode_32 3
		.amdhsa_float_denorm_mode_16_64 3
		.amdhsa_dx10_clamp 1
		.amdhsa_ieee_mode 1
		.amdhsa_fp16_overflow 0
		.amdhsa_tg_split 0
		.amdhsa_exception_fp_ieee_invalid_op 0
		.amdhsa_exception_fp_denorm_src 0
		.amdhsa_exception_fp_ieee_div_zero 0
		.amdhsa_exception_fp_ieee_overflow 0
		.amdhsa_exception_fp_ieee_underflow 0
		.amdhsa_exception_fp_ieee_inexact 0
		.amdhsa_exception_int_div_zero 0
	.end_amdhsa_kernel
	.section	.text._ZL13mul_mat_f_idsI7__half2Li64ELi14ELi5EEvPKT_PKfPKiS7_S7_Pfiiiiiiiiiiiiii15HIP_vector_typeIjLj3EESA_,"axG",@progbits,_ZL13mul_mat_f_idsI7__half2Li64ELi14ELi5EEvPKT_PKfPKiS7_S7_Pfiiiiiiiiiiiiii15HIP_vector_typeIjLj3EESA_,comdat
.Lfunc_end111:
	.size	_ZL13mul_mat_f_idsI7__half2Li64ELi14ELi5EEvPKT_PKfPKiS7_S7_Pfiiiiiiiiiiiiii15HIP_vector_typeIjLj3EESA_, .Lfunc_end111-_ZL13mul_mat_f_idsI7__half2Li64ELi14ELi5EEvPKT_PKfPKiS7_S7_Pfiiiiiiiiiiiiii15HIP_vector_typeIjLj3EESA_
                                        ; -- End function
	.section	.AMDGPU.csdata,"",@progbits
; Kernel info:
; codeLenInByte = 6956
; NumSgprs: 106
; NumVgprs: 120
; NumAgprs: 0
; TotalNumVgprs: 120
; ScratchSize: 0
; MemoryBound: 0
; FloatMode: 240
; IeeeMode: 1
; LDSByteSize: 0 bytes/workgroup (compile time only)
; SGPRBlocks: 13
; VGPRBlocks: 14
; NumSGPRsForWavesPerEU: 106
; NumVGPRsForWavesPerEU: 120
; AccumOffset: 120
; Occupancy: 4
; WaveLimiterHint : 1
; COMPUTE_PGM_RSRC2:SCRATCH_EN: 0
; COMPUTE_PGM_RSRC2:USER_SGPR: 2
; COMPUTE_PGM_RSRC2:TRAP_HANDLER: 0
; COMPUTE_PGM_RSRC2:TGID_X_EN: 1
; COMPUTE_PGM_RSRC2:TGID_Y_EN: 1
; COMPUTE_PGM_RSRC2:TGID_Z_EN: 1
; COMPUTE_PGM_RSRC2:TIDIG_COMP_CNT: 1
; COMPUTE_PGM_RSRC3_GFX90A:ACCUM_OFFSET: 29
; COMPUTE_PGM_RSRC3_GFX90A:TG_SPLIT: 0
	.section	.text._ZL9mul_mat_fI7__half2Li64ELi14ELi5ELb1EEvPKT_PKfPKiPfiiiiiiiiiiiiiiii,"axG",@progbits,_ZL9mul_mat_fI7__half2Li64ELi14ELi5ELb1EEvPKT_PKfPKiPfiiiiiiiiiiiiiiii,comdat
	.globl	_ZL9mul_mat_fI7__half2Li64ELi14ELi5ELb1EEvPKT_PKfPKiPfiiiiiiiiiiiiiiii ; -- Begin function _ZL9mul_mat_fI7__half2Li64ELi14ELi5ELb1EEvPKT_PKfPKiPfiiiiiiiiiiiiiiii
	.p2align	8
	.type	_ZL9mul_mat_fI7__half2Li64ELi14ELi5ELb1EEvPKT_PKfPKiPfiiiiiiiiiiiiiiii,@function
_ZL9mul_mat_fI7__half2Li64ELi14ELi5ELb1EEvPKT_PKfPKiPfiiiiiiiiiiiiiiii: ; @_ZL9mul_mat_fI7__half2Li64ELi14ELi5ELb1EEvPKT_PKfPKiPfiiiiiiiiiiiiiiii
; %bb.0:
	s_load_dwordx8 s[44:51], s[0:1], 0x20
	s_load_dword s7, s[0:1], 0x64
	s_load_dwordx4 s[52:55], s[0:1], 0x44
	s_load_dwordx2 s[8:9], s[0:1], 0x10
	v_and_b32_e32 v16, 0x3ff, v0
	v_bfe_u32 v17, v0, 10, 10
	s_waitcnt lgkmcnt(0)
	s_add_i32 s6, s45, 13
	s_mul_hi_i32 s5, s6, 0x92492493
	s_add_i32 s5, s5, s6
	s_lshr_b32 s6, s5, 31
	s_ashr_i32 s5, s5, 3
	s_add_i32 s5, s5, s6
	v_cvt_f32_u32_e32 v1, s5
	s_add_u32 s12, s0, 0x60
	s_addc_u32 s13, s1, 0
	s_sub_i32 s6, 0, s5
	v_rcp_iflag_f32_e32 v1, v1
	s_abs_i32 s22, s55
	v_mul_f32_e32 v1, 0x4f7ffffe, v1
	v_cvt_u32_f32_e32 v1, v1
	v_mul_lo_u32 v2, s6, v1
	v_mul_hi_u32 v2, v1, v2
	v_add_u32_e32 v1, v1, v2
	v_mul_hi_u32 v1, s7, v1
	v_mul_lo_u32 v2, v1, s5
	v_sub_u32_e32 v2, s7, v2
	v_add_u32_e32 v3, 1, v1
	v_subrev_u32_e32 v4, s5, v2
	v_cmp_le_u32_e32 vcc, s5, v2
	s_nop 1
	v_cndmask_b32_e32 v1, v1, v3, vcc
	v_cndmask_b32_e32 v2, v2, v4, vcc
	v_add_u32_e32 v3, 1, v1
	v_cmp_le_u32_e32 vcc, s5, v2
	s_nop 1
	v_cndmask_b32_e32 v1, v1, v3, vcc
	v_cvt_f32_u32_e32 v2, v1
	v_cvt_f32_u32_e32 v3, s22
	v_sub_u32_e32 v4, 0, v1
	v_cmp_eq_u32_e32 vcc, 0, v16
	v_rcp_iflag_f32_e32 v2, v2
	v_rcp_iflag_f32_e32 v3, v3
	v_mul_f32_e32 v2, 0x4f7ffffe, v2
	v_cvt_u32_f32_e32 v2, v2
	v_mul_lo_u32 v4, v4, v2
	v_mul_hi_u32 v4, v2, v4
	v_add_u32_e32 v2, v2, v4
	v_mul_hi_u32 v2, s3, v2
	s_and_saveexec_b64 s[6:7], vcc
	s_cbranch_execz .LBB112_2
; %bb.1:
	v_mov_b32_e32 v4, 0x100
	v_lshl_add_u32 v4, v17, 2, v4
	v_mov_b32_e32 v5, -1
	ds_write_b32 v4, v5
.LBB112_2:
	s_or_b64 exec, exec, s[6:7]
	v_mul_f32_e32 v8, 0x4f7ffffe, v3
	v_mul_lo_u32 v3, v2, v1
	v_sub_u32_e32 v3, s3, v3
	v_add_u32_e32 v4, 1, v2
	v_sub_u32_e32 v5, v3, v1
	v_cmp_ge_u32_e64 s[6:7], v3, v1
	s_nop 1
	v_cndmask_b32_e64 v2, v2, v4, s[6:7]
	v_cndmask_b32_e64 v3, v3, v5, s[6:7]
	v_add_u32_e32 v4, 1, v2
	v_cmp_ge_u32_e64 s[6:7], v3, v1
	s_nop 1
	v_cndmask_b32_e64 v2, v2, v4, s[6:7]
	v_mul_lo_u32 v94, v2, 14
	v_mul_lo_u32 v1, v2, v1
	v_mul_hi_i32 v3, v94, s51
	v_mul_lo_u32 v2, v94, s51
	v_sub_u32_e32 v18, s3, v1
	v_lshlrev_b64 v[2:3], 2, v[2:3]
	v_add_u32_e32 v1, v17, v94
	v_lshl_add_u64 v[2:3], s[8:9], 0, v[2:3]
	v_cmp_gt_i32_e64 s[6:7], s46, v16
	v_cmp_gt_i32_e64 s[24:25], s45, v1
	v_mov_b32_e32 v1, 0
	s_and_saveexec_b64 s[14:15], s[24:25]
	s_cbranch_execz .LBB112_10
; %bb.3:
	v_mov_b32_e32 v1, 0
	s_and_saveexec_b64 s[16:17], s[6:7]
	s_cbranch_execz .LBB112_9
; %bb.4:
	v_mul_lo_u32 v4, v17, s51
	v_ashrrev_i32_e32 v5, 31, v4
	v_mov_b32_e32 v1, 0x100
	v_lshl_add_u64 v[4:5], v[4:5], 2, v[2:3]
	v_lshl_add_u32 v9, v17, 2, v1
	v_mul_lo_u32 v6, v16, s50
	s_lshl_b32 s3, s50, 6
	s_mov_b64 s[18:19], 0
	v_mov_b32_e32 v1, 0
	v_mov_b32_e32 v10, v16
	s_branch .LBB112_6
.LBB112_5:                              ;   in Loop: Header=BB112_6 Depth=1
	s_or_b64 exec, exec, s[20:21]
	v_add_u32_e32 v10, 64, v10
	v_cmp_le_i32_e64 s[10:11], s46, v10
	s_xor_b64 s[8:9], s[8:9], -1
	s_or_b64 s[8:9], s[8:9], s[10:11]
	s_and_b64 s[8:9], exec, s[8:9]
	s_or_b64 s[18:19], s[8:9], s[18:19]
	v_add_u32_e32 v6, s3, v6
	s_andn2_b64 exec, exec, s[18:19]
	s_cbranch_execz .LBB112_8
.LBB112_6:                              ; =>This Inner Loop Header: Depth=1
	v_ashrrev_i32_e32 v7, 31, v6
	v_lshl_add_u64 v[12:13], v[6:7], 2, v[4:5]
	global_load_dword v7, v[12:13], off
	s_waitcnt vmcnt(0)
	v_cmp_ne_u32_e64 s[8:9], v7, v18
	v_cmp_eq_u32_e64 s[10:11], v7, v18
	s_and_saveexec_b64 s[20:21], s[10:11]
	s_cbranch_execz .LBB112_5
; %bb.7:                                ;   in Loop: Header=BB112_6 Depth=1
	v_mov_b32_e32 v1, 1
	ds_write_b32 v9, v10
	s_branch .LBB112_5
.LBB112_8:
	s_or_b64 exec, exec, s[18:19]
.LBB112_9:
	s_or_b64 exec, exec, s[16:17]
.LBB112_10:
	s_or_b64 exec, exec, s[14:15]
	v_cvt_u32_f32_e32 v8, v8
	s_sub_i32 s3, 0, s22
	s_and_saveexec_b64 s[8:9], vcc
	s_cbranch_execz .LBB112_12
; %bb.11:
	v_mov_b32_e32 v4, 0x100
	v_lshl_add_u32 v4, v17, 2, v4
	v_mov_b32_e32 v5, -1
	ds_write_b32 v4, v5 offset:20
.LBB112_12:
	s_or_b64 exec, exec, s[8:9]
	v_add_u32_e32 v95, 5, v17
	v_mul_lo_u32 v9, s3, v8
	v_add_u32_e32 v4, v95, v94
	v_cmp_gt_i32_e64 s[8:9], s45, v4
	s_mov_b64 s[14:15], exec
                                        ; implicit-def: $vgpr110 : SGPR spill to VGPR lane
	s_nop 0
	v_writelane_b32 v110, s8, 0
	s_nop 1
	v_writelane_b32 v110, s9, 1
	s_and_b64 s[8:9], s[14:15], s[8:9]
	s_mov_b64 exec, s[8:9]
	s_cbranch_execz .LBB112_20
; %bb.13:
	s_and_saveexec_b64 s[16:17], s[6:7]
	s_cbranch_execz .LBB112_19
; %bb.14:
	v_mul_lo_u32 v4, v95, s51
	v_ashrrev_i32_e32 v5, 31, v4
	v_mov_b32_e32 v6, 0x100
	v_lshl_add_u64 v[4:5], v[4:5], 2, v[2:3]
	v_lshl_add_u32 v10, v17, 2, v6
	v_mul_lo_u32 v6, v16, s50
	s_lshl_b32 s3, s50, 6
	s_mov_b64 s[18:19], 0
	v_mov_b32_e32 v11, v16
	s_branch .LBB112_16
.LBB112_15:                             ;   in Loop: Header=BB112_16 Depth=1
	s_or_b64 exec, exec, s[20:21]
	v_add_u32_e32 v11, 64, v11
	v_cmp_le_i32_e64 s[10:11], s46, v11
	s_xor_b64 s[8:9], s[8:9], -1
	s_or_b64 s[8:9], s[8:9], s[10:11]
	s_and_b64 s[8:9], exec, s[8:9]
	s_or_b64 s[18:19], s[8:9], s[18:19]
	v_add_u32_e32 v6, s3, v6
	s_andn2_b64 exec, exec, s[18:19]
	s_cbranch_execz .LBB112_18
.LBB112_16:                             ; =>This Inner Loop Header: Depth=1
	v_ashrrev_i32_e32 v7, 31, v6
	v_lshl_add_u64 v[12:13], v[6:7], 2, v[4:5]
	global_load_dword v7, v[12:13], off
	s_waitcnt vmcnt(0)
	v_cmp_ne_u32_e64 s[8:9], v7, v18
	v_cmp_eq_u32_e64 s[10:11], v7, v18
	s_and_saveexec_b64 s[20:21], s[10:11]
	s_cbranch_execz .LBB112_15
; %bb.17:                               ;   in Loop: Header=BB112_16 Depth=1
	v_mov_b32_e32 v1, 1
	ds_write_b32 v10, v11 offset:20
	s_branch .LBB112_15
.LBB112_18:
	s_or_b64 exec, exec, s[18:19]
.LBB112_19:
	s_or_b64 exec, exec, s[16:17]
.LBB112_20:
	s_or_b64 exec, exec, s[14:15]
	v_mul_hi_u32 v4, v8, v9
	s_and_saveexec_b64 s[8:9], vcc
	s_cbranch_execz .LBB112_22
; %bb.21:
	v_mov_b32_e32 v5, 0x100
	v_lshl_add_u32 v5, v17, 2, v5
	v_mov_b32_e32 v6, -1
	ds_write_b32 v5, v6 offset:40
.LBB112_22:
	s_or_b64 exec, exec, s[8:9]
	s_load_dwordx4 s[28:31], s[0:1], 0x54
	v_add_u32_e32 v96, 10, v17
	s_abs_i32 s3, s4
	v_add_u32_e32 v6, v8, v4
	v_add_u32_e32 v4, v96, v94
	v_cmp_gt_i32_e64 s[10:11], s45, v4
	s_mov_b64 s[8:9], exec
	s_nop 0
	v_writelane_b32 v110, s10, 2
	s_nop 1
	v_writelane_b32 v110, s11, 3
	s_and_b64 s[10:11], s[8:9], s[10:11]
	s_mov_b64 exec, s[10:11]
	s_cbranch_execz .LBB112_30
; %bb.23:
	s_and_saveexec_b64 s[10:11], s[6:7]
	s_cbranch_execz .LBB112_29
; %bb.24:
	v_mul_lo_u32 v4, v96, s51
	v_ashrrev_i32_e32 v5, 31, v4
	v_lshl_add_u64 v[2:3], v[4:5], 2, v[2:3]
	v_mov_b32_e32 v4, 0x100
	v_lshl_add_u32 v7, v17, 2, v4
	v_mul_lo_u32 v4, v16, s50
	s_lshl_b32 s5, s50, 6
	s_mov_b64 s[14:15], 0
	v_mov_b32_e32 v8, v16
	s_branch .LBB112_26
.LBB112_25:                             ;   in Loop: Header=BB112_26 Depth=1
	s_or_b64 exec, exec, s[16:17]
	v_add_u32_e32 v8, 64, v8
	v_cmp_le_i32_e64 s[6:7], s46, v8
	s_xor_b64 s[16:17], vcc, -1
	s_or_b64 s[6:7], s[16:17], s[6:7]
	s_and_b64 s[6:7], exec, s[6:7]
	s_or_b64 s[14:15], s[6:7], s[14:15]
	v_add_u32_e32 v4, s5, v4
	s_andn2_b64 exec, exec, s[14:15]
	s_cbranch_execz .LBB112_28
.LBB112_26:                             ; =>This Inner Loop Header: Depth=1
	v_ashrrev_i32_e32 v5, 31, v4
	v_lshl_add_u64 v[10:11], v[4:5], 2, v[2:3]
	global_load_dword v5, v[10:11], off
	s_waitcnt vmcnt(0)
	v_cmp_ne_u32_e32 vcc, v5, v18
	v_cmp_eq_u32_e64 s[6:7], v5, v18
	s_and_saveexec_b64 s[16:17], s[6:7]
	s_cbranch_execz .LBB112_25
; %bb.27:                               ;   in Loop: Header=BB112_26 Depth=1
	v_mov_b32_e32 v1, 1
	ds_write_b32 v7, v8 offset:40
	s_branch .LBB112_25
.LBB112_28:
	s_or_b64 exec, exec, s[14:15]
.LBB112_29:
	s_or_b64 exec, exec, s[10:11]
.LBB112_30:
	s_or_b64 exec, exec, s[8:9]
	s_load_dwordx2 s[6:7], s[12:13], 0xc
	s_load_dwordx2 s[8:9], s[0:1], 0x8
	s_load_dwordx2 s[10:11], s[0:1], 0x18
	v_cmp_ne_u32_e32 vcc, 0, v1
	v_mul_hi_u32 v19, s3, v6
	s_waitcnt lgkmcnt(0)
	s_and_b32 s5, s7, 0xffff
	v_cndmask_b32_e64 v1, 0, 1, vcc
	v_writelane_b32 v110, s10, 4
	s_lshr_b32 s7, s6, 16
	v_or_b32_dpp v1, v1, v1 row_shl:1 row_mask:0xf bank_mask:0xf bound_ctrl:1
	s_and_b32 s6, s6, 0xffff
	v_writelane_b32 v110, s11, 5
	v_or_b32_dpp v1, v1, v1 row_shl:2 row_mask:0xf bank_mask:0xf bound_ctrl:1
	s_mul_i32 s10, s7, s6
	s_bfe_i32 s10, s10, 0x180000
	v_or_b32_dpp v1, v1, v1 row_shl:4 row_mask:0xf bank_mask:0xf bound_ctrl:1
	s_mul_i32 s5, s10, s5
	s_add_i32 s10, s5, 63
	v_or_b32_dpp v1, v1, v1 row_shl:8 row_mask:0xf bank_mask:0xf bound_ctrl:1
	s_bitcmp1_b32 exec_hi, 0
                                        ; kill: killed $sgpr12 killed $sgpr13
	s_nop 0
	v_mov_b32_dpp v2, v1 wave_shl:1 row_mask:0xf bank_mask:0xf bound_ctrl:1
	s_nop 1
	v_or_b32_dpp v1, v2, v1 row_mirror row_mask:0xf bank_mask:0xf bound_ctrl:1
	s_nop 0
	v_readlane_b32 s5, v1, 32
	s_cselect_b32 s5, s5, 0
	v_readlane_b32 s11, v1, 0
	s_or_b32 s5, s5, s11
	s_andn2_b32 s10, s10, 63
	s_cmp_lg_u32 s10, 64
	v_mov_b32_e32 v1, s5
	s_cbranch_scc0 .LBB112_37
; %bb.31:
	v_bfe_u32 v0, v0, 20, 10
	v_mbcnt_lo_u32_b32 v1, -1, 0
	v_mad_u32_u24 v0, v0, s7, v17
	v_mbcnt_hi_u32_b32 v2, -1, v1
	v_mad_u64_u32 v[0:1], s[6:7], v0, s6, v[16:17]
	v_lshrrev_b32_e32 v1, 6, v0
	v_or_b32_e32 v1, v2, v1
	v_cmp_eq_u32_e32 vcc, 0, v1
	s_and_saveexec_b64 s[6:7], vcc
	s_cbranch_execz .LBB112_33
; %bb.32:
	v_mov_b32_e32 v1, 0
	v_mov_b32_e32 v3, s5
	ds_write_b32 v1, v3
.LBB112_33:
	s_or_b64 exec, exec, s[6:7]
	v_cmp_eq_u32_e32 vcc, 0, v2
	v_cmp_lt_u32_e64 s[6:7], 63, v0
	s_and_b64 s[10:11], s[6:7], vcc
	s_waitcnt lgkmcnt(0)
	s_barrier
	s_and_saveexec_b64 s[6:7], s[10:11]
	s_cbranch_execz .LBB112_36
; %bb.34:
	v_mbcnt_lo_u32_b32 v0, exec_lo, 0
	v_mbcnt_hi_u32_b32 v0, exec_hi, v0
	v_cmp_eq_u32_e32 vcc, 0, v0
	s_and_b64 exec, exec, vcc
	s_cbranch_execz .LBB112_36
; %bb.35:
	v_mov_b32_e32 v0, 0
	v_mov_b32_e32 v1, s5
	ds_or_b32 v0, v1
.LBB112_36:
	s_or_b64 exec, exec, s[6:7]
	v_mov_b32_e32 v0, 0
	s_waitcnt lgkmcnt(0)
	s_barrier
	ds_read_b32 v1, v0
	s_waitcnt lgkmcnt(0)
	s_barrier
.LBB112_37:
	s_load_dwordx2 s[6:7], s[0:1], 0x0
	v_cmp_ne_u32_e32 vcc, 0, v1
	s_ashr_i32 s5, s4, 31
	s_ashr_i32 s10, s55, 31
	s_cbranch_vccz .LBB112_97
; %bb.38:
	v_lshlrev_b32_e32 v97, 6, v17
	v_add_u32_e32 v99, v97, v16
	v_cmp_le_i32_e32 vcc, s44, v99
	v_and_b32_e32 v98, 15, v16
                                        ; implicit-def: $sgpr11
	s_and_saveexec_b64 s[0:1], vcc
	s_xor_b64 s[0:1], exec, s[0:1]
; %bb.39:
	v_and_b32_e32 v98, 15, v16
	s_mov_b32 s11, 0
                                        ; implicit-def: $vgpr99
                                        ; implicit-def: $vgpr19
                                        ; implicit-def: $vgpr18
; %bb.40:
	s_or_saveexec_b64 s[0:1], s[0:1]
	s_lshl_b32 s12, s2, 6
	v_mov_b32_e32 v11, s11
	v_mov_b32_e32 v10, s11
	;; [unrolled: 1-line block ×16, first 2 shown]
	v_writelane_b32 v110, s0, 6
	s_nop 1
	v_writelane_b32 v110, s1, 7
	s_xor_b64 exec, exec, s[0:1]
	s_cbranch_execz .LBB112_86
; %bb.41:
	v_mul_lo_u32 v0, v19, s22
	v_sub_u32_e32 v0, s3, v0
	v_add_u32_e32 v1, 1, v19
	v_subrev_u32_e32 v2, s22, v0
	v_cmp_le_u32_e32 vcc, s22, v0
	s_xor_b32 s0, s5, s10
	v_writelane_b32 v110, s24, 8
	v_cndmask_b32_e32 v1, v19, v1, vcc
	v_cndmask_b32_e32 v0, v0, v2, vcc
	v_add_u32_e32 v2, 1, v1
	v_cmp_le_u32_e32 vcc, s22, v0
	v_writelane_b32 v110, s25, 9
	v_writelane_b32 v110, s12, 10
	v_cndmask_b32_e32 v0, v1, v2, vcc
	v_xor_b32_e32 v0, s0, v0
	v_subrev_u32_e32 v0, s0, v0
	v_mul_hi_i32 v1, v0, s28
	v_mul_lo_u32 v0, v0, s28
	v_mul_lo_u32 v2, v18, s52
	v_ashrrev_i32_e32 v3, 31, v2
	s_mul_i32 s0, s12, s47
	v_lshlrev_b64 v[0:1], 2, v[0:1]
	s_movk_i32 s2, 0x1080
	v_mov_b32_e32 v100, 0x100
	v_writelane_b32 v110, s4, 11
	s_waitcnt lgkmcnt(0)
	v_lshl_add_u64 v[4:5], s[6:7], 0, v[0:1]
	v_lshlrev_b64 v[2:3], 2, v[2:3]
	s_ashr_i32 s1, s0, 31
	v_mad_u32_u24 v6, v17, s2, v100
	s_mul_hi_i32 s3, s29, s4
	v_writelane_b32 v110, s28, 12
	s_mul_i32 s2, s29, s4
	v_lshl_add_u64 v[4:5], v[4:5], 0, v[2:3]
	s_lshl_b64 s[0:1], s[0:1], 2
	s_lshl_b64 s[2:3], s[2:3], 2
	v_lshl_add_u64 v[18:19], v[4:5], 0, s[0:1]
	v_writelane_b32 v110, s29, 13
	v_mul_hi_i32 v5, s48, v94
	v_mul_lo_u32 v4, s48, v94
	s_add_u32 s2, s8, s2
	v_writelane_b32 v110, s30, 14
	v_lshlrev_b64 v[4:5], 3, v[4:5]
	s_addc_u32 s3, s9, s3
	v_writelane_b32 v110, s31, 15
	v_lshl_add_u64 v[20:21], s[2:3], 0, v[4:5]
	s_lshl_b32 s2, s48, 3
	v_writelane_b32 v110, s2, 16
	s_mul_i32 s2, s48, 6
	v_writelane_b32 v110, s2, 17
	s_lshl_b32 s2, s48, 4
	v_writelane_b32 v110, s2, 18
	s_mul_i32 s2, s48, 10
	v_writelane_b32 v110, s2, 19
	s_mul_i32 s2, s48, 12
	v_writelane_b32 v110, s2, 20
	v_lshl_add_u64 v[0:1], v[0:1], 0, s[0:1]
	s_mul_i32 s0, s48, 26
	v_writelane_b32 v110, s0, 21
	s_mul_i32 s0, s48, 24
	v_writelane_b32 v110, s0, 22
	;; [unrolled: 2-line block ×5, first 2 shown]
	s_mul_i32 s0, s48, 14
	v_lshrrev_b32_e32 v5, 1, v16
	v_writelane_b32 v110, s0, 26
	s_lshl_b32 s0, s48, 1
	v_mul_u32_u24_e32 v4, 0x108, v98
	v_and_b32_e32 v5, 0x1f8, v5
	v_lshl_add_u64 v[0:1], v[0:1], 0, v[2:3]
	v_writelane_b32 v110, s0, 27
	s_mul_i32 s0, s47, 3
	v_add3_u32 v102, v6, v4, v5
	v_or_b32_e32 v26, 1, v94
	v_add_u32_e32 v27, 2, v94
	s_lshl_b32 s46, s48, 2
	v_add_u32_e32 v28, 3, v94
	v_add_u32_e32 v29, 4, v94
	;; [unrolled: 1-line block ×11, first 2 shown]
	s_ashr_i32 s3, s47, 31
	s_mov_b32 s2, s47
	v_lshlrev_b32_e32 v4, 1, v16
	v_lshlrev_b32_e32 v22, 2, v99
	v_mov_b32_e32 v23, 0
	v_lshl_add_u64 v[0:1], s[6:7], 0, v[0:1]
	v_writelane_b32 v110, s0, 28
	s_mul_i32 s0, s47, 5
	v_lshl_add_u32 v101, v16, 2, v6
	v_lshl_add_u32 v103, v17, 7, v4
	s_lshl_b64 s[2:3], s[2:3], 2
	v_lshl_add_u64 v[24:25], v[0:1], 0, v[22:23]
	s_lshl_b32 s66, s47, 1
	s_lshl_b32 s68, s47, 2
	v_writelane_b32 v110, s0, 29
	s_mul_i32 s70, s47, 6
	s_mul_i32 s71, s47, 7
	s_lshl_b32 s72, s47, 3
	s_mul_i32 s73, s47, 9
	s_mul_i32 s74, s47, 10
	;; [unrolled: 1-line block ×7, first 2 shown]
	s_lshl_b32 s80, s47, 4
	s_mul_i32 s81, s47, 17
	s_mul_i32 s82, s47, 18
	;; [unrolled: 1-line block ×15, first 2 shown]
	s_lshl_b32 s96, s47, 5
	s_mul_i32 s97, s47, 33
	s_mul_i32 s98, s47, 34
	;; [unrolled: 1-line block ×10, first 2 shown]
	v_cmp_gt_i32_e64 s[6:7], s45, v94
	s_mul_i32 s0, s47, 43
	s_mul_i32 s1, s47, 44
	v_mov_b32_e32 v12, 0
	v_mov_b32_e32 v13, v23
	;; [unrolled: 1-line block ×16, first 2 shown]
	s_mul_i32 s38, s47, 45
	s_mul_i32 s39, s47, 46
	;; [unrolled: 1-line block ×19, first 2 shown]
	v_cmp_gt_i32_e64 s[8:9], s45, v26
	v_cmp_gt_i32_e64 s[10:11], s45, v27
	;; [unrolled: 1-line block ×13, first 2 shown]
	s_mov_b32 s45, s46
	s_mov_b64 s[46:47], 0
	s_mov_b64 s[50:51], 0x500
	s_branch .LBB112_43
.LBB112_42:                             ;   in Loop: Header=BB112_43 Depth=1
	s_waitcnt vmcnt(0)
	v_cvt_f16_f32_e32 v22, v90
	v_cvt_f16_f32_e32 v90, v91
	v_add_u32_e32 v91, 0xc00, v101
	ds_write_b32 v101, v23 offset:4024
	v_add_u32_e32 v99, 0x140, v99
	v_pack_b32_f16 v22, v22, v90
	ds_write2_b32 v91, v22, v23 offset0:106 offset1:172
	ds_read2_b64 v[90:93], v102 offset0:8 offset1:12
	v_cmp_le_i32_e32 vcc, s44, v99
	v_add_u32_e32 v103, 0x280, v103
	v_lshl_add_u64 v[24:25], v[24:25], 0, s[50:51]
	s_waitcnt lgkmcnt(0)
	v_mfma_f32_16x16x16_f16 v[4:7], v[58:59], v[90:91], v[4:7]
	s_or_b64 s[46:47], vcc, s[46:47]
	v_mfma_f32_16x16x16_f16 v[8:11], v[42:43], v[90:91], v[8:11]
	v_mfma_f32_16x16x16_f16 v[0:3], v[74:75], v[90:91], v[0:3]
	v_mfma_f32_16x16x16_f16 v[12:15], v[88:89], v[90:91], v[12:15]
	v_mfma_f32_16x16x16_f16 v[4:7], v[56:57], v[92:93], v[4:7]
	ds_read2_b64 v[56:59], v102 offset0:16 offset1:20
	v_mfma_f32_16x16x16_f16 v[8:11], v[38:39], v[92:93], v[8:11]
	v_mfma_f32_16x16x16_f16 v[0:3], v[72:73], v[92:93], v[0:3]
	v_mfma_f32_16x16x16_f16 v[12:15], v[86:87], v[92:93], v[12:15]
	s_waitcnt lgkmcnt(0)
	v_mfma_f32_16x16x16_f16 v[8:11], v[36:37], v[56:57], v[8:11]
	v_mfma_f32_16x16x16_f16 v[4:7], v[52:53], v[56:57], v[4:7]
	v_mfma_f32_16x16x16_f16 v[0:3], v[70:71], v[56:57], v[0:3]
	v_mfma_f32_16x16x16_f16 v[12:15], v[82:83], v[56:57], v[12:15]
	v_mfma_f32_16x16x16_f16 v[8:11], v[34:35], v[58:59], v[8:11]
	ds_read2_b64 v[34:37], v102 offset0:24 offset1:28
	v_mfma_f32_16x16x16_f16 v[4:7], v[50:51], v[58:59], v[4:7]
	v_mfma_f32_16x16x16_f16 v[0:3], v[68:69], v[58:59], v[0:3]
	v_mfma_f32_16x16x16_f16 v[12:15], v[78:79], v[58:59], v[12:15]
	s_waitcnt lgkmcnt(0)
	v_mfma_f32_16x16x16_f16 v[8:11], v[32:33], v[34:35], v[8:11]
	;; [unrolled: 10-line block ×3, first 2 shown]
	v_mfma_f32_16x16x16_f16 v[4:7], v[44:45], v[30:31], v[4:7]
	v_mfma_f32_16x16x16_f16 v[0:3], v[60:61], v[30:31], v[0:3]
	;; [unrolled: 1-line block ×7, first 2 shown]
	s_andn2_b64 exec, exec, s[46:47]
	s_cbranch_execz .LBB112_85
.LBB112_43:                             ; =>This Inner Loop Header: Depth=1
	v_lshl_add_u64 v[26:27], v[24:25], 0, s[2:3]
	v_readlane_b32 vcc_lo, v110, 28
	global_load_dword v22, v[24:25], off
	global_load_dword v52, v[26:27], off
	v_add_u32_e32 v26, s66, v99
	v_add_u32_e32 v28, vcc_lo, v99
	v_readlane_b32 vcc_lo, v110, 29
	v_ashrrev_i32_e32 v27, 31, v26
	v_add_u32_e32 v30, s68, v99
	v_add_u32_e32 v32, vcc_lo, v99
	v_add_u32_e32 v34, s70, v99
	v_add_u32_e32 v36, s71, v99
	v_lshl_add_u64 v[26:27], v[26:27], 2, v[18:19]
	v_ashrrev_i32_e32 v29, 31, v28
	v_ashrrev_i32_e32 v31, 31, v30
	;; [unrolled: 1-line block ×5, first 2 shown]
	v_lshl_add_u64 v[28:29], v[28:29], 2, v[18:19]
	v_lshl_add_u64 v[30:31], v[30:31], 2, v[18:19]
	;; [unrolled: 1-line block ×5, first 2 shown]
	global_load_dword v53, v[26:27], off
	global_load_dword v54, v[28:29], off
	;; [unrolled: 1-line block ×6, first 2 shown]
	v_add_u32_e32 v26, s72, v99
	v_add_u32_e32 v44, s81, v99
	v_add_u32_e32 v28, s73, v99
	v_add_u32_e32 v30, s74, v99
	v_add_u32_e32 v32, s75, v99
	v_add_u32_e32 v34, s76, v99
	v_add_u32_e32 v36, s77, v99
	v_add_u32_e32 v38, s78, v99
	v_add_u32_e32 v40, s79, v99
	v_add_u32_e32 v42, s80, v99
	v_ashrrev_i32_e32 v27, 31, v26
	v_ashrrev_i32_e32 v45, 31, v44
	;; [unrolled: 1-line block ×10, first 2 shown]
	v_lshl_add_u64 v[26:27], v[26:27], 2, v[18:19]
	v_lshl_add_u64 v[44:45], v[44:45], 2, v[18:19]
	v_add_u32_e32 v46, s82, v99
	v_add_u32_e32 v48, s83, v99
	;; [unrolled: 1-line block ×3, first 2 shown]
	v_lshl_add_u64 v[28:29], v[28:29], 2, v[18:19]
	v_lshl_add_u64 v[30:31], v[30:31], 2, v[18:19]
	;; [unrolled: 1-line block ×8, first 2 shown]
	global_load_dword v59, v[26:27], off
	global_load_dword v60, v[28:29], off
	;; [unrolled: 1-line block ×9, first 2 shown]
	s_nop 0
	global_load_dword v44, v[44:45], off
	v_add_u32_e32 v26, s85, v99
	v_ashrrev_i32_e32 v47, 31, v46
	v_ashrrev_i32_e32 v49, 31, v48
	;; [unrolled: 1-line block ×4, first 2 shown]
	v_add_u32_e32 v28, s86, v99
	v_add_u32_e32 v30, s87, v99
	;; [unrolled: 1-line block ×4, first 2 shown]
	v_lshl_add_u64 v[46:47], v[46:47], 2, v[18:19]
	v_lshl_add_u64 v[48:49], v[48:49], 2, v[18:19]
	;; [unrolled: 1-line block ×4, first 2 shown]
	v_ashrrev_i32_e32 v29, 31, v28
	v_ashrrev_i32_e32 v31, 31, v30
	;; [unrolled: 1-line block ×4, first 2 shown]
	v_lshl_add_u64 v[28:29], v[28:29], 2, v[18:19]
	v_lshl_add_u64 v[30:31], v[30:31], 2, v[18:19]
	;; [unrolled: 1-line block ×4, first 2 shown]
	v_add_u32_e32 v36, s95, v99
	v_add_u32_e32 v38, s96, v99
	;; [unrolled: 1-line block ×3, first 2 shown]
	v_ashrrev_i32_e32 v37, 31, v36
	v_ashrrev_i32_e32 v39, 31, v38
	s_waitcnt vmcnt(17)
	ds_write_b32 v101, v22 offset:64
	s_waitcnt vmcnt(16)
	ds_write_b32 v101, v52 offset:328
	;; [unrolled: 2-line block ×8, first 2 shown]
	global_load_dword v22, v[46:47], off
	global_load_dword v45, v[48:49], off
	s_nop 0
	global_load_dword v46, v[50:51], off
	global_load_dword v47, v[26:27], off
	;; [unrolled: 1-line block ×4, first 2 shown]
	s_nop 0
	global_load_dword v50, v[32:33], off
	global_load_dword v51, v[34:35], off
	v_add_u32_e32 v26, s90, v99
	v_ashrrev_i32_e32 v27, 31, v26
	v_add_u32_e32 v28, s91, v99
	v_add_u32_e32 v30, s92, v99
	;; [unrolled: 1-line block ×4, first 2 shown]
	v_lshl_add_u64 v[26:27], v[26:27], 2, v[18:19]
	v_ashrrev_i32_e32 v29, 31, v28
	v_ashrrev_i32_e32 v31, 31, v30
	v_ashrrev_i32_e32 v33, 31, v32
	v_ashrrev_i32_e32 v35, 31, v34
	v_ashrrev_i32_e32 v41, 31, v40
	v_lshl_add_u64 v[28:29], v[28:29], 2, v[18:19]
	v_lshl_add_u64 v[30:31], v[30:31], 2, v[18:19]
	v_lshl_add_u64 v[32:33], v[32:33], 2, v[18:19]
	v_lshl_add_u64 v[34:35], v[34:35], 2, v[18:19]
	v_lshl_add_u64 v[36:37], v[36:37], 2, v[18:19]
	v_lshl_add_u64 v[38:39], v[38:39], 2, v[18:19]
	v_lshl_add_u64 v[40:41], v[40:41], 2, v[18:19]
	global_load_dword v52, v[26:27], off
	global_load_dword v53, v[28:29], off
	global_load_dword v54, v[30:31], off
	global_load_dword v55, v[32:33], off
	global_load_dword v56, v[34:35], off
	global_load_dword v57, v[36:37], off
	global_load_dword v68, v[38:39], off
	global_load_dword v69, v[40:41], off
	v_add_u32_e32 v26, s98, v99
	v_ashrrev_i32_e32 v27, 31, v26
	v_add_u32_e32 v28, s99, v99
	v_add_u32_e32 v30, s42, v99
	v_add_u32_e32 v32, s43, v99
	v_add_u32_e32 v34, s58, v99
	v_add_u32_e32 v36, s5, v99
	v_add_u32_e32 v38, s55, v99
	v_add_u32_e32 v40, s57, v99
	v_lshl_add_u64 v[26:27], v[26:27], 2, v[18:19]
	v_ashrrev_i32_e32 v29, 31, v28
	v_ashrrev_i32_e32 v31, 31, v30
	v_ashrrev_i32_e32 v33, 31, v32
	v_ashrrev_i32_e32 v35, 31, v34
	v_ashrrev_i32_e32 v37, 31, v36
	v_ashrrev_i32_e32 v39, 31, v38
	v_ashrrev_i32_e32 v41, 31, v40
	v_lshl_add_u64 v[28:29], v[28:29], 2, v[18:19]
	v_lshl_add_u64 v[30:31], v[30:31], 2, v[18:19]
	v_lshl_add_u64 v[32:33], v[32:33], 2, v[18:19]
	v_lshl_add_u64 v[34:35], v[34:35], 2, v[18:19]
	v_lshl_add_u64 v[36:37], v[36:37], 2, v[18:19]
	v_lshl_add_u64 v[38:39], v[38:39], 2, v[18:19]
	v_lshl_add_u64 v[40:41], v[40:41], 2, v[18:19]
	global_load_dword v70, v[26:27], off
	global_load_dword v71, v[28:29], off
	global_load_dword v72, v[30:31], off
	global_load_dword v73, v[32:33], off
	global_load_dword v74, v[34:35], off
	global_load_dword v75, v[36:37], off
	global_load_dword v76, v[38:39], off
	global_load_dword v77, v[40:41], off
	v_add_u32_e32 v26, s59, v99
	v_ashrrev_i32_e32 v27, 31, v26
	v_add_u32_e32 v28, s0, v99
	v_add_u32_e32 v30, s1, v99
	v_add_u32_e32 v32, s38, v99
	v_add_u32_e32 v34, s39, v99
	v_add_u32_e32 v36, s60, v99
	v_add_u32_e32 v38, s61, v99
	v_add_u32_e32 v40, s62, v99
	v_lshl_add_u64 v[26:27], v[26:27], 2, v[18:19]
	v_ashrrev_i32_e32 v29, 31, v28
	v_ashrrev_i32_e32 v31, 31, v30
	;; [unrolled: 32-line block ×3, first 2 shown]
	v_ashrrev_i32_e32 v33, 31, v32
	v_ashrrev_i32_e32 v35, 31, v34
	;; [unrolled: 1-line block ×5, first 2 shown]
	v_lshl_add_u64 v[28:29], v[28:29], 2, v[18:19]
	v_lshl_add_u64 v[30:31], v[30:31], 2, v[18:19]
	v_lshl_add_u64 v[32:33], v[32:33], 2, v[18:19]
	v_lshl_add_u64 v[34:35], v[34:35], 2, v[18:19]
	v_lshl_add_u64 v[36:37], v[36:37], 2, v[18:19]
	v_lshl_add_u64 v[38:39], v[38:39], 2, v[18:19]
	v_lshl_add_u64 v[40:41], v[40:41], 2, v[18:19]
	global_load_dword v86, v[26:27], off
	global_load_dword v87, v[28:29], off
	;; [unrolled: 1-line block ×8, first 2 shown]
	v_add_u32_e32 v26, s4, v99
	v_ashrrev_i32_e32 v27, 31, v26
	v_add_u32_e32 v28, s52, v99
	v_add_u32_e32 v30, s56, v99
	;; [unrolled: 1-line block ×5, first 2 shown]
	v_lshl_add_u64 v[26:27], v[26:27], 2, v[18:19]
	v_ashrrev_i32_e32 v29, 31, v28
	v_ashrrev_i32_e32 v31, 31, v30
	;; [unrolled: 1-line block ×5, first 2 shown]
	v_lshl_add_u64 v[28:29], v[28:29], 2, v[18:19]
	v_lshl_add_u64 v[30:31], v[30:31], 2, v[18:19]
	;; [unrolled: 1-line block ×5, first 2 shown]
	global_load_dword v104, v[26:27], off
	global_load_dword v105, v[28:29], off
	;; [unrolled: 1-line block ×6, first 2 shown]
	s_waitcnt vmcnt(55)
	ds_write_b32 v101, v59 offset:2176
	s_waitcnt vmcnt(54)
	ds_write_b32 v101, v60 offset:2440
	s_waitcnt vmcnt(53)
	ds_write_b32 v101, v61 offset:2704
	s_waitcnt vmcnt(52)
	ds_write_b32 v101, v62 offset:2968
	s_waitcnt vmcnt(51)
	ds_write_b32 v101, v63 offset:3232
	s_waitcnt vmcnt(50)
	ds_write_b32 v101, v64 offset:3496
	s_waitcnt vmcnt(49)
	ds_write_b32 v101, v65 offset:3760
	s_waitcnt vmcnt(48)
	ds_write_b32 v101, v66 offset:4024
	ds_read_b64 v[42:43], v102 offset:64
	ds_read_b64 v[38:39], v102 offset:96
	ds_read_b64 v[36:37], v102 offset:128
	ds_read_b64 v[34:35], v102 offset:160
	ds_read_b64 v[32:33], v102 offset:192
	ds_read_b64 v[30:31], v102 offset:224
	ds_read_b64 v[28:29], v102 offset:256
	ds_read_b64 v[26:27], v102 offset:288
	s_waitcnt vmcnt(47)
	ds_write_b32 v101, v67 offset:64
	s_waitcnt vmcnt(46)
	ds_write_b32 v101, v44 offset:328
	s_waitcnt vmcnt(45)
	ds_write_b32 v101, v22 offset:592
	s_waitcnt vmcnt(44)
	ds_write_b32 v101, v45 offset:856
	s_waitcnt vmcnt(43)
	ds_write_b32 v101, v46 offset:1120
	s_waitcnt vmcnt(42)
	ds_write_b32 v101, v47 offset:1384
	s_waitcnt vmcnt(41)
	ds_write_b32 v101, v48 offset:1648
	s_waitcnt vmcnt(40)
	ds_write_b32 v101, v49 offset:1912
	s_waitcnt vmcnt(39)
	ds_write_b32 v101, v50 offset:2176
	s_waitcnt vmcnt(38)
	ds_write_b32 v101, v51 offset:2440
	s_waitcnt vmcnt(37)
	ds_write_b32 v101, v52 offset:2704
	s_waitcnt vmcnt(36)
	ds_write_b32 v101, v53 offset:2968
	s_waitcnt vmcnt(35)
	ds_write_b32 v101, v54 offset:3232
	s_waitcnt vmcnt(34)
	ds_write_b32 v101, v55 offset:3496
	s_waitcnt vmcnt(33)
	ds_write_b32 v101, v56 offset:3760
	s_waitcnt vmcnt(32)
	ds_write_b32 v101, v57 offset:4024
	ds_read_b64 v[58:59], v102 offset:64
	ds_read_b64 v[56:57], v102 offset:96
	ds_read_b64 v[52:53], v102 offset:128
	ds_read_b64 v[50:51], v102 offset:160
	ds_read_b64 v[48:49], v102 offset:192
	ds_read_b64 v[46:47], v102 offset:224
	ds_read_b64 v[44:45], v102 offset:256
	ds_read_b64 v[40:41], v102 offset:288
	s_waitcnt vmcnt(31)
	ds_write_b32 v101, v68 offset:64
	s_waitcnt vmcnt(30)
	ds_write_b32 v101, v69 offset:328
	s_waitcnt vmcnt(29)
	ds_write_b32 v101, v70 offset:592
	s_waitcnt vmcnt(28)
	ds_write_b32 v101, v71 offset:856
	s_waitcnt vmcnt(27)
	ds_write_b32 v101, v72 offset:1120
	s_waitcnt vmcnt(26)
	ds_write_b32 v101, v73 offset:1384
	s_waitcnt vmcnt(25)
	ds_write_b32 v101, v74 offset:1648
	s_waitcnt vmcnt(24)
	ds_write_b32 v101, v75 offset:1912
	;; [unrolled: 40-line block ×3, first 2 shown]
	s_waitcnt vmcnt(7)
	ds_write_b32 v101, v92 offset:2176
	s_waitcnt vmcnt(6)
	ds_write_b32 v101, v93 offset:2440
	;; [unrolled: 2-line block ×8, first 2 shown]
	ds_read_b64 v[88:89], v102 offset:64
	ds_read_b64 v[86:87], v102 offset:96
	;; [unrolled: 1-line block ×8, first 2 shown]
	s_andn2_b64 vcc, exec, s[6:7]
	v_mov_b32_e32 v90, 0
	v_mov_b32_e32 v91, 0
	s_cbranch_vccnz .LBB112_46
; %bb.44:                               ;   in Loop: Header=BB112_43 Depth=1
	ds_read_b32 v22, v100
	v_mov_b32_e32 v91, 0
	v_mov_b32_e32 v90, 0
	s_waitcnt lgkmcnt(0)
	v_cmp_gt_i32_e32 vcc, 0, v22
	s_cbranch_vccnz .LBB112_46
; %bb.45:                               ;   in Loop: Header=BB112_43 Depth=1
	v_mul_lo_u32 v22, v22, s53
	v_add_u32_e32 v90, v103, v22
	v_ashrrev_i32_e32 v91, 31, v90
	v_lshl_add_u64 v[90:91], v[90:91], 2, v[20:21]
	global_load_dwordx2 v[90:91], v[90:91], off
.LBB112_46:                             ;   in Loop: Header=BB112_43 Depth=1
	s_waitcnt vmcnt(0)
	v_cvt_f16_f32_e32 v22, v90
	v_cvt_f16_f32_e32 v90, v91
	s_andn2_b64 vcc, exec, s[8:9]
	v_mov_b32_e32 v92, 0
	v_mov_b32_e32 v93, 0
	v_pack_b32_f16 v22, v22, v90
	v_mov_b32_e32 v90, 0
	ds_write_b32 v101, v22 offset:64
	s_cbranch_vccnz .LBB112_49
; %bb.47:                               ;   in Loop: Header=BB112_43 Depth=1
	ds_read_b32 v22, v100 offset:4
	v_mov_b32_e32 v93, 0
	v_mov_b32_e32 v92, 0
	s_waitcnt lgkmcnt(0)
	v_cmp_gt_i32_e32 vcc, 0, v22
	s_cbranch_vccnz .LBB112_49
; %bb.48:                               ;   in Loop: Header=BB112_43 Depth=1
	v_mul_lo_u32 v22, v22, s53
	v_readlane_b32 vcc_lo, v110, 27
	s_nop 1
	v_add_u32_e32 v22, vcc_lo, v22
	v_add_u32_e32 v92, v22, v103
	v_ashrrev_i32_e32 v93, 31, v92
	v_lshl_add_u64 v[92:93], v[92:93], 2, v[20:21]
	global_load_dwordx2 v[92:93], v[92:93], off
.LBB112_49:                             ;   in Loop: Header=BB112_43 Depth=1
	s_waitcnt vmcnt(0)
	v_cvt_f16_f32_e32 v22, v92
	v_cvt_f16_f32_e32 v91, v93
	s_andn2_b64 vcc, exec, s[10:11]
	v_pack_b32_f16 v22, v22, v91
	v_mov_b32_e32 v91, 0
	ds_write_b32 v101, v22 offset:328
	s_cbranch_vccnz .LBB112_52
; %bb.50:                               ;   in Loop: Header=BB112_43 Depth=1
	ds_read_b32 v22, v100 offset:8
	v_mov_b32_e32 v91, 0
	v_mov_b32_e32 v90, 0
	s_waitcnt lgkmcnt(0)
	v_cmp_gt_i32_e32 vcc, 0, v22
	s_cbranch_vccnz .LBB112_52
; %bb.51:                               ;   in Loop: Header=BB112_43 Depth=1
	v_mul_lo_u32 v22, v22, s53
	v_add_u32_e32 v22, s45, v22
	v_add_u32_e32 v90, v22, v103
	v_ashrrev_i32_e32 v91, 31, v90
	v_lshl_add_u64 v[90:91], v[90:91], 2, v[20:21]
	global_load_dwordx2 v[90:91], v[90:91], off
.LBB112_52:                             ;   in Loop: Header=BB112_43 Depth=1
	s_waitcnt vmcnt(0)
	v_cvt_f16_f32_e32 v22, v90
	v_cvt_f16_f32_e32 v90, v91
	s_andn2_b64 vcc, exec, s[12:13]
	v_mov_b32_e32 v92, 0
	v_mov_b32_e32 v93, 0
	v_pack_b32_f16 v22, v22, v90
	v_mov_b32_e32 v90, 0
	ds_write_b32 v101, v22 offset:592
	s_cbranch_vccnz .LBB112_55
; %bb.53:                               ;   in Loop: Header=BB112_43 Depth=1
	ds_read_b32 v22, v100 offset:12
	v_mov_b32_e32 v93, 0
	v_mov_b32_e32 v92, 0
	s_waitcnt lgkmcnt(0)
	v_cmp_gt_i32_e32 vcc, 0, v22
	s_cbranch_vccnz .LBB112_55
; %bb.54:                               ;   in Loop: Header=BB112_43 Depth=1
	v_mul_lo_u32 v22, v22, s53
	v_readlane_b32 vcc_lo, v110, 17
	s_nop 1
	v_add_u32_e32 v22, vcc_lo, v22
	v_add_u32_e32 v92, v22, v103
	v_ashrrev_i32_e32 v93, 31, v92
	v_lshl_add_u64 v[92:93], v[92:93], 2, v[20:21]
	global_load_dwordx2 v[92:93], v[92:93], off
.LBB112_55:                             ;   in Loop: Header=BB112_43 Depth=1
	s_waitcnt vmcnt(0)
	v_cvt_f16_f32_e32 v22, v92
	v_cvt_f16_f32_e32 v91, v93
	s_andn2_b64 vcc, exec, s[14:15]
	v_pack_b32_f16 v22, v22, v91
	v_mov_b32_e32 v91, 0
	ds_write_b32 v101, v22 offset:856
	s_cbranch_vccnz .LBB112_58
; %bb.56:                               ;   in Loop: Header=BB112_43 Depth=1
	ds_read_b32 v22, v100 offset:16
	v_mov_b32_e32 v91, 0
	v_mov_b32_e32 v90, 0
	s_waitcnt lgkmcnt(0)
	v_cmp_gt_i32_e32 vcc, 0, v22
	s_cbranch_vccnz .LBB112_58
; %bb.57:                               ;   in Loop: Header=BB112_43 Depth=1
	v_mul_lo_u32 v22, v22, s53
	v_readlane_b32 vcc_lo, v110, 16
	s_nop 1
	v_add_u32_e32 v22, vcc_lo, v22
	v_add_u32_e32 v90, v22, v103
	v_ashrrev_i32_e32 v91, 31, v90
	v_lshl_add_u64 v[90:91], v[90:91], 2, v[20:21]
	global_load_dwordx2 v[90:91], v[90:91], off
.LBB112_58:                             ;   in Loop: Header=BB112_43 Depth=1
	s_waitcnt vmcnt(0)
	v_cvt_f16_f32_e32 v22, v90
	v_cvt_f16_f32_e32 v90, v91
	s_andn2_b64 vcc, exec, s[16:17]
	v_mov_b32_e32 v92, 0
	v_mov_b32_e32 v93, 0
	v_pack_b32_f16 v22, v22, v90
	v_mov_b32_e32 v90, 0
	ds_write_b32 v101, v22 offset:1120
	s_cbranch_vccnz .LBB112_61
; %bb.59:                               ;   in Loop: Header=BB112_43 Depth=1
	ds_read_b32 v22, v100 offset:20
	v_mov_b32_e32 v93, 0
	v_mov_b32_e32 v92, 0
	s_waitcnt lgkmcnt(0)
	v_cmp_gt_i32_e32 vcc, 0, v22
	s_cbranch_vccnz .LBB112_61
; %bb.60:                               ;   in Loop: Header=BB112_43 Depth=1
	v_mul_lo_u32 v22, v22, s53
	v_readlane_b32 vcc_lo, v110, 19
	s_nop 1
	v_add_u32_e32 v22, vcc_lo, v22
	v_add_u32_e32 v92, v22, v103
	v_ashrrev_i32_e32 v93, 31, v92
	v_lshl_add_u64 v[92:93], v[92:93], 2, v[20:21]
	global_load_dwordx2 v[92:93], v[92:93], off
.LBB112_61:                             ;   in Loop: Header=BB112_43 Depth=1
	s_waitcnt vmcnt(0)
	v_cvt_f16_f32_e32 v22, v92
	v_cvt_f16_f32_e32 v91, v93
	s_andn2_b64 vcc, exec, s[18:19]
	v_pack_b32_f16 v22, v22, v91
	v_mov_b32_e32 v91, 0
	ds_write_b32 v101, v22 offset:1384
	s_cbranch_vccnz .LBB112_64
; %bb.62:                               ;   in Loop: Header=BB112_43 Depth=1
	ds_read_b32 v22, v100 offset:24
	v_mov_b32_e32 v91, 0
	v_mov_b32_e32 v90, 0
	s_waitcnt lgkmcnt(0)
	v_cmp_gt_i32_e32 vcc, 0, v22
	s_cbranch_vccnz .LBB112_64
; %bb.63:                               ;   in Loop: Header=BB112_43 Depth=1
	v_mul_lo_u32 v22, v22, s53
	v_readlane_b32 vcc_lo, v110, 20
	s_nop 1
	v_add_u32_e32 v22, vcc_lo, v22
	v_add_u32_e32 v90, v22, v103
	v_ashrrev_i32_e32 v91, 31, v90
	v_lshl_add_u64 v[90:91], v[90:91], 2, v[20:21]
	global_load_dwordx2 v[90:91], v[90:91], off
.LBB112_64:                             ;   in Loop: Header=BB112_43 Depth=1
	;; [unrolled: 52-line block ×5, first 2 shown]
	s_waitcnt vmcnt(0)
	v_cvt_f16_f32_e32 v22, v90
	v_cvt_f16_f32_e32 v90, v91
	s_andn2_b64 vcc, exec, s[34:35]
	v_mov_b32_e32 v91, 0
	v_pack_b32_f16 v22, v22, v90
	v_mov_b32_e32 v90, 0
	ds_write_b32 v101, v22 offset:3232
	s_cbranch_vccnz .LBB112_42
; %bb.83:                               ;   in Loop: Header=BB112_43 Depth=1
	ds_read_b32 v22, v100 offset:52
	v_mov_b32_e32 v91, 0
	v_mov_b32_e32 v90, 0
	s_waitcnt lgkmcnt(0)
	v_cmp_gt_i32_e32 vcc, 0, v22
	s_cbranch_vccnz .LBB112_42
; %bb.84:                               ;   in Loop: Header=BB112_43 Depth=1
	v_mul_lo_u32 v22, v22, s53
	v_readlane_b32 vcc_lo, v110, 21
	s_nop 1
	v_add_u32_e32 v22, vcc_lo, v22
	v_add_u32_e32 v90, v22, v103
	v_ashrrev_i32_e32 v91, 31, v90
	v_lshl_add_u64 v[90:91], v[90:91], 2, v[20:21]
	global_load_dwordx2 v[90:91], v[90:91], off
	s_branch .LBB112_42
.LBB112_85:
	s_or_b64 exec, exec, s[46:47]
	v_readlane_b32 s24, v110, 8
	v_readlane_b32 s28, v110, 12
	v_readlane_b32 s4, v110, 11
	v_readlane_b32 s25, v110, 9
	v_readlane_b32 s30, v110, 14
	v_readlane_b32 s12, v110, 10
	v_readlane_b32 s29, v110, 13
	v_readlane_b32 s31, v110, 15
.LBB112_86:
	v_readlane_b32 s0, v110, 6
	v_readlane_b32 s1, v110, 7
	s_or_b64 exec, exec, s[0:1]
	v_mul_u32_u24_e32 v18, 0x508, v98
	s_movk_i32 s1, 0x100
	v_lshlrev_b32_e32 v19, 2, v97
	v_add3_u32 v18, s1, v18, v19
	v_and_b32_e32 v20, 0x3f0, v16
	v_add_u32_e32 v21, v18, v20
	s_waitcnt lgkmcnt(0)
	s_barrier
	v_add_u32_e32 v19, 64, v18
	ds_write2_b32 v21, v8, v9 offset0:16 offset1:17
	v_or_b32_e32 v9, 12, v16
	v_add_u32_e32 v8, v19, v20
	v_and_b32_e32 v9, 0x3fc, v9
	ds_write_b32 v8, v10 offset:8
	v_add_u32_e32 v10, v18, v9
	ds_write_b32 v10, v11 offset:64
	ds_write2_b32 v8, v4, v5 offset0:16 offset1:17
	ds_write_b32 v8, v6 offset:72
	v_add_u32_e32 v4, v19, v9
	ds_write_b32 v4, v7 offset:64
	ds_write2_b32 v8, v0, v1 offset0:32 offset1:33
	ds_write_b32 v8, v2 offset:136
	ds_write_b32 v4, v3 offset:128
	ds_write2_b32 v8, v12, v13 offset0:48 offset1:49
	ds_write_b32 v8, v14 offset:200
	ds_write_b32 v4, v15 offset:192
	v_mov_b32_e32 v0, 0x100
	s_movk_i32 s0, 0x508
	v_lshl_add_u32 v7, v16, 2, v0
	v_mad_u32_u24 v1, v17, s0, v7
	s_waitcnt lgkmcnt(0)
	s_barrier
	ds_read2_b32 v[4:5], v1 offset0:16 offset1:80
	ds_read2_b32 v[2:3], v1 offset0:144 offset1:208
	ds_read_b32 v8, v1 offset:1088
	v_cmp_gt_u32_e32 vcc, 14, v17
	v_mov_b32_e32 v9, -1
	s_and_saveexec_b64 s[0:1], vcc
	s_cbranch_execz .LBB112_88
; %bb.87:
	v_lshl_add_u32 v0, v17, 2, v0
	ds_read_b32 v9, v0
.LBB112_88:
	s_or_b64 exec, exec, s[0:1]
	s_mul_hi_i32 s1, s30, s4
	s_mul_i32 s0, s30, s4
	s_lshl_b64 s[0:1], s[0:1], 2
	v_readlane_b32 s2, v110, 4
	v_mul_hi_i32 v1, v94, s49
	v_mul_lo_u32 v0, v94, s49
	v_readlane_b32 s3, v110, 5
	s_add_u32 s0, s2, s0
	s_addc_u32 s1, s3, s1
	v_lshlrev_b64 v[0:1], 2, v[0:1]
	s_waitcnt lgkmcnt(0)
	v_cmp_lt_i32_e32 vcc, -1, v9
	v_mul_u32_u24_e32 v10, 0x508, v17
	v_add_u32_e32 v6, s12, v16
	v_lshl_add_u64 v[0:1], s[0:1], 0, v[0:1]
	s_and_b64 s[2:3], vcc, s[24:25]
	s_and_saveexec_b64 s[0:1], s[2:3]
	s_cbranch_execz .LBB112_90
; %bb.89:
	v_add_f32_e32 v4, 0, v4
	v_add_f32_e32 v4, v4, v5
	;; [unrolled: 1-line block ×5, first 2 shown]
	v_mul_lo_u32 v2, v9, s54
	v_mul_lo_u32 v3, v17, s49
	v_add3_u32 v2, v6, v3, v2
	v_mov_b32_e32 v3, 0
	v_lshl_add_u64 v[2:3], v[2:3], 2, v[0:1]
	global_store_dword v[2:3], v4, off
.LBB112_90:
	s_or_b64 exec, exec, s[0:1]
	v_add_u32_e32 v7, v10, v7
	v_add_u32_e32 v2, 0x68, v7
	ds_read2st64_b32 v[4:5], v2 offset0:25 offset1:26
	ds_read2st64_b32 v[2:3], v2 offset0:27 offset1:28
	ds_read_b32 v8, v7 offset:7528
	v_cmp_gt_u32_e32 vcc, 9, v17
	v_mov_b32_e32 v9, -1
	s_and_saveexec_b64 s[0:1], vcc
	s_cbranch_execz .LBB112_92
; %bb.91:
	v_mov_b32_e32 v9, 0x100
	v_lshl_add_u32 v9, v17, 2, v9
	ds_read_b32 v9, v9 offset:20
.LBB112_92:
	s_or_b64 exec, exec, s[0:1]
	v_readlane_b32 s0, v110, 0
	s_waitcnt lgkmcnt(0)
	v_cmp_lt_i32_e32 vcc, -1, v9
	v_readlane_b32 s1, v110, 1
	s_and_b64 s[2:3], vcc, s[0:1]
	s_and_saveexec_b64 s[0:1], s[2:3]
	s_cbranch_execz .LBB112_94
; %bb.93:
	v_add_f32_e32 v4, 0, v4
	v_add_f32_e32 v4, v4, v5
	;; [unrolled: 1-line block ×5, first 2 shown]
	v_mul_lo_u32 v2, v9, s54
	v_mul_lo_u32 v3, v95, s49
	v_add3_u32 v2, v6, v3, v2
	v_mov_b32_e32 v3, 0
	v_lshl_add_u64 v[2:3], v[2:3], 2, v[0:1]
	global_store_dword v[2:3], v4, off
.LBB112_94:
	s_or_b64 exec, exec, s[0:1]
	v_cmp_gt_u32_e32 vcc, 4, v17
	s_and_saveexec_b64 s[0:1], vcc
	s_cbranch_execz .LBB112_97
; %bb.95:
	v_mov_b32_e32 v2, 0x100
	v_lshl_add_u32 v2, v17, 2, v2
	ds_read_b32 v2, v2 offset:40
	v_readlane_b32 s0, v110, 2
	v_readlane_b32 s1, v110, 3
	s_waitcnt lgkmcnt(0)
	v_cmp_lt_i32_e32 vcc, -1, v2
	s_and_b64 s[0:1], vcc, s[0:1]
	s_and_b64 exec, exec, s[0:1]
	s_cbranch_execz .LBB112_97
; %bb.96:
	v_add_u32_e32 v3, 0x90, v7
	ds_read2st64_b32 v[4:5], v3 offset0:50 offset1:51
	ds_read_b32 v7, v7 offset:13968
	ds_read2st64_b32 v[8:9], v3 offset0:52 offset1:53
	v_mul_lo_u32 v2, v2, s54
	v_mul_lo_u32 v3, v96, s49
	s_waitcnt lgkmcnt(2)
	v_add_f32_e32 v4, 0, v4
	v_add_f32_e32 v4, v4, v5
	s_waitcnt lgkmcnt(0)
	v_add_f32_e32 v4, v4, v8
	v_add_f32_e32 v4, v4, v9
	v_add3_u32 v2, v6, v3, v2
	v_mov_b32_e32 v3, 0
	v_add_f32_e32 v4, v4, v7
	v_lshl_add_u64 v[0:1], v[2:3], 2, v[0:1]
	global_store_dword v[0:1], v4, off
.LBB112_97:
	s_endpgm
	.section	.rodata,"a",@progbits
	.p2align	6, 0x0
	.amdhsa_kernel _ZL9mul_mat_fI7__half2Li64ELi14ELi5ELb1EEvPKT_PKfPKiPfiiiiiiiiiiiiiiii
		.amdhsa_group_segment_fixed_size 256
		.amdhsa_private_segment_fixed_size 0
		.amdhsa_kernarg_size 352
		.amdhsa_user_sgpr_count 2
		.amdhsa_user_sgpr_dispatch_ptr 0
		.amdhsa_user_sgpr_queue_ptr 0
		.amdhsa_user_sgpr_kernarg_segment_ptr 1
		.amdhsa_user_sgpr_dispatch_id 0
		.amdhsa_user_sgpr_kernarg_preload_length 0
		.amdhsa_user_sgpr_kernarg_preload_offset 0
		.amdhsa_user_sgpr_private_segment_size 0
		.amdhsa_uses_dynamic_stack 0
		.amdhsa_enable_private_segment 0
		.amdhsa_system_sgpr_workgroup_id_x 1
		.amdhsa_system_sgpr_workgroup_id_y 1
		.amdhsa_system_sgpr_workgroup_id_z 1
		.amdhsa_system_sgpr_workgroup_info 0
		.amdhsa_system_vgpr_workitem_id 2
		.amdhsa_next_free_vgpr 111
		.amdhsa_next_free_sgpr 100
		.amdhsa_accum_offset 112
		.amdhsa_reserve_vcc 1
		.amdhsa_float_round_mode_32 0
		.amdhsa_float_round_mode_16_64 0
		.amdhsa_float_denorm_mode_32 3
		.amdhsa_float_denorm_mode_16_64 3
		.amdhsa_dx10_clamp 1
		.amdhsa_ieee_mode 1
		.amdhsa_fp16_overflow 0
		.amdhsa_tg_split 0
		.amdhsa_exception_fp_ieee_invalid_op 0
		.amdhsa_exception_fp_denorm_src 0
		.amdhsa_exception_fp_ieee_div_zero 0
		.amdhsa_exception_fp_ieee_overflow 0
		.amdhsa_exception_fp_ieee_underflow 0
		.amdhsa_exception_fp_ieee_inexact 0
		.amdhsa_exception_int_div_zero 0
	.end_amdhsa_kernel
	.section	.text._ZL9mul_mat_fI7__half2Li64ELi14ELi5ELb1EEvPKT_PKfPKiPfiiiiiiiiiiiiiiii,"axG",@progbits,_ZL9mul_mat_fI7__half2Li64ELi14ELi5ELb1EEvPKT_PKfPKiPfiiiiiiiiiiiiiiii,comdat
.Lfunc_end112:
	.size	_ZL9mul_mat_fI7__half2Li64ELi14ELi5ELb1EEvPKT_PKfPKiPfiiiiiiiiiiiiiiii, .Lfunc_end112-_ZL9mul_mat_fI7__half2Li64ELi14ELi5ELb1EEvPKT_PKfPKiPfiiiiiiiiiiiiiiii
                                        ; -- End function
	.section	.AMDGPU.csdata,"",@progbits
; Kernel info:
; codeLenInByte = 8320
; NumSgprs: 106
; NumVgprs: 111
; NumAgprs: 0
; TotalNumVgprs: 111
; ScratchSize: 0
; MemoryBound: 0
; FloatMode: 240
; IeeeMode: 1
; LDSByteSize: 256 bytes/workgroup (compile time only)
; SGPRBlocks: 13
; VGPRBlocks: 13
; NumSGPRsForWavesPerEU: 106
; NumVGPRsForWavesPerEU: 111
; AccumOffset: 112
; Occupancy: 4
; WaveLimiterHint : 0
; COMPUTE_PGM_RSRC2:SCRATCH_EN: 0
; COMPUTE_PGM_RSRC2:USER_SGPR: 2
; COMPUTE_PGM_RSRC2:TRAP_HANDLER: 0
; COMPUTE_PGM_RSRC2:TGID_X_EN: 1
; COMPUTE_PGM_RSRC2:TGID_Y_EN: 1
; COMPUTE_PGM_RSRC2:TGID_Z_EN: 1
; COMPUTE_PGM_RSRC2:TIDIG_COMP_CNT: 2
; COMPUTE_PGM_RSRC3_GFX90A:ACCUM_OFFSET: 27
; COMPUTE_PGM_RSRC3_GFX90A:TG_SPLIT: 0
	.section	.text._ZL9mul_mat_fI7__half2Li64ELi14ELi5ELb0EEvPKT_PKfPKiPfiiiiiiiiiiiiiiii,"axG",@progbits,_ZL9mul_mat_fI7__half2Li64ELi14ELi5ELb0EEvPKT_PKfPKiPfiiiiiiiiiiiiiiii,comdat
	.globl	_ZL9mul_mat_fI7__half2Li64ELi14ELi5ELb0EEvPKT_PKfPKiPfiiiiiiiiiiiiiiii ; -- Begin function _ZL9mul_mat_fI7__half2Li64ELi14ELi5ELb0EEvPKT_PKfPKiPfiiiiiiiiiiiiiiii
	.p2align	8
	.type	_ZL9mul_mat_fI7__half2Li64ELi14ELi5ELb0EEvPKT_PKfPKiPfiiiiiiiiiiiiiiii,@function
_ZL9mul_mat_fI7__half2Li64ELi14ELi5ELb0EEvPKT_PKfPKiPfiiiiiiiiiiiiiiii: ; @_ZL9mul_mat_fI7__half2Li64ELi14ELi5ELb0EEvPKT_PKfPKiPfiiiiiiiiiiiiiiii
; %bb.0:
	s_load_dword s5, s[0:1], 0x20
	s_load_dwordx4 s[16:19], s[0:1], 0x2c
	v_bfe_u32 v38, v0, 10, 10
	v_lshlrev_b32_e32 v40, 6, v38
	v_and_b32_e32 v39, 0x3ff, v0
	v_add_u32_e32 v42, v40, v39
	s_mov_b32 s20, 0
	s_waitcnt lgkmcnt(0)
	s_ashr_i32 s19, s4, 31
	v_cmp_le_i32_e32 vcc, s5, v42
	v_and_b32_e32 v41, 15, v39
	s_and_saveexec_b64 s[6:7], vcc
	s_xor_b64 s[6:7], exec, s[6:7]
; %bb.1:
	v_and_b32_e32 v41, 15, v39
                                        ; implicit-def: $vgpr42
; %bb.2:
	s_or_saveexec_b64 s[24:25], s[6:7]
	s_load_dwordx8 s[8:15], s[0:1], 0x40
	s_load_dwordx2 s[6:7], s[0:1], 0x18
	s_lshl_b32 s2, s2, 6
	v_mov_b32_e32 v15, s20
	v_mov_b32_e32 v14, s20
	;; [unrolled: 1-line block ×16, first 2 shown]
	s_xor_b64 exec, exec, s[24:25]
	s_cbranch_execz .LBB113_6
; %bb.3:
	s_waitcnt lgkmcnt(0)
	s_abs_i32 s26, s8
	v_cvt_f32_u32_e32 v0, s26
	s_abs_i32 s27, s12
	v_cvt_f32_u32_e32 v1, s27
	s_sub_i32 s20, 0, s26
	v_rcp_iflag_f32_e32 v0, v0
	s_abs_i32 s28, s3
	v_rcp_iflag_f32_e32 v1, v1
	s_sub_i32 s21, 0, s27
	v_mul_f32_e32 v0, 0x4f7ffffe, v0
	v_cvt_u32_f32_e32 v0, v0
	v_mul_f32_e32 v1, 0x4f7ffffe, v1
	v_cvt_u32_f32_e32 v1, v1
	s_abs_i32 s29, s4
	v_mul_lo_u32 v2, s20, v0
	v_mul_hi_u32 v2, v0, v2
	v_add_u32_e32 v0, v0, v2
	v_mul_hi_u32 v0, s28, v0
	v_mul_lo_u32 v3, s21, v1
	v_mul_lo_u32 v2, v0, s26
	v_mul_hi_u32 v3, v1, v3
	v_sub_u32_e32 v2, s28, v2
	v_add_u32_e32 v1, v1, v3
	v_add_u32_e32 v3, 1, v0
	v_subrev_u32_e32 v4, s26, v2
	v_cmp_le_u32_e32 vcc, s26, v2
	s_load_dwordx4 s[20:23], s[0:1], 0x0
	s_ashr_i32 s0, s3, 31
	v_cndmask_b32_e32 v0, v0, v3, vcc
	v_cndmask_b32_e32 v2, v2, v4, vcc
	s_ashr_i32 s1, s8, 31
	v_add_u32_e32 v3, 1, v0
	v_cmp_le_u32_e32 vcc, s26, v2
	s_xor_b32 s0, s0, s1
	v_mul_hi_u32 v1, s29, v1
	v_cndmask_b32_e32 v0, v0, v3, vcc
	v_xor_b32_e32 v0, s0, v0
	v_subrev_u32_e32 v2, s0, v0
	v_mul_lo_u32 v0, v1, s27
	v_sub_u32_e32 v0, s29, v0
	v_add_u32_e32 v3, 1, v1
	v_subrev_u32_e32 v4, s27, v0
	v_cmp_le_u32_e32 vcc, s27, v0
	s_ashr_i32 s8, s12, 31
	s_xor_b32 s0, s19, s8
	v_cndmask_b32_e32 v1, v1, v3, vcc
	v_cndmask_b32_e32 v0, v0, v4, vcc
	v_add_u32_e32 v3, 1, v1
	v_cmp_le_u32_e32 vcc, s27, v0
	v_mul_lo_u32 v2, v2, s9
	s_mul_hi_i32 s9, s14, s4
	v_cndmask_b32_e32 v0, v1, v3, vcc
	v_xor_b32_e32 v0, s0, v0
	v_subrev_u32_e32 v0, s0, v0
	s_mul_i32 s0, s2, s16
	v_mul_hi_i32 v1, v0, s13
	v_mul_lo_u32 v0, v0, s13
	v_ashrrev_i32_e32 v3, 31, v2
	s_ashr_i32 s1, s0, 31
	v_lshlrev_b64 v[0:1], 2, v[0:1]
	s_mul_i32 s8, s14, s4
	s_mul_i32 s12, s3, s10
	s_lshl_b64 s[0:1], s[0:1], 2
	v_lshlrev_b64 v[2:3], 2, v[2:3]
	s_waitcnt lgkmcnt(0)
	v_lshl_add_u64 v[4:5], s[20:21], 0, v[0:1]
	v_lshl_add_u64 v[2:3], v[2:3], 0, s[0:1]
	s_ashr_i32 s13, s12, 31
	s_lshl_b64 s[26:27], s[8:9], 2
	s_movk_i32 s8, 0x1080
	v_lshrrev_b32_e32 v7, 1, v39
	v_lshl_add_u64 v[16:17], v[2:3], 0, v[4:5]
	s_lshl_b64 s[0:1], s[12:13], 2
	v_mad_u32_u24 v5, v38, s8, 0
	v_lshlrev_b32_e32 v4, 2, v39
	v_mul_u32_u24_e32 v6, 0x108, v41
	v_and_b32_e32 v7, 0x1f8, v7
	v_lshlrev_b32_e32 v18, 8, v38
	v_mov_b32_e32 v19, 0
	v_lshl_add_u64 v[0:1], v[2:3], 0, v[0:1]
	s_add_u32 s22, s22, s0
	v_add_u32_e32 v43, v5, v4
	v_add3_u32 v44, v5, v6, v7
	v_lshl_add_u64 v[0:1], v[0:1], 0, v[18:19]
	v_mov_b32_e32 v5, v19
	s_addc_u32 s23, s23, s1
	v_lshl_add_u64 v[0:1], v[0:1], 0, v[4:5]
	v_lshlrev_b32_e32 v18, 9, v38
	s_add_u32 s0, s22, s26
	v_lshl_add_u64 v[20:21], s[20:21], 0, v[0:1]
	v_lshl_add_u64 v[0:1], s[26:27], 0, v[18:19]
	v_lshlrev_b32_e32 v18, 3, v39
	s_addc_u32 s1, s23, s27
	s_ashr_i32 s9, s16, 31
	s_mov_b32 s8, s16
	s_ashr_i32 s13, s17, 31
	s_mov_b32 s12, s17
	v_lshl_add_u64 v[0:1], v[0:1], 0, v[18:19]
	s_lshl_b64 s[8:9], s[8:9], 2
	s_lshl_b64 s[12:13], s[12:13], 3
	v_lshl_add_u64 v[22:23], s[22:23], 0, v[0:1]
	s_mul_i32 s10, s16, 63
	s_lshl_b32 s14, s17, 1
	s_mul_i32 s19, s17, 3
	s_lshl_b32 s26, s17, 2
	s_mul_i32 s27, s17, 5
	s_mul_i32 s28, s17, 6
	;; [unrolled: 1-line block ×3, first 2 shown]
	s_lshl_b32 s30, s17, 3
	s_mul_i32 s31, s17, 9
	s_mul_i32 s33, s17, 10
	;; [unrolled: 1-line block ×5, first 2 shown]
	s_lshl_b32 s37, s16, 1
	s_mul_i32 s38, s16, 3
	s_lshl_b32 s39, s16, 2
	s_mul_i32 s40, s16, 5
	s_mul_i32 s41, s16, 6
	;; [unrolled: 1-line block ×3, first 2 shown]
	s_lshl_b32 s43, s16, 3
	s_mul_i32 s44, s16, 9
	s_mul_i32 s45, s16, 10
	;; [unrolled: 1-line block ×7, first 2 shown]
	s_lshl_b32 s51, s16, 4
	s_mul_i32 s52, s16, 17
	s_mul_i32 s53, s16, 18
	;; [unrolled: 1-line block ×15, first 2 shown]
	s_lshl_b32 s67, s16, 5
	s_mul_i32 s68, s16, 33
	s_mul_i32 s69, s16, 34
	;; [unrolled: 1-line block ×11, first 2 shown]
	v_mov_b32_e32 v4, 0
	v_mov_b32_e32 v6, v19
	;; [unrolled: 1-line block ×15, first 2 shown]
	s_mul_i32 s79, s16, 44
	s_mul_i32 s80, s16, 45
	;; [unrolled: 1-line block ×19, first 2 shown]
	s_mov_b64 s[16:17], 0
	s_mov_b64 s[20:21], 0x500
	;; [unrolled: 1-line block ×3, first 2 shown]
.LBB113_4:                              ; =>This Inner Loop Header: Depth=1
	v_add_u32_e32 v32, s37, v42
	v_add_u32_e32 v36, s38, v42
	;; [unrolled: 1-line block ×4, first 2 shown]
	v_lshl_add_u64 v[26:27], v[20:21], 0, s[8:9]
	v_add_u32_e32 v46, s39, v42
	v_add_u32_e32 v60, s42, v42
	v_ashrrev_i32_e32 v33, 31, v32
	v_ashrrev_i32_e32 v37, 31, v36
	;; [unrolled: 1-line block ×4, first 2 shown]
	v_add_u32_e32 v62, s43, v42
	global_load_dword v52, v[26:27], off
	v_lshl_add_u64 v[26:27], v[32:33], 2, v[16:17]
	v_lshl_add_u64 v[32:33], v[36:37], 2, v[16:17]
	v_ashrrev_i32_e32 v47, 31, v46
	v_ashrrev_i32_e32 v61, 31, v60
	v_lshl_add_u64 v[24:25], v[24:25], 2, v[16:17]
	v_lshl_add_u64 v[28:29], v[28:29], 2, v[16:17]
	v_add_u32_e32 v64, s44, v42
	global_load_dword v49, v[26:27], off
	global_load_dword v53, v[32:33], off
	v_ashrrev_i32_e32 v63, 31, v62
	global_load_dword v24, v[24:25], off
	v_add_u32_e32 v66, s45, v42
	global_load_dword v25, v[28:29], off
	v_lshl_add_u64 v[32:33], v[46:47], 2, v[16:17]
	v_lshl_add_u64 v[46:47], v[60:61], 2, v[16:17]
	global_load_dword v54, v[32:33], off
	global_load_dword v61, v[46:47], off
	v_lshl_add_u64 v[46:47], v[62:63], 2, v[16:17]
	v_ashrrev_i32_e32 v65, 31, v64
	v_add_u32_e32 v68, s46, v42
	global_load_dword v62, v[46:47], off
	v_lshl_add_u64 v[46:47], v[64:65], 2, v[16:17]
	v_ashrrev_i32_e32 v67, 31, v66
	v_add_u32_e32 v70, s47, v42
	;; [unrolled: 4-line block ×6, first 2 shown]
	global_load_dword v71, v[46:47], off
	v_lshl_add_u64 v[46:47], v[74:75], 2, v[16:17]
	v_ashrrev_i32_e32 v77, 31, v76
	global_load_dword v72, v[46:47], off
	v_lshl_add_u64 v[46:47], v[76:77], 2, v[16:17]
	v_ashrrev_i32_e32 v79, 31, v78
	v_add_u32_e32 v30, s55, v42
	v_add_u32_e32 v26, s59, v42
	;; [unrolled: 1-line block ×3, first 2 shown]
	global_load_dword v75, v[46:47], off
	v_lshl_add_u64 v[46:47], v[78:79], 2, v[16:17]
	v_add_u32_e32 v78, s66, v42
	v_add_u32_e32 v50, s40, v42
	v_ashrrev_i32_e32 v31, 31, v30
	v_ashrrev_i32_e32 v27, 31, v26
	;; [unrolled: 1-line block ×4, first 2 shown]
	v_add_u32_e32 v58, s41, v42
	v_add_u32_e32 v80, s52, v42
	v_ashrrev_i32_e32 v51, 31, v50
	v_lshl_add_u64 v[30:31], v[30:31], 2, v[16:17]
	v_lshl_add_u64 v[26:27], v[26:27], 2, v[16:17]
	;; [unrolled: 1-line block ×4, first 2 shown]
	v_ashrrev_i32_e32 v59, 31, v58
	v_ashrrev_i32_e32 v81, 31, v80
	global_load_dword v30, v[30:31], off
	v_add_u32_e32 v82, s53, v42
	global_load_dword v36, v[36:37], off
	v_add_u32_e32 v34, s56, v42
	;; [unrolled: 2-line block ×3, first 2 shown]
	global_load_dword v27, v[28:29], off
	v_lshl_add_u64 v[32:33], v[50:51], 2, v[16:17]
	global_load_dword v57, v[32:33], off
	global_load_dword v18, v[46:47], off
	v_lshl_add_u64 v[32:33], v[58:59], 2, v[16:17]
	v_lshl_add_u64 v[46:47], v[80:81], 2, v[16:17]
	global_load_dword v58, v[32:33], off
	global_load_dword v45, v[46:47], off
	v_add_u32_e32 v32, s61, v42
	v_add_u32_e32 v50, s62, v42
	;; [unrolled: 1-line block ×4, first 2 shown]
	v_ashrrev_i32_e32 v83, 31, v82
	v_ashrrev_i32_e32 v35, 31, v34
	;; [unrolled: 1-line block ×4, first 2 shown]
	v_add_u32_e32 v76, s65, v42
	v_lshl_add_u64 v[46:47], v[82:83], 2, v[16:17]
	v_ashrrev_i32_e32 v85, 31, v84
	v_lshl_add_u64 v[34:35], v[34:35], 2, v[16:17]
	v_lshl_add_u64 v[28:29], v[32:33], 2, v[16:17]
	;; [unrolled: 1-line block ×3, first 2 shown]
	v_ashrrev_i32_e32 v87, 31, v86
	v_ashrrev_i32_e32 v89, 31, v88
	global_load_dword v46, v[46:47], off
	v_lshl_add_u64 v[80:81], v[84:85], 2, v[16:17]
	global_load_dword v31, v[34:35], off
	v_ashrrev_i32_e32 v77, 31, v76
	global_load_dword v28, v[28:29], off
	v_lshl_add_u64 v[34:35], v[88:89], 2, v[16:17]
	global_load_dword v29, v[32:33], off
	v_lshl_add_u64 v[32:33], v[86:87], 2, v[16:17]
	global_load_dword v47, v[80:81], off
	v_add_u32_e32 v82, s67, v42
	global_load_dword v32, v[32:33], off
	v_add_u32_e32 v78, s74, v42
	global_load_dword v33, v[34:35], off
	v_lshl_add_u64 v[34:35], v[76:77], 2, v[16:17]
	v_add_u32_e32 v76, s73, v42
	v_ashrrev_i32_e32 v77, 31, v76
	v_add_u32_e32 v80, s68, v42
	v_ashrrev_i32_e32 v83, 31, v82
	v_lshl_add_u64 v[76:77], v[76:77], 2, v[16:17]
	v_ashrrev_i32_e32 v79, 31, v78
	global_load_dword v34, v[34:35], off
	v_lshl_add_u64 v[50:51], v[82:83], 2, v[16:17]
	global_load_dword v56, v[76:77], off
	v_ashrrev_i32_e32 v81, 31, v80
	v_lshl_add_u64 v[76:77], v[78:79], 2, v[16:17]
	global_load_dword v35, v[50:51], off
	global_load_dword v59, v[76:77], off
	v_lshl_add_u64 v[50:51], v[80:81], 2, v[16:17]
	v_add_u32_e32 v80, s75, v42
	v_add_u32_e32 v84, s69, v42
	v_ashrrev_i32_e32 v81, 31, v80
	v_ashrrev_i32_e32 v85, 31, v84
	v_lshl_add_u64 v[76:77], v[80:81], 2, v[16:17]
	global_load_dword v37, v[50:51], off
	global_load_dword v60, v[76:77], off
	v_lshl_add_u64 v[50:51], v[84:85], 2, v[16:17]
	v_add_u32_e32 v84, s76, v42
	v_add_u32_e32 v90, s70, v42
	;; [unrolled: 1-line block ×3, first 2 shown]
	v_ashrrev_i32_e32 v85, 31, v84
	v_add_u32_e32 v92, s71, v42
	v_ashrrev_i32_e32 v91, 31, v90
	v_lshl_add_u64 v[76:77], v[84:85], 2, v[16:17]
	v_add_u32_e32 v80, s78, v42
	v_ashrrev_i32_e32 v79, 31, v78
	v_add_u32_e32 v86, s72, v42
	global_load_dword v48, v[50:51], off
	global_load_dword v64, v[76:77], off
	v_lshl_add_u64 v[50:51], v[90:91], 2, v[16:17]
	v_ashrrev_i32_e32 v93, 31, v92
	v_lshl_add_u64 v[76:77], v[78:79], 2, v[16:17]
	v_ashrrev_i32_e32 v81, 31, v80
	v_add_u32_e32 v78, s79, v42
	global_load_dword v50, v[50:51], off
	v_lshl_add_u64 v[82:83], v[92:93], 2, v[16:17]
	global_load_dword v66, v[76:77], off
	v_ashrrev_i32_e32 v87, 31, v86
	v_lshl_add_u64 v[76:77], v[80:81], 2, v[16:17]
	v_ashrrev_i32_e32 v79, 31, v78
	global_load_dword v51, v[82:83], off
	global_load_dword v69, v[76:77], off
	v_lshl_add_u64 v[82:83], v[86:87], 2, v[16:17]
	v_lshl_add_u64 v[76:77], v[78:79], 2, v[16:17]
	global_load_dword v55, v[82:83], off
	global_load_dword v70, v[76:77], off
	v_add_u32_e32 v76, s80, v42
	v_ashrrev_i32_e32 v77, 31, v76
	v_lshl_add_u64 v[76:77], v[76:77], 2, v[16:17]
	global_load_dword v73, v[76:77], off
	v_add_u32_e32 v76, s81, v42
	v_ashrrev_i32_e32 v77, 31, v76
	v_lshl_add_u64 v[76:77], v[76:77], 2, v[16:17]
	global_load_dword v74, v[76:77], off
	v_add_u32_e32 v76, s82, v42
	v_add_u32_e32 v78, s83, v42
	v_ashrrev_i32_e32 v77, 31, v76
	v_ashrrev_i32_e32 v79, 31, v78
	v_lshl_add_u64 v[76:77], v[76:77], 2, v[16:17]
	v_lshl_add_u64 v[78:79], v[78:79], 2, v[16:17]
	global_load_dword v76, v[76:77], off
	v_add_u32_e32 v80, s85, v42
	global_load_dword v77, v[78:79], off
	v_add_u32_e32 v78, s84, v42
	v_ashrrev_i32_e32 v79, 31, v78
	v_ashrrev_i32_e32 v81, 31, v80
	v_lshl_add_u64 v[78:79], v[78:79], 2, v[16:17]
	v_lshl_add_u64 v[80:81], v[80:81], 2, v[16:17]
	global_load_dword v78, v[78:79], off
	v_add_u32_e32 v82, s87, v42
	global_load_dword v79, v[80:81], off
	;; [unrolled: 8-line block ×8, first 2 shown]
	v_add_u32_e32 v92, s10, v42
	v_ashrrev_i32_e32 v93, 31, v92
	v_lshl_add_u64 v[92:93], v[92:93], 2, v[16:17]
	global_load_dword v92, v[92:93], off
	s_nop 0
	global_load_dword v93, v[20:21], off
	global_load_dwordx2 v[94:95], v[22:23], off
	s_waitcnt vmcnt(62)
	ds_write_b32 v43, v52 offset:264
	v_add_u32_e32 v52, s14, v42
	v_ashrrev_i32_e32 v97, 31, v96
	v_lshl_add_u64 v[96:97], v[96:97], 3, s[0:1]
	v_lshl_add_u64 v[20:21], v[20:21], 0, s[20:21]
	s_waitcnt vmcnt(1)
	ds_write_b32 v43, v93
	s_waitcnt vmcnt(0)
	v_cvt_f16_f32_e32 v93, v94
	v_cvt_f16_f32_e32 v106, v95
	v_lshl_add_u64 v[94:95], v[22:23], 0, s[12:13]
	global_load_dwordx2 v[94:95], v[94:95], off
	ds_write_b32 v43, v49 offset:528
	ds_write_b32 v43, v53 offset:792
	;; [unrolled: 1-line block ×14, first 2 shown]
	v_add_u32_e32 v62, s19, v42
	v_ashrrev_i32_e32 v53, 31, v52
	v_ashrrev_i32_e32 v63, 31, v62
	v_lshl_add_u64 v[52:53], v[52:53], 3, s[0:1]
	v_lshl_add_u64 v[62:63], v[62:63], 3, s[0:1]
	;; [unrolled: 1-line block ×3, first 2 shown]
	s_waitcnt vmcnt(0)
	v_cvt_f16_f32_e32 v110, v94
	v_add_u32_e32 v94, s26, v42
	v_cvt_f16_f32_e32 v111, v95
	v_ashrrev_i32_e32 v95, 31, v94
	v_lshl_add_u64 v[94:95], v[94:95], 3, s[0:1]
	global_load_dwordx2 v[52:53], v[52:53], off
	s_nop 0
	global_load_dwordx2 v[62:63], v[62:63], off
	s_nop 0
	;; [unrolled: 2-line block ×3, first 2 shown]
	global_load_dwordx2 v[96:97], v[96:97], off
	s_waitcnt vmcnt(3)
	v_cvt_f16_f32_e32 v112, v52
	s_waitcnt vmcnt(2)
	v_cvt_f16_f32_e32 v114, v62
	;; [unrolled: 2-line block ×4, first 2 shown]
	v_add_u32_e32 v52, s28, v42
	v_add_u32_e32 v62, s29, v42
	;; [unrolled: 1-line block ×4, first 2 shown]
	v_cvt_f16_f32_e32 v113, v53
	v_cvt_f16_f32_e32 v115, v63
	;; [unrolled: 1-line block ×4, first 2 shown]
	v_ashrrev_i32_e32 v53, 31, v52
	v_ashrrev_i32_e32 v63, 31, v62
	v_ashrrev_i32_e32 v95, 31, v94
	v_ashrrev_i32_e32 v97, 31, v96
	v_lshl_add_u64 v[52:53], v[52:53], 3, s[0:1]
	v_lshl_add_u64 v[62:63], v[62:63], 3, s[0:1]
	;; [unrolled: 1-line block ×4, first 2 shown]
	global_load_dwordx2 v[52:53], v[52:53], off
	s_nop 0
	global_load_dwordx2 v[62:63], v[62:63], off
	s_nop 0
	;; [unrolled: 2-line block ×3, first 2 shown]
	global_load_dwordx2 v[96:97], v[96:97], off
	s_waitcnt vmcnt(3)
	v_cvt_f16_f32_e32 v120, v52
	s_waitcnt vmcnt(2)
	v_cvt_f16_f32_e32 v122, v62
	;; [unrolled: 2-line block ×4, first 2 shown]
	v_add_u32_e32 v52, s33, v42
	v_add_u32_e32 v62, s34, v42
	;; [unrolled: 1-line block ×4, first 2 shown]
	v_cvt_f16_f32_e32 v121, v53
	v_cvt_f16_f32_e32 v123, v63
	v_cvt_f16_f32_e32 v125, v95
	v_cvt_f16_f32_e32 v127, v97
	v_ashrrev_i32_e32 v53, 31, v52
	v_ashrrev_i32_e32 v63, 31, v62
	;; [unrolled: 1-line block ×4, first 2 shown]
	v_lshl_add_u64 v[52:53], v[52:53], 3, s[0:1]
	v_lshl_add_u64 v[62:63], v[62:63], 3, s[0:1]
	;; [unrolled: 1-line block ×4, first 2 shown]
	global_load_dwordx2 v[52:53], v[52:53], off
	s_nop 0
	global_load_dwordx2 v[62:63], v[62:63], off
	s_nop 0
	;; [unrolled: 2-line block ×3, first 2 shown]
	global_load_dwordx2 v[96:97], v[96:97], off
	v_add_u32_e32 v42, 0x140, v42
	v_cmp_le_i32_e32 vcc, s5, v42
	s_or_b64 s[16:17], vcc, s[16:17]
	s_waitcnt vmcnt(3)
	v_cvt_f16_f32_e32 v128, v52
	v_cvt_f16_f32_e32 v129, v53
	s_waitcnt vmcnt(2)
	v_cvt_f16_f32_e32 v130, v62
	v_cvt_f16_f32_e32 v131, v63
	;; [unrolled: 3-line block ×4, first 2 shown]
	ds_read_b64 v[52:53], v44
	ds_read_b64 v[62:63], v44 offset:32
	ds_read_b64 v[94:95], v44 offset:64
	;; [unrolled: 1-line block ×7, first 2 shown]
	ds_write_b32 v43, v18
	ds_write_b32 v43, v45 offset:264
	ds_write_b32 v43, v46 offset:528
	;; [unrolled: 1-line block ×15, first 2 shown]
	v_pack_b32_f16 v18, v93, v106
	ds_read_b64 v[24:25], v44
	ds_read_b64 v[26:27], v44 offset:32
	ds_read_b64 v[28:29], v44 offset:64
	;; [unrolled: 1-line block ×7, first 2 shown]
	ds_write_b32 v43, v35
	ds_write_b32 v43, v37 offset:264
	ds_write_b32 v43, v48 offset:528
	;; [unrolled: 1-line block ×15, first 2 shown]
	ds_read_b64 v[34:35], v44
	ds_read_b64 v[36:37], v44 offset:32
	ds_read_b64 v[48:49], v44 offset:64
	;; [unrolled: 1-line block ×7, first 2 shown]
	ds_write_b32 v43, v77
	ds_write_b32 v43, v78 offset:264
	ds_write_b32 v43, v79 offset:528
	;; [unrolled: 1-line block ×15, first 2 shown]
	v_pack_b32_f16 v45, v110, v111
	ds_read_b64 v[64:65], v44
	ds_read_b64 v[66:67], v44 offset:32
	ds_read_b64 v[68:69], v44 offset:64
	;; [unrolled: 1-line block ×7, first 2 shown]
	ds_write_b32 v43, v18
	ds_write_b32 v43, v45 offset:264
	v_pack_b32_f16 v18, v112, v113
	v_pack_b32_f16 v45, v114, v115
	;; [unrolled: 1-line block ×12, first 2 shown]
	ds_write_b32 v43, v18 offset:528
	ds_write_b32 v43, v45 offset:792
	;; [unrolled: 1-line block ×14, first 2 shown]
	ds_read_b64 v[80:81], v44
	ds_read_b64 v[82:83], v44 offset:32
	ds_read_b64 v[84:85], v44 offset:64
	;; [unrolled: 1-line block ×3, first 2 shown]
	s_waitcnt lgkmcnt(3)
	v_mfma_f32_16x16x16_f16 v[12:15], v[52:53], v[80:81], v[12:15]
	v_mfma_f32_16x16x16_f16 v[8:11], v[24:25], v[80:81], v[8:11]
	ds_read_b64 v[24:25], v44 offset:128
	v_mfma_f32_16x16x16_f16 v[0:3], v[34:35], v[80:81], v[0:3]
	v_mfma_f32_16x16x16_f16 v[4:7], v[64:65], v[80:81], v[4:7]
	s_waitcnt lgkmcnt(3)
	v_mfma_f32_16x16x16_f16 v[12:15], v[62:63], v[82:83], v[12:15]
	v_mfma_f32_16x16x16_f16 v[8:11], v[26:27], v[82:83], v[8:11]
	v_mfma_f32_16x16x16_f16 v[0:3], v[36:37], v[82:83], v[0:3]
	v_mfma_f32_16x16x16_f16 v[4:7], v[66:67], v[82:83], v[4:7]
	s_waitcnt lgkmcnt(2)
	v_mfma_f32_16x16x16_f16 v[12:15], v[94:95], v[84:85], v[12:15]
	v_mfma_f32_16x16x16_f16 v[8:11], v[28:29], v[84:85], v[8:11]
	;; [unrolled: 5-line block ×3, first 2 shown]
	ds_read_b64 v[26:27], v44 offset:160
	ds_read_b64 v[28:29], v44 offset:192
	;; [unrolled: 1-line block ×3, first 2 shown]
	v_mfma_f32_16x16x16_f16 v[0:3], v[50:51], v[86:87], v[0:3]
	v_mfma_f32_16x16x16_f16 v[4:7], v[70:71], v[86:87], v[4:7]
	s_waitcnt lgkmcnt(3)
	v_mfma_f32_16x16x16_f16 v[12:15], v[98:99], v[24:25], v[12:15]
	v_mfma_f32_16x16x16_f16 v[8:11], v[32:33], v[24:25], v[8:11]
	v_mfma_f32_16x16x16_f16 v[0:3], v[54:55], v[24:25], v[0:3]
	v_mfma_f32_16x16x16_f16 v[4:7], v[72:73], v[24:25], v[4:7]
	s_waitcnt lgkmcnt(2)
	v_mfma_f32_16x16x16_f16 v[12:15], v[100:101], v[26:27], v[12:15]
	v_mfma_f32_16x16x16_f16 v[8:11], v[46:47], v[26:27], v[8:11]
	;; [unrolled: 5-line block ×4, first 2 shown]
	v_mfma_f32_16x16x16_f16 v[0:3], v[60:61], v[30:31], v[0:3]
	v_mfma_f32_16x16x16_f16 v[4:7], v[78:79], v[30:31], v[4:7]
	s_andn2_b64 exec, exec, s[16:17]
	s_cbranch_execnz .LBB113_4
; %bb.5:
	s_or_b64 exec, exec, s[16:17]
.LBB113_6:
	s_or_b64 exec, exec, s[24:25]
	v_mul_u32_u24_e32 v16, 0x508, v41
	v_lshlrev_b32_e32 v17, 2, v40
	s_waitcnt lgkmcnt(0)
	s_mul_hi_i32 s1, s15, s4
	s_mul_i32 s0, s15, s4
	v_add3_u32 v16, 0, v16, v17
	v_and_b32_e32 v17, 0x3f0, v39
	s_lshl_b64 s[0:1], s[0:1], 2
	v_add_u32_e32 v17, v16, v17
	s_mul_i32 s4, s3, s11
	s_add_u32 s3, s6, s0
	s_barrier
	ds_write2_b32 v17, v12, v13 offset1:1
	ds_write_b32 v17, v14 offset:8
	v_or_b32_e32 v12, 12, v39
	s_addc_u32 s6, s7, s1
	s_ashr_i32 s5, s4, 31
	v_and_b32_e32 v12, 0x3fc, v12
	s_lshl_b64 s[0:1], s[4:5], 2
	v_add_u32_e32 v12, v16, v12
	s_add_u32 s0, s3, s0
	s_movk_i32 s3, 0x508
	ds_write_b32 v12, v15
	ds_write2_b32 v17, v8, v9 offset0:16 offset1:17
	ds_write_b32 v17, v10 offset:72
	ds_write_b32 v12, v11 offset:64
	ds_write2_b32 v17, v0, v1 offset0:32 offset1:33
	ds_write_b32 v17, v2 offset:136
	ds_write_b32 v12, v3 offset:128
	;; [unrolled: 3-line block ×3, first 2 shown]
	v_lshl_add_u32 v2, v39, 2, 0
	v_mad_u32_u24 v3, v38, s3, v2
	s_waitcnt lgkmcnt(0)
	s_barrier
	ds_read2st64_b32 v[0:1], v3 offset1:1
	ds_read2st64_b32 v[4:5], v3 offset0:2 offset1:3
	ds_read_b32 v6, v3 offset:1024
	ds_read_b32 v10, v3 offset:7464
	v_add_u32_e32 v3, 40, v3
	s_addc_u32 s1, s6, s1
	v_cmp_gt_u32_e32 vcc, 4, v38
	s_waitcnt lgkmcnt(3)
	v_add_f32_e32 v0, 0, v0
	v_add_f32_e32 v0, v0, v1
	s_waitcnt lgkmcnt(2)
	v_add_f32_e32 v0, v0, v4
	v_add_f32_e32 v0, v0, v5
	ds_read2st64_b32 v[4:5], v3 offset0:25 offset1:26
	s_waitcnt lgkmcnt(2)
	v_add_f32_e32 v11, v0, v6
	ds_read2st64_b32 v[6:7], v3 offset0:27 offset1:28
	v_mul_lo_u32 v0, v38, s18
	v_add3_u32 v0, s2, v39, v0
	s_waitcnt lgkmcnt(1)
	v_add_f32_e32 v3, 0, v4
	v_add_f32_e32 v3, v3, v5
	v_mov_b32_e32 v1, 0
	s_waitcnt lgkmcnt(0)
	v_add_f32_e32 v3, v3, v6
	s_mul_i32 s2, s18, 5
	v_lshl_add_u64 v[8:9], v[0:1], 2, s[0:1]
	v_add_f32_e32 v3, v3, v7
	v_add_u32_e32 v0, s2, v0
	v_add_f32_e32 v3, v3, v10
	v_lshl_add_u64 v[4:5], v[0:1], 2, s[0:1]
	global_store_dword v[8:9], v11, off
	global_store_dword v[4:5], v3, off
	s_and_saveexec_b64 s[4:5], vcc
	s_cbranch_execz .LBB113_8
; %bb.7:
	v_mul_u32_u24_e32 v3, 0x508, v38
	v_add_u32_e32 v6, v2, v3
	v_add_u32_e32 v4, 0x50, v6
	ds_read2st64_b32 v[2:3], v4 offset0:50 offset1:51
	ds_read2st64_b32 v[4:5], v4 offset0:52 offset1:53
	ds_read_b32 v6, v6 offset:13904
	v_add_u32_e32 v0, s2, v0
	v_lshl_add_u64 v[0:1], v[0:1], 2, s[0:1]
	s_waitcnt lgkmcnt(2)
	v_add_f32_e32 v2, 0, v2
	v_add_f32_e32 v2, v2, v3
	s_waitcnt lgkmcnt(1)
	v_add_f32_e32 v2, v2, v4
	v_add_f32_e32 v2, v2, v5
	s_waitcnt lgkmcnt(0)
	v_add_f32_e32 v2, v2, v6
	global_store_dword v[0:1], v2, off
.LBB113_8:
	s_endpgm
	.section	.rodata,"a",@progbits
	.p2align	6, 0x0
	.amdhsa_kernel _ZL9mul_mat_fI7__half2Li64ELi14ELi5ELb0EEvPKT_PKfPKiPfiiiiiiiiiiiiiiii
		.amdhsa_group_segment_fixed_size 0
		.amdhsa_private_segment_fixed_size 0
		.amdhsa_kernarg_size 96
		.amdhsa_user_sgpr_count 2
		.amdhsa_user_sgpr_dispatch_ptr 0
		.amdhsa_user_sgpr_queue_ptr 0
		.amdhsa_user_sgpr_kernarg_segment_ptr 1
		.amdhsa_user_sgpr_dispatch_id 0
		.amdhsa_user_sgpr_kernarg_preload_length 0
		.amdhsa_user_sgpr_kernarg_preload_offset 0
		.amdhsa_user_sgpr_private_segment_size 0
		.amdhsa_uses_dynamic_stack 0
		.amdhsa_enable_private_segment 0
		.amdhsa_system_sgpr_workgroup_id_x 1
		.amdhsa_system_sgpr_workgroup_id_y 1
		.amdhsa_system_sgpr_workgroup_id_z 1
		.amdhsa_system_sgpr_workgroup_info 0
		.amdhsa_system_vgpr_workitem_id 1
		.amdhsa_next_free_vgpr 136
		.amdhsa_next_free_sgpr 98
		.amdhsa_accum_offset 136
		.amdhsa_reserve_vcc 1
		.amdhsa_float_round_mode_32 0
		.amdhsa_float_round_mode_16_64 0
		.amdhsa_float_denorm_mode_32 3
		.amdhsa_float_denorm_mode_16_64 3
		.amdhsa_dx10_clamp 1
		.amdhsa_ieee_mode 1
		.amdhsa_fp16_overflow 0
		.amdhsa_tg_split 0
		.amdhsa_exception_fp_ieee_invalid_op 0
		.amdhsa_exception_fp_denorm_src 0
		.amdhsa_exception_fp_ieee_div_zero 0
		.amdhsa_exception_fp_ieee_overflow 0
		.amdhsa_exception_fp_ieee_underflow 0
		.amdhsa_exception_fp_ieee_inexact 0
		.amdhsa_exception_int_div_zero 0
	.end_amdhsa_kernel
	.section	.text._ZL9mul_mat_fI7__half2Li64ELi14ELi5ELb0EEvPKT_PKfPKiPfiiiiiiiiiiiiiiii,"axG",@progbits,_ZL9mul_mat_fI7__half2Li64ELi14ELi5ELb0EEvPKT_PKfPKiPfiiiiiiiiiiiiiiii,comdat
.Lfunc_end113:
	.size	_ZL9mul_mat_fI7__half2Li64ELi14ELi5ELb0EEvPKT_PKfPKiPfiiiiiiiiiiiiiiii, .Lfunc_end113-_ZL9mul_mat_fI7__half2Li64ELi14ELi5ELb0EEvPKT_PKfPKiPfiiiiiiiiiiiiiiii
                                        ; -- End function
	.section	.AMDGPU.csdata,"",@progbits
; Kernel info:
; codeLenInByte = 5024
; NumSgprs: 104
; NumVgprs: 136
; NumAgprs: 0
; TotalNumVgprs: 136
; ScratchSize: 0
; MemoryBound: 0
; FloatMode: 240
; IeeeMode: 1
; LDSByteSize: 0 bytes/workgroup (compile time only)
; SGPRBlocks: 12
; VGPRBlocks: 16
; NumSGPRsForWavesPerEU: 104
; NumVGPRsForWavesPerEU: 136
; AccumOffset: 136
; Occupancy: 3
; WaveLimiterHint : 0
; COMPUTE_PGM_RSRC2:SCRATCH_EN: 0
; COMPUTE_PGM_RSRC2:USER_SGPR: 2
; COMPUTE_PGM_RSRC2:TRAP_HANDLER: 0
; COMPUTE_PGM_RSRC2:TGID_X_EN: 1
; COMPUTE_PGM_RSRC2:TGID_Y_EN: 1
; COMPUTE_PGM_RSRC2:TGID_Z_EN: 1
; COMPUTE_PGM_RSRC2:TIDIG_COMP_CNT: 1
; COMPUTE_PGM_RSRC3_GFX90A:ACCUM_OFFSET: 33
; COMPUTE_PGM_RSRC3_GFX90A:TG_SPLIT: 0
	.section	.text._ZL13mul_mat_f_idsI7__half2Li64ELi14ELi6EEvPKT_PKfPKiS7_S7_Pfiiiiiiiiiiiiii15HIP_vector_typeIjLj3EESA_,"axG",@progbits,_ZL13mul_mat_f_idsI7__half2Li64ELi14ELi6EEvPKT_PKfPKiS7_S7_Pfiiiiiiiiiiiiii15HIP_vector_typeIjLj3EESA_,comdat
	.globl	_ZL13mul_mat_f_idsI7__half2Li64ELi14ELi6EEvPKT_PKfPKiS7_S7_Pfiiiiiiiiiiiiii15HIP_vector_typeIjLj3EESA_ ; -- Begin function _ZL13mul_mat_f_idsI7__half2Li64ELi14ELi6EEvPKT_PKfPKiS7_S7_Pfiiiiiiiiiiiiii15HIP_vector_typeIjLj3EESA_
	.p2align	8
	.type	_ZL13mul_mat_f_idsI7__half2Li64ELi14ELi6EEvPKT_PKfPKiS7_S7_Pfiiiiiiiiiiiiii15HIP_vector_typeIjLj3EESA_,@function
_ZL13mul_mat_f_idsI7__half2Li64ELi14ELi6EEvPKT_PKfPKiS7_S7_Pfiiiiiiiiiiiiii15HIP_vector_typeIjLj3EESA_: ; @_ZL13mul_mat_f_idsI7__half2Li64ELi14ELi6EEvPKT_PKfPKiS7_S7_Pfiiiiiiiiiiiiii15HIP_vector_typeIjLj3EESA_
; %bb.0:
	s_load_dwordx2 s[6:7], s[0:1], 0x20
	s_mov_b32 s34, s3
	s_ashr_i32 s35, s3, 31
	s_lshl_b64 s[8:9], s[34:35], 2
	s_waitcnt lgkmcnt(0)
	s_add_u32 s6, s6, s8
	s_addc_u32 s7, s7, s9
	s_load_dwordx2 s[26:27], s[6:7], 0x0
	s_waitcnt lgkmcnt(0)
	s_sub_i32 s33, s27, s26
	s_add_i32 s3, s33, 13
	s_mul_hi_i32 s5, s3, 0x92492493
	s_add_i32 s5, s5, s3
	s_lshr_b32 s3, s5, 31
	s_ashr_i32 s5, s5, 3
	s_add_i32 s5, s5, s3
	s_cmp_ge_i32 s4, s5
	s_cbranch_scc1 .LBB114_59
; %bb.1:
	v_bfe_u32 v16, v0, 10, 10
	v_lshlrev_b32_e32 v114, 6, v16
	v_and_b32_e32 v17, 0x3ff, v0
	s_load_dwordx4 s[12:15], s[0:1], 0x30
	s_load_dwordx2 s[20:21], s[0:1], 0x40
	s_load_dwordx4 s[8:11], s[0:1], 0x4c
	s_load_dwordx4 s[16:19], s[0:1], 0x68
	s_load_dwordx2 s[24:25], s[0:1], 0x78
	v_add_u32_e32 v116, v114, v17
	s_ashr_i32 s27, s26, 31
	s_waitcnt lgkmcnt(0)
	v_cmp_le_i32_e32 vcc, s12, v116
	v_and_b32_e32 v115, 15, v17
                                        ; implicit-def: $sgpr3
	s_and_saveexec_b64 s[6:7], vcc
	s_xor_b64 s[6:7], exec, s[6:7]
; %bb.2:
	v_and_b32_e32 v115, 15, v17
	s_mov_b32 s3, 0
                                        ; implicit-def: $vgpr116
; %bb.3:
	s_or_saveexec_b64 s[28:29], s[6:7]
	s_load_dwordx2 s[22:23], s[0:1], 0x18
	s_load_dwordx2 s[6:7], s[0:1], 0x28
                                        ; implicit-def: $vgpr119 : SGPR spill to VGPR lane
	s_lshl_b32 s11, s2, 6
	s_mul_i32 s2, s4, 14
	v_mov_b32_e32 v15, s3
	v_mov_b32_e32 v14, s3
	s_waitcnt lgkmcnt(0)
	v_writelane_b32 v119, s6, 0
	v_mov_b32_e32 v13, s3
	v_mov_b32_e32 v12, s3
	;; [unrolled: 1-line block ×14, first 2 shown]
	v_writelane_b32 v119, s7, 1
	s_xor_b64 exec, exec, s[28:29]
	s_cbranch_execz .LBB114_49
; %bb.4:
	v_writelane_b32 v119, s28, 2
	s_movk_i32 s3, 0x1080
	v_mad_u32_u24 v1, v16, s3, 0
	v_writelane_b32 v119, s29, 3
	v_writelane_b32 v119, s22, 4
	v_lshrrev_b32_e32 v3, 1, v17
	v_mov_b32_e32 v19, 0
	v_writelane_b32 v119, s23, 5
	v_writelane_b32 v119, s24, 6
	s_load_dwordx4 s[4:7], s[0:1], 0x0
	s_load_dwordx2 s[22:23], s[0:1], 0x10
	v_writelane_b32 v119, s25, 7
	s_mul_i32 s0, s34, s8
	s_mul_i32 s24, s11, s15
	s_ashr_i32 s1, s0, 31
	s_ashr_i32 s25, s24, 31
	s_lshl_b64 s[24:25], s[24:25], 2
	s_lshl_b64 s[0:1], s[0:1], 2
	s_add_u32 s24, s0, s24
	v_writelane_b32 v119, s11, 8
	s_addc_u32 s25, s1, s25
	s_waitcnt lgkmcnt(0)
	s_add_u32 s0, s24, s4
	v_writelane_b32 v119, s26, 9
	s_addc_u32 s1, s25, s5
	v_lshlrev_b32_e32 v0, 2, v17
	v_writelane_b32 v119, s27, 10
	s_lshl_b64 s[26:27], s[26:27], 2
	s_add_u32 s8, s22, s26
	s_addc_u32 s11, s23, s27
	s_cmp_lt_i32 s2, s33
	s_cselect_b64 s[34:35], -1, 0
	s_ashr_i32 s3, s2, 31
	s_lshl_b64 s[22:23], s[2:3], 2
	s_add_u32 s36, s8, s22
	s_addc_u32 s37, s11, s23
	s_or_b32 s3, s2, 1
	s_cmp_lt_i32 s3, s33
	s_cselect_b64 s[38:39], -1, 0
	s_add_i32 s3, s2, 2
	s_cmp_lt_i32 s3, s33
	s_cselect_b64 s[40:41], -1, 0
	s_add_i32 s3, s2, 3
	;; [unrolled: 3-line block ×3, first 2 shown]
	v_mul_u32_u24_e32 v2, 0x108, v115
	v_and_b32_e32 v3, 0x1f8, v3
	s_cmp_lt_i32 s3, s33
	v_lshlrev_b32_e32 v18, 8, v16
	v_add_u32_e32 v117, v1, v0
	v_add3_u32 v118, v1, v2, v3
	s_cselect_b64 s[44:45], -1, 0
	s_add_i32 s3, s2, 5
	v_lshl_add_u64 v[2:3], s[24:25], 0, v[18:19]
	v_mov_b32_e32 v1, v19
	s_cmp_lt_i32 s3, s33
	v_lshl_add_u64 v[0:1], v[2:3], 0, v[0:1]
	s_cselect_b64 s[46:47], -1, 0
	s_add_i32 s3, s2, 6
	v_lshl_add_u64 v[20:21], s[4:5], 0, v[0:1]
	s_mul_i32 s4, s15, 3
	s_cmp_lt_i32 s3, s33
	v_writelane_b32 v119, s4, 11
	s_mul_i32 s4, s15, 5
	s_cselect_b64 s[48:49], -1, 0
	s_add_i32 s3, s2, 7
	v_writelane_b32 v119, s4, 12
	s_mul_i32 s4, s15, 6
	s_cmp_lt_i32 s3, s33
	v_writelane_b32 v119, s4, 13
	s_mul_i32 s4, s15, 7
	s_cselect_b64 s[50:51], -1, 0
	s_add_i32 s3, s2, 8
	v_writelane_b32 v119, s4, 14
	s_mul_i32 s4, s15, 9
	s_cmp_lt_i32 s3, s33
	v_writelane_b32 v119, s4, 15
	s_mul_i32 s4, s15, 10
	s_cselect_b64 s[52:53], -1, 0
	s_add_i32 s3, s2, 9
	v_writelane_b32 v119, s4, 16
	s_mul_i32 s4, s15, 11
	s_cmp_lt_i32 s3, s33
	v_writelane_b32 v119, s4, 17
	s_mul_i32 s4, s15, 12
	s_cselect_b64 s[54:55], -1, 0
	s_add_i32 s3, s2, 10
	v_writelane_b32 v119, s4, 18
	s_mul_i32 s4, s15, 13
	s_cmp_lt_i32 s3, s33
	v_writelane_b32 v119, s4, 19
	s_mul_i32 s4, s15, 14
	s_cselect_b64 s[56:57], -1, 0
	s_add_i32 s3, s2, 11
	v_writelane_b32 v119, s4, 20
	s_mul_i32 s4, s15, 15
	s_cmp_lt_i32 s3, s33
	v_writelane_b32 v119, s4, 21
	s_mul_i32 s4, s15, 17
	s_cselect_b64 s[58:59], -1, 0
	s_add_i32 s3, s2, 12
	v_writelane_b32 v119, s4, 22
	s_mul_i32 s4, s15, 18
	s_cmp_lt_i32 s3, s33
	v_writelane_b32 v119, s4, 23
	s_mul_i32 s4, s15, 19
	s_cselect_b64 s[60:61], -1, 0
	s_add_i32 s3, s2, 13
	v_writelane_b32 v119, s4, 24
	s_mul_i32 s4, s15, 20
	s_cmp_lt_i32 s3, s33
	v_writelane_b32 v119, s4, 25
	s_mul_i32 s4, s15, 21
	s_cselect_b64 s[62:63], -1, 0
	s_ashr_i32 s23, s15, 31
	s_mov_b32 s22, s15
	v_writelane_b32 v119, s4, 26
	s_mul_i32 s4, s15, 22
	s_lshl_b64 s[64:65], s[22:23], 2
	s_lshl_b32 s3, s15, 1
	s_lshl_b32 s68, s15, 2
	;; [unrolled: 1-line block ×4, first 2 shown]
	v_writelane_b32 v119, s4, 27
	s_mul_i32 s87, s15, 23
	s_mul_i32 s88, s15, 24
	;; [unrolled: 1-line block ×5, first 2 shown]
	v_mov_b32_e32 v8, 0
	v_mov_b32_e32 v9, v19
	;; [unrolled: 1-line block ×16, first 2 shown]
	s_mul_i32 s92, s15, 28
	s_mul_i32 s93, s15, 29
	;; [unrolled: 1-line block ×4, first 2 shown]
	s_lshl_b32 s96, s15, 5
	s_mul_i32 s97, s15, 33
	s_mul_i32 s98, s15, 34
	;; [unrolled: 1-line block ×31, first 2 shown]
	s_mov_b64 s[4:5], 0
	s_mov_b64 s[66:67], 0x600
	s_branch .LBB114_6
.LBB114_5:                              ;   in Loop: Header=BB114_6 Depth=1
	s_waitcnt vmcnt(0)
	v_cvt_f16_f32_e32 v18, v86
	v_cvt_f16_f32_e32 v86, v87
	;; [unrolled: 1-line block ×6, first 2 shown]
	v_pack_b32_f16 v18, v18, v86
	v_pack_b32_f16 v86, v87, v90
	ds_write2_b32 v117, v18, v86 offset1:66
	v_cvt_f16_f32_e32 v86, v94
	v_cvt_f16_f32_e32 v87, v95
	v_pack_b32_f16 v18, v88, v89
	v_cvt_f16_f32_e32 v88, v92
	v_cvt_f16_f32_e32 v89, v93
	;; [unrolled: 1-line block ×4, first 2 shown]
	v_pack_b32_f16 v86, v86, v87
	ds_write2_b32 v117, v18, v86 offset0:132 offset1:198
	v_pack_b32_f16 v18, v88, v89
	v_cvt_f16_f32_e32 v87, v96
	v_cvt_f16_f32_e32 v88, v97
	v_pack_b32_f16 v86, v90, v91
	v_cvt_f16_f32_e32 v89, v102
	v_cvt_f16_f32_e32 v90, v103
	v_add_u32_e32 v91, 0x400, v117
	ds_write2_b32 v91, v18, v86 offset0:8 offset1:74
	v_pack_b32_f16 v18, v87, v88
	v_cvt_f16_f32_e32 v87, v100
	v_cvt_f16_f32_e32 v88, v101
	v_pack_b32_f16 v86, v89, v90
	ds_write2_b32 v91, v18, v86 offset0:140 offset1:206
	v_cvt_f16_f32_e32 v18, v106
	v_cvt_f16_f32_e32 v86, v107
	v_pack_b32_f16 v87, v87, v88
	v_cvt_f16_f32_e32 v88, v104
	v_cvt_f16_f32_e32 v89, v105
	v_pack_b32_f16 v18, v18, v86
	v_add_u32_e32 v86, 0x800, v117
	ds_write2_b32 v86, v87, v18 offset0:16 offset1:82
	v_pack_b32_f16 v18, v88, v89
	v_cvt_f16_f32_e32 v87, v110
	v_cvt_f16_f32_e32 v88, v111
	;; [unrolled: 1-line block ×6, first 2 shown]
	v_pack_b32_f16 v87, v87, v88
	ds_write2_b32 v86, v18, v87 offset0:148 offset1:214
	v_pack_b32_f16 v18, v89, v90
	v_pack_b32_f16 v86, v91, v92
	v_add_u32_e32 v87, 0xc00, v117
	ds_write2_b32 v87, v18, v86 offset0:24 offset1:90
	ds_write2_b32 v87, v19, v19 offset0:156 offset1:222
	ds_read2_b64 v[86:89], v118 offset1:4
	s_waitcnt lgkmcnt(0)
	v_mfma_f32_16x16x16_f16 v[0:3], v[70:71], v[86:87], v[0:3]
	v_add_u32_e32 v116, 0x180, v116
	v_cmp_le_i32_e32 vcc, s12, v116
	v_lshl_add_u64 v[20:21], v[20:21], 0, s[66:67]
	v_mfma_f32_16x16x16_f16 v[8:11], v[38:39], v[86:87], v[8:11]
	s_or_b64 s[4:5], vcc, s[4:5]
	v_mfma_f32_16x16x16_f16 v[4:7], v[54:55], v[86:87], v[4:7]
	v_mfma_f32_16x16x16_f16 v[12:15], v[84:85], v[86:87], v[12:15]
	v_mfma_f32_16x16x16_f16 v[0:3], v[68:69], v[88:89], v[0:3]
	ds_read2_b64 v[68:71], v118 offset0:8 offset1:12
	v_mfma_f32_16x16x16_f16 v[8:11], v[34:35], v[88:89], v[8:11]
	v_mfma_f32_16x16x16_f16 v[4:7], v[50:51], v[88:89], v[4:7]
	v_mfma_f32_16x16x16_f16 v[12:15], v[82:83], v[88:89], v[12:15]
	s_waitcnt lgkmcnt(0)
	v_mfma_f32_16x16x16_f16 v[8:11], v[32:33], v[68:69], v[8:11]
	v_mfma_f32_16x16x16_f16 v[4:7], v[48:49], v[68:69], v[4:7]
	v_mfma_f32_16x16x16_f16 v[0:3], v[66:67], v[68:69], v[0:3]
	v_mfma_f32_16x16x16_f16 v[12:15], v[78:79], v[68:69], v[12:15]
	v_mfma_f32_16x16x16_f16 v[8:11], v[30:31], v[70:71], v[8:11]
	ds_read2_b64 v[30:33], v118 offset0:16 offset1:20
	v_mfma_f32_16x16x16_f16 v[4:7], v[46:47], v[70:71], v[4:7]
	v_mfma_f32_16x16x16_f16 v[0:3], v[64:65], v[70:71], v[0:3]
	v_mfma_f32_16x16x16_f16 v[12:15], v[74:75], v[70:71], v[12:15]
	s_waitcnt lgkmcnt(0)
	v_mfma_f32_16x16x16_f16 v[8:11], v[28:29], v[30:31], v[8:11]
	v_mfma_f32_16x16x16_f16 v[4:7], v[44:45], v[30:31], v[4:7]
	;; [unrolled: 10-line block ×3, first 2 shown]
	v_mfma_f32_16x16x16_f16 v[0:3], v[56:57], v[26:27], v[0:3]
	v_mfma_f32_16x16x16_f16 v[12:15], v[72:73], v[26:27], v[12:15]
	;; [unrolled: 1-line block ×6, first 2 shown]
	s_andn2_b64 exec, exec, s[4:5]
	s_cbranch_execz .LBB114_48
.LBB114_6:                              ; =>This Inner Loop Header: Depth=1
	v_readlane_b32 s86, v119, 11
	v_lshl_add_u64 v[22:23], v[20:21], 0, s[64:65]
	global_load_dword v18, v[20:21], off
	global_load_dword v48, v[22:23], off
	v_add_u32_e32 v24, s86, v116
	v_readlane_b32 s86, v119, 12
	v_add_u32_e32 v22, s3, v116
	v_ashrrev_i32_e32 v23, 31, v22
	v_add_u32_e32 v28, s86, v116
	v_readlane_b32 s86, v119, 13
	v_add_u32_e32 v26, s68, v116
	v_lshl_add_u64 v[22:23], v[22:23], 2, s[0:1]
	v_add_u32_e32 v30, s86, v116
	v_readlane_b32 s86, v119, 14
	v_ashrrev_i32_e32 v25, 31, v24
	v_ashrrev_i32_e32 v27, 31, v26
	v_add_u32_e32 v32, s86, v116
	v_ashrrev_i32_e32 v29, 31, v28
	v_ashrrev_i32_e32 v31, 31, v30
	;; [unrolled: 1-line block ×3, first 2 shown]
	v_lshl_add_u64 v[24:25], v[24:25], 2, s[0:1]
	v_lshl_add_u64 v[26:27], v[26:27], 2, s[0:1]
	;; [unrolled: 1-line block ×5, first 2 shown]
	global_load_dword v49, v[22:23], off
	global_load_dword v50, v[24:25], off
	;; [unrolled: 1-line block ×6, first 2 shown]
	v_readlane_b32 s86, v119, 15
	v_add_u32_e32 v22, s72, v116
	v_add_u32_e32 v38, s80, v116
	;; [unrolled: 1-line block ×3, first 2 shown]
	v_readlane_b32 s86, v119, 16
	v_ashrrev_i32_e32 v23, 31, v22
	v_ashrrev_i32_e32 v25, 31, v24
	v_add_u32_e32 v26, s86, v116
	v_readlane_b32 s86, v119, 17
	v_ashrrev_i32_e32 v27, 31, v26
	v_ashrrev_i32_e32 v39, 31, v38
	v_add_u32_e32 v28, s86, v116
	v_readlane_b32 s86, v119, 18
	v_ashrrev_i32_e32 v29, 31, v28
	v_lshl_add_u64 v[22:23], v[22:23], 2, s[0:1]
	v_add_u32_e32 v30, s86, v116
	v_readlane_b32 s86, v119, 19
	v_ashrrev_i32_e32 v31, 31, v30
	v_lshl_add_u64 v[24:25], v[24:25], 2, s[0:1]
	;; [unrolled: 4-line block ×6, first 2 shown]
	v_add_u32_e32 v42, s86, v116
	v_readlane_b32 s86, v119, 24
	v_lshl_add_u64 v[32:33], v[32:33], 2, s[0:1]
	v_lshl_add_u64 v[34:35], v[34:35], 2, s[0:1]
	v_add_u32_e32 v44, s86, v116
	v_readlane_b32 s86, v119, 25
	v_lshl_add_u64 v[36:37], v[36:37], 2, s[0:1]
	v_lshl_add_u64 v[38:39], v[38:39], 2, s[0:1]
	v_add_u32_e32 v46, s86, v116
	v_readlane_b32 s86, v119, 26
	global_load_dword v55, v[22:23], off
	global_load_dword v56, v[24:25], off
	;; [unrolled: 1-line block ×9, first 2 shown]
	s_nop 0
	global_load_dword v40, v[40:41], off
	v_add_u32_e32 v22, s86, v116
	v_readlane_b32 s86, v119, 27
	v_ashrrev_i32_e32 v43, 31, v42
	v_ashrrev_i32_e32 v45, 31, v44
	;; [unrolled: 1-line block ×4, first 2 shown]
	v_add_u32_e32 v24, s86, v116
	v_add_u32_e32 v26, s87, v116
	;; [unrolled: 1-line block ×4, first 2 shown]
	v_lshl_add_u64 v[42:43], v[42:43], 2, s[0:1]
	v_lshl_add_u64 v[44:45], v[44:45], 2, s[0:1]
	;; [unrolled: 1-line block ×4, first 2 shown]
	s_waitcnt vmcnt(17)
	ds_write_b32 v117, v18
	s_waitcnt vmcnt(16)
	ds_write_b32 v117, v48 offset:264
	s_waitcnt vmcnt(15)
	ds_write_b32 v117, v49 offset:528
	;; [unrolled: 2-line block ×7, first 2 shown]
	v_ashrrev_i32_e32 v25, 31, v24
	v_ashrrev_i32_e32 v27, 31, v26
	v_ashrrev_i32_e32 v29, 31, v28
	v_ashrrev_i32_e32 v31, 31, v30
	v_lshl_add_u64 v[24:25], v[24:25], 2, s[0:1]
	v_lshl_add_u64 v[26:27], v[26:27], 2, s[0:1]
	;; [unrolled: 1-line block ×4, first 2 shown]
	global_load_dword v18, v[42:43], off
	global_load_dword v41, v[44:45], off
	s_nop 0
	global_load_dword v42, v[46:47], off
	global_load_dword v43, v[22:23], off
	;; [unrolled: 1-line block ×4, first 2 shown]
	s_nop 0
	global_load_dword v46, v[28:29], off
	global_load_dword v47, v[30:31], off
	v_add_u32_e32 v22, s90, v116
	v_ashrrev_i32_e32 v23, 31, v22
	v_add_u32_e32 v24, s91, v116
	v_add_u32_e32 v26, s92, v116
	v_add_u32_e32 v28, s93, v116
	v_add_u32_e32 v30, s94, v116
	v_add_u32_e32 v32, s95, v116
	v_add_u32_e32 v34, s96, v116
	v_add_u32_e32 v36, s97, v116
	v_lshl_add_u64 v[22:23], v[22:23], 2, s[0:1]
	v_ashrrev_i32_e32 v25, 31, v24
	v_ashrrev_i32_e32 v27, 31, v26
	v_ashrrev_i32_e32 v29, 31, v28
	v_ashrrev_i32_e32 v31, 31, v30
	v_ashrrev_i32_e32 v33, 31, v32
	v_ashrrev_i32_e32 v35, 31, v34
	v_ashrrev_i32_e32 v37, 31, v36
	v_lshl_add_u64 v[24:25], v[24:25], 2, s[0:1]
	v_lshl_add_u64 v[26:27], v[26:27], 2, s[0:1]
	v_lshl_add_u64 v[28:29], v[28:29], 2, s[0:1]
	v_lshl_add_u64 v[30:31], v[30:31], 2, s[0:1]
	v_lshl_add_u64 v[32:33], v[32:33], 2, s[0:1]
	v_lshl_add_u64 v[34:35], v[34:35], 2, s[0:1]
	v_lshl_add_u64 v[36:37], v[36:37], 2, s[0:1]
	global_load_dword v48, v[22:23], off
	global_load_dword v49, v[24:25], off
	global_load_dword v50, v[26:27], off
	global_load_dword v51, v[28:29], off
	global_load_dword v52, v[30:31], off
	global_load_dword v53, v[32:33], off
	global_load_dword v64, v[34:35], off
	global_load_dword v65, v[36:37], off
	v_add_u32_e32 v22, s98, v116
	v_ashrrev_i32_e32 v23, 31, v22
	v_add_u32_e32 v24, s99, v116
	v_add_u32_e32 v26, s24, v116
	v_add_u32_e32 v28, s25, v116
	v_add_u32_e32 v30, s22, v116
	v_add_u32_e32 v32, s23, v116
	v_add_u32_e32 v34, s28, v116
	v_add_u32_e32 v36, s29, v116
	v_lshl_add_u64 v[22:23], v[22:23], 2, s[0:1]
	v_ashrrev_i32_e32 v25, 31, v24
	v_ashrrev_i32_e32 v27, 31, v26
	v_ashrrev_i32_e32 v29, 31, v28
	v_ashrrev_i32_e32 v31, 31, v30
	v_ashrrev_i32_e32 v33, 31, v32
	v_ashrrev_i32_e32 v35, 31, v34
	v_ashrrev_i32_e32 v37, 31, v36
	v_lshl_add_u64 v[24:25], v[24:25], 2, s[0:1]
	v_lshl_add_u64 v[26:27], v[26:27], 2, s[0:1]
	v_lshl_add_u64 v[28:29], v[28:29], 2, s[0:1]
	v_lshl_add_u64 v[30:31], v[30:31], 2, s[0:1]
	v_lshl_add_u64 v[32:33], v[32:33], 2, s[0:1]
	v_lshl_add_u64 v[34:35], v[34:35], 2, s[0:1]
	v_lshl_add_u64 v[36:37], v[36:37], 2, s[0:1]
	global_load_dword v66, v[22:23], off
	global_load_dword v67, v[24:25], off
	global_load_dword v68, v[26:27], off
	global_load_dword v69, v[28:29], off
	global_load_dword v70, v[30:31], off
	global_load_dword v71, v[32:33], off
	;; [unrolled: 32-line block ×4, first 2 shown]
	global_load_dword v88, v[34:35], off
	global_load_dword v89, v[36:37], off
	v_add_u32_e32 v22, s81, v116
	v_ashrrev_i32_e32 v23, 31, v22
	v_add_u32_e32 v24, s82, v116
	v_add_u32_e32 v26, s83, v116
	v_add_u32_e32 v28, s84, v116
	v_add_u32_e32 v30, s85, v116
	v_add_u32_e32 v32, s15, v116
	v_lshl_add_u64 v[22:23], v[22:23], 2, s[0:1]
	v_ashrrev_i32_e32 v25, 31, v24
	v_ashrrev_i32_e32 v27, 31, v26
	;; [unrolled: 1-line block ×5, first 2 shown]
	v_lshl_add_u64 v[24:25], v[24:25], 2, s[0:1]
	v_lshl_add_u64 v[26:27], v[26:27], 2, s[0:1]
	;; [unrolled: 1-line block ×5, first 2 shown]
	global_load_dword v90, v[22:23], off
	global_load_dword v91, v[24:25], off
	;; [unrolled: 1-line block ×6, first 2 shown]
	s_waitcnt vmcnt(55)
	ds_write_b32 v117, v55 offset:2112
	s_waitcnt vmcnt(54)
	ds_write_b32 v117, v56 offset:2376
	s_waitcnt vmcnt(53)
	ds_write_b32 v117, v57 offset:2640
	s_waitcnt vmcnt(52)
	ds_write_b32 v117, v58 offset:2904
	s_waitcnt vmcnt(51)
	ds_write_b32 v117, v59 offset:3168
	s_waitcnt vmcnt(50)
	ds_write_b32 v117, v60 offset:3432
	s_waitcnt vmcnt(49)
	ds_write_b32 v117, v61 offset:3696
	s_waitcnt vmcnt(48)
	ds_write_b32 v117, v62 offset:3960
	ds_read_b64 v[38:39], v118
	ds_read_b64 v[34:35], v118 offset:32
	ds_read_b64 v[32:33], v118 offset:64
	ds_read_b64 v[30:31], v118 offset:96
	ds_read_b64 v[28:29], v118 offset:128
	ds_read_b64 v[26:27], v118 offset:160
	ds_read_b64 v[24:25], v118 offset:192
	ds_read_b64 v[22:23], v118 offset:224
	s_waitcnt vmcnt(47)
	ds_write_b32 v117, v63
	s_waitcnt vmcnt(46)
	ds_write_b32 v117, v40 offset:264
	s_waitcnt vmcnt(45)
	ds_write_b32 v117, v18 offset:528
	s_waitcnt vmcnt(44)
	ds_write_b32 v117, v41 offset:792
	s_waitcnt vmcnt(43)
	ds_write_b32 v117, v42 offset:1056
	s_waitcnt vmcnt(42)
	ds_write_b32 v117, v43 offset:1320
	s_waitcnt vmcnt(41)
	ds_write_b32 v117, v44 offset:1584
	s_waitcnt vmcnt(40)
	ds_write_b32 v117, v45 offset:1848
	s_waitcnt vmcnt(39)
	ds_write_b32 v117, v46 offset:2112
	s_waitcnt vmcnt(38)
	ds_write_b32 v117, v47 offset:2376
	s_waitcnt vmcnt(37)
	ds_write_b32 v117, v48 offset:2640
	s_waitcnt vmcnt(36)
	ds_write_b32 v117, v49 offset:2904
	s_waitcnt vmcnt(35)
	ds_write_b32 v117, v50 offset:3168
	s_waitcnt vmcnt(34)
	ds_write_b32 v117, v51 offset:3432
	s_waitcnt vmcnt(33)
	ds_write_b32 v117, v52 offset:3696
	s_waitcnt vmcnt(32)
	ds_write_b32 v117, v53 offset:3960
	ds_read_b64 v[54:55], v118
	ds_read_b64 v[50:51], v118 offset:32
	ds_read_b64 v[48:49], v118 offset:64
	ds_read_b64 v[46:47], v118 offset:96
	ds_read_b64 v[44:45], v118 offset:128
	ds_read_b64 v[42:43], v118 offset:160
	ds_read_b64 v[40:41], v118 offset:192
	ds_read_b64 v[36:37], v118 offset:224
	s_waitcnt vmcnt(31)
	ds_write_b32 v117, v64
	s_waitcnt vmcnt(30)
	ds_write_b32 v117, v65 offset:264
	s_waitcnt vmcnt(29)
	ds_write_b32 v117, v66 offset:528
	s_waitcnt vmcnt(28)
	ds_write_b32 v117, v67 offset:792
	s_waitcnt vmcnt(27)
	ds_write_b32 v117, v68 offset:1056
	s_waitcnt vmcnt(26)
	ds_write_b32 v117, v69 offset:1320
	s_waitcnt vmcnt(25)
	ds_write_b32 v117, v70 offset:1584
	s_waitcnt vmcnt(24)
	ds_write_b32 v117, v71 offset:1848
	;; [unrolled: 40-line block ×3, first 2 shown]
	s_waitcnt vmcnt(7)
	ds_write_b32 v117, v88 offset:2112
	s_waitcnt vmcnt(6)
	ds_write_b32 v117, v89 offset:2376
	;; [unrolled: 2-line block ×8, first 2 shown]
	ds_read_b64 v[84:85], v118
	ds_read_b64 v[82:83], v118 offset:32
	ds_read_b64 v[78:79], v118 offset:64
	;; [unrolled: 1-line block ×7, first 2 shown]
	s_andn2_b64 vcc, exec, s[34:35]
	v_mov_b32_e32 v86, 0
	v_mov_b32_e32 v87, 0
	s_cbranch_vccnz .LBB114_9
; %bb.7:                                ;   in Loop: Header=BB114_6 Depth=1
	s_load_dword vcc_lo, s[36:37], 0x0
	v_mov_b32_e32 v87, 0
	v_mov_b32_e32 v86, 0
	s_waitcnt lgkmcnt(0)
	s_mul_hi_u32 vcc_hi, vcc_lo, s16
	s_add_i32 vcc_hi, vcc_lo, vcc_hi
	s_lshr_b32 s86, vcc_hi, s17
	s_cmp_ge_i32 s86, s13
	s_cbranch_scc1 .LBB114_9
; %bb.8:                                ;   in Loop: Header=BB114_6 Depth=1
	s_mul_i32 vcc_hi, s86, s18
	s_sub_i32 vcc_lo, vcc_lo, vcc_hi
	s_mul_i32 s86, s86, s20
	s_mul_i32 vcc_lo, vcc_lo, s9
	v_add_u32_e32 v18, s86, v116
	v_lshl_add_u32 v86, v18, 1, vcc_lo
	v_ashrrev_i32_e32 v87, 31, v86
	v_lshl_add_u64 v[86:87], v[86:87], 2, s[6:7]
	global_load_dwordx2 v[86:87], v[86:87], off
.LBB114_9:                              ;   in Loop: Header=BB114_6 Depth=1
	s_andn2_b64 vcc, exec, s[38:39]
	v_mov_b32_e32 v88, 0
	v_mov_b32_e32 v90, 0
	v_mov_b32_e32 v91, 0
	s_cbranch_vccnz .LBB114_12
; %bb.10:                               ;   in Loop: Header=BB114_6 Depth=1
	s_load_dword vcc_lo, s[36:37], 0x4
	v_mov_b32_e32 v91, 0
	v_mov_b32_e32 v90, 0
	s_waitcnt lgkmcnt(0)
	s_mul_hi_u32 s86, vcc_lo, s16
	s_add_i32 s86, vcc_lo, s86
	s_lshr_b32 vcc_hi, s86, s17
	s_cmp_ge_i32 vcc_hi, s13
	s_cbranch_scc1 .LBB114_12
; %bb.11:                               ;   in Loop: Header=BB114_6 Depth=1
	s_mul_i32 s86, vcc_hi, s18
	s_sub_i32 s86, vcc_lo, s86
	s_mul_i32 vcc_hi, vcc_hi, s20
	s_mul_i32 s86, s86, s9
	v_add_u32_e32 v18, vcc_hi, v116
	v_lshl_add_u32 v90, v18, 1, s86
	v_ashrrev_i32_e32 v91, 31, v90
	v_lshl_add_u64 v[90:91], v[90:91], 2, s[6:7]
	global_load_dwordx2 v[90:91], v[90:91], off
.LBB114_12:                             ;   in Loop: Header=BB114_6 Depth=1
	s_andn2_b64 vcc, exec, s[40:41]
	v_mov_b32_e32 v89, 0
	s_cbranch_vccnz .LBB114_15
; %bb.13:                               ;   in Loop: Header=BB114_6 Depth=1
	s_load_dword vcc_lo, s[36:37], 0x8
	v_mov_b32_e32 v89, 0
	v_mov_b32_e32 v88, 0
	s_waitcnt lgkmcnt(0)
	s_mul_hi_u32 s86, vcc_lo, s16
	s_add_i32 s86, vcc_lo, s86
	s_lshr_b32 vcc_hi, s86, s17
	s_cmp_ge_i32 vcc_hi, s13
	s_cbranch_scc1 .LBB114_15
; %bb.14:                               ;   in Loop: Header=BB114_6 Depth=1
	s_mul_i32 s86, vcc_hi, s18
	s_sub_i32 s86, vcc_lo, s86
	s_mul_i32 vcc_hi, vcc_hi, s20
	s_mul_i32 s86, s86, s9
	v_add_u32_e32 v18, vcc_hi, v116
	v_lshl_add_u32 v88, v18, 1, s86
	v_ashrrev_i32_e32 v89, 31, v88
	v_lshl_add_u64 v[88:89], v[88:89], 2, s[6:7]
	global_load_dwordx2 v[88:89], v[88:89], off
.LBB114_15:                             ;   in Loop: Header=BB114_6 Depth=1
	s_andn2_b64 vcc, exec, s[42:43]
	v_mov_b32_e32 v92, 0
	v_mov_b32_e32 v94, 0
	v_mov_b32_e32 v95, 0
	s_cbranch_vccnz .LBB114_18
; %bb.16:                               ;   in Loop: Header=BB114_6 Depth=1
	s_load_dword vcc_lo, s[36:37], 0xc
	v_mov_b32_e32 v95, 0
	v_mov_b32_e32 v94, 0
	s_waitcnt lgkmcnt(0)
	s_mul_hi_u32 s86, vcc_lo, s16
	s_add_i32 s86, vcc_lo, s86
	s_lshr_b32 vcc_hi, s86, s17
	s_cmp_ge_i32 vcc_hi, s13
	s_cbranch_scc1 .LBB114_18
; %bb.17:                               ;   in Loop: Header=BB114_6 Depth=1
	s_mul_i32 s86, vcc_hi, s18
	s_sub_i32 s86, vcc_lo, s86
	s_mul_i32 vcc_hi, vcc_hi, s20
	s_mul_i32 s86, s86, s9
	v_add_u32_e32 v18, vcc_hi, v116
	v_lshl_add_u32 v94, v18, 1, s86
	v_ashrrev_i32_e32 v95, 31, v94
	v_lshl_add_u64 v[94:95], v[94:95], 2, s[6:7]
	global_load_dwordx2 v[94:95], v[94:95], off
.LBB114_18:                             ;   in Loop: Header=BB114_6 Depth=1
	s_andn2_b64 vcc, exec, s[44:45]
	v_mov_b32_e32 v93, 0
	s_cbranch_vccnz .LBB114_21
; %bb.19:                               ;   in Loop: Header=BB114_6 Depth=1
	s_load_dword vcc_lo, s[36:37], 0x10
	v_mov_b32_e32 v93, 0
	v_mov_b32_e32 v92, 0
	s_waitcnt lgkmcnt(0)
	s_mul_hi_u32 s86, vcc_lo, s16
	s_add_i32 s86, vcc_lo, s86
	s_lshr_b32 vcc_hi, s86, s17
	s_cmp_ge_i32 vcc_hi, s13
	s_cbranch_scc1 .LBB114_21
; %bb.20:                               ;   in Loop: Header=BB114_6 Depth=1
	s_mul_i32 s86, vcc_hi, s18
	s_sub_i32 s86, vcc_lo, s86
	s_mul_i32 vcc_hi, vcc_hi, s20
	s_mul_i32 s86, s86, s9
	v_add_u32_e32 v18, vcc_hi, v116
	v_lshl_add_u32 v92, v18, 1, s86
	v_ashrrev_i32_e32 v93, 31, v92
	v_lshl_add_u64 v[92:93], v[92:93], 2, s[6:7]
	global_load_dwordx2 v[92:93], v[92:93], off
.LBB114_21:                             ;   in Loop: Header=BB114_6 Depth=1
	;; [unrolled: 50-line block ×6, first 2 shown]
	s_andn2_b64 vcc, exec, s[62:63]
	v_mov_b32_e32 v112, 0
	v_mov_b32_e32 v113, 0
	s_cbranch_vccnz .LBB114_5
; %bb.46:                               ;   in Loop: Header=BB114_6 Depth=1
	s_load_dword vcc_lo, s[36:37], 0x34
	v_mov_b32_e32 v113, 0
	v_mov_b32_e32 v112, 0
	s_waitcnt lgkmcnt(0)
	s_mul_hi_u32 s86, vcc_lo, s16
	s_add_i32 s86, vcc_lo, s86
	s_lshr_b32 vcc_hi, s86, s17
	s_cmp_ge_i32 vcc_hi, s13
	s_cbranch_scc1 .LBB114_5
; %bb.47:                               ;   in Loop: Header=BB114_6 Depth=1
	s_mul_i32 s86, vcc_hi, s18
	s_sub_i32 s86, vcc_lo, s86
	s_mul_i32 vcc_hi, vcc_hi, s20
	s_mul_i32 s86, s86, s9
	v_add_u32_e32 v18, vcc_hi, v116
	v_lshl_add_u32 v112, v18, 1, s86
	v_ashrrev_i32_e32 v113, 31, v112
	v_lshl_add_u64 v[112:113], v[112:113], 2, s[6:7]
	global_load_dwordx2 v[112:113], v[112:113], off
	s_branch .LBB114_5
.LBB114_48:
	s_or_b64 exec, exec, s[4:5]
	v_readlane_b32 s24, v119, 6
	v_readlane_b32 s26, v119, 9
	;; [unrolled: 1-line block ×9, first 2 shown]
.LBB114_49:
	s_or_b64 exec, exec, s[28:29]
	v_mul_u32_u24_e32 v18, 0x608, v115
	v_lshlrev_b32_e32 v19, 2, v114
	v_add3_u32 v18, 0, v18, v19
	v_and_b32_e32 v19, 0x3f0, v17
	v_add_u32_e32 v19, v18, v19
	s_lshl_b64 s[0:1], s[26:27], 2
	s_barrier
	ds_write2_b32 v19, v8, v9 offset1:1
	ds_write_b32 v19, v10 offset:8
	v_or_b32_e32 v8, 12, v17
	s_add_u32 s4, s22, s0
	v_and_b32_e32 v8, 0x3fc, v8
	s_addc_u32 s5, s23, s1
	v_add_u32_e32 v8, v18, v8
	ds_write_b32 v8, v11
	ds_write2_b32 v19, v4, v5 offset0:16 offset1:17
	ds_write_b32 v19, v6 offset:72
	ds_write_b32 v8, v7 offset:64
	ds_write2_b32 v19, v0, v1 offset0:32 offset1:33
	ds_write_b32 v19, v2 offset:136
	ds_write_b32 v8, v3 offset:128
	;; [unrolled: 3-line block ×3, first 2 shown]
	s_cmp_gt_i32 s14, 0
	v_add_u32_e32 v0, s2, v16
	s_cselect_b64 s[6:7], -1, 0
	v_cmp_gt_i32_e64 s[0:1], s33, v0
	v_cmp_gt_u32_e32 vcc, 14, v16
	s_and_b64 s[0:1], s[6:7], s[0:1]
	v_lshl_add_u32 v3, v17, 2, 0
	v_add_u32_e32 v2, s11, v17
	v_mul_u32_u24_e32 v4, 0x608, v16
	s_and_b64 s[8:9], vcc, s[0:1]
	s_waitcnt lgkmcnt(0)
	s_barrier
	s_and_saveexec_b64 s[0:1], s[8:9]
	s_cbranch_execz .LBB114_52
; %bb.50:
	v_ashrrev_i32_e32 v1, 31, v0
	v_lshl_add_u64 v[6:7], v[0:1], 2, s[4:5]
	global_load_dword v5, v[6:7], off
	s_waitcnt vmcnt(0)
	v_mul_hi_u32 v1, v5, s19
	v_add_u32_e32 v1, v5, v1
	v_lshrrev_b32_e32 v1, s24, v1
	v_cmp_gt_i32_e32 vcc, s13, v1
	s_and_b64 exec, exec, vcc
	s_cbranch_execz .LBB114_52
; %bb.51:
	v_add_u32_e32 v10, v3, v4
	ds_read2st64_b32 v[6:7], v10 offset1:1
	ds_read2st64_b32 v[8:9], v10 offset0:2 offset1:3
	ds_read2st64_b32 v[10:11], v10 offset0:4 offset1:5
	v_mul_lo_u32 v12, v1, s25
	v_sub_u32_e32 v5, v5, v12
	v_mul_lo_u32 v5, v5, s10
	s_waitcnt lgkmcnt(2)
	v_add_f32_e32 v6, 0, v6
	v_add_f32_e32 v6, v6, v7
	s_waitcnt lgkmcnt(1)
	v_add_f32_e32 v6, v6, v8
	v_add_f32_e32 v6, v6, v9
	s_waitcnt lgkmcnt(0)
	v_add_f32_e32 v6, v6, v10
	v_mul_lo_u32 v1, v1, s21
	v_readlane_b32 s8, v119, 0
	v_add_f32_e32 v8, v6, v11
	v_add3_u32 v6, v2, v1, v5
	v_mov_b32_e32 v7, 0
	v_readlane_b32 s9, v119, 1
	s_nop 1
	v_lshl_add_u64 v[6:7], v[6:7], 2, s[8:9]
	global_store_dword v[6:7], v8, off
.LBB114_52:
	s_or_b64 exec, exec, s[0:1]
	v_add_u32_e32 v0, 6, v0
	v_cmp_gt_i32_e64 s[0:1], s33, v0
	v_cmp_gt_u32_e32 vcc, 8, v16
	s_and_b64 s[0:1], s[6:7], s[0:1]
	s_and_b64 s[8:9], vcc, s[0:1]
	s_and_saveexec_b64 s[0:1], s[8:9]
	s_cbranch_execz .LBB114_55
; %bb.53:
	s_ashr_i32 s3, s2, 31
	v_mov_b32_e32 v17, 0
	v_lshl_add_u64 v[0:1], v[16:17], 0, s[2:3]
	v_lshl_add_u64 v[0:1], v[0:1], 2, s[4:5]
	global_load_dword v1, v[0:1], off offset:24
	s_waitcnt vmcnt(0)
	v_mul_hi_u32 v0, v1, s19
	v_add_u32_e32 v0, v1, v0
	v_lshrrev_b32_e32 v0, s24, v0
	v_cmp_gt_i32_e32 vcc, s13, v0
	s_and_b64 exec, exec, vcc
	s_cbranch_execz .LBB114_55
; %bb.54:
	v_add_u32_e32 v4, v4, v3
	v_add_u32_e32 v8, 48, v4
	ds_read2st64_b32 v[4:5], v8 offset0:36 offset1:37
	ds_read2st64_b32 v[6:7], v8 offset0:38 offset1:39
	v_mul_lo_u32 v9, v0, s25
	v_sub_u32_e32 v1, v1, v9
	ds_read2st64_b32 v[8:9], v8 offset0:40 offset1:41
	s_waitcnt lgkmcnt(2)
	v_add_f32_e32 v4, 0, v4
	v_add_f32_e32 v4, v4, v5
	s_waitcnt lgkmcnt(1)
	v_add_f32_e32 v4, v4, v6
	v_add_f32_e32 v4, v4, v7
	v_mul_lo_u32 v1, v1, s10
	v_mul_lo_u32 v0, v0, s21
	v_readlane_b32 s8, v119, 0
	s_waitcnt lgkmcnt(0)
	v_add_f32_e32 v4, v4, v8
	v_add3_u32 v0, v2, v0, v1
	v_mov_b32_e32 v1, v17
	v_readlane_b32 s9, v119, 1
	v_add_f32_e32 v4, v4, v9
	s_nop 0
	v_lshl_add_u64 v[0:1], v[0:1], 2, s[8:9]
	global_store_dword v[0:1], v4, off
.LBB114_55:
	s_or_b64 exec, exec, s[0:1]
	v_cmp_gt_u32_e32 vcc, 2, v16
	s_and_saveexec_b64 s[0:1], vcc
	s_cbranch_execz .LBB114_59
; %bb.56:
	v_or_b32_e32 v0, 12, v16
	v_add_u32_e32 v1, s2, v0
	v_cmp_gt_i32_e32 vcc, s33, v1
	s_and_b64 s[0:1], s[6:7], vcc
	s_and_b64 exec, exec, s[0:1]
	s_cbranch_execz .LBB114_59
; %bb.57:
	s_ashr_i32 s3, s2, 31
	v_mov_b32_e32 v17, 0
	v_lshl_add_u64 v[4:5], v[16:17], 0, s[2:3]
	v_lshl_add_u64 v[4:5], v[4:5], 2, s[4:5]
	global_load_dword v4, v[4:5], off offset:48
	s_waitcnt vmcnt(0)
	v_mul_hi_u32 v1, v4, s19
	v_add_u32_e32 v1, v4, v1
	v_lshrrev_b32_e32 v1, s24, v1
	v_cmp_gt_i32_e32 vcc, s13, v1
	s_and_b64 exec, exec, vcc
	s_cbranch_execz .LBB114_59
; %bb.58:
	s_movk_i32 s0, 0x608
	v_mad_u32_u24 v0, v0, s0, v3
	ds_read2st64_b32 v[6:7], v0 offset1:1
	ds_read2st64_b32 v[8:9], v0 offset0:2 offset1:3
	v_mul_lo_u32 v3, v1, s25
	v_sub_u32_e32 v3, v4, v3
	ds_read2st64_b32 v[4:5], v0 offset0:4 offset1:5
	s_waitcnt lgkmcnt(2)
	v_add_f32_e32 v0, 0, v6
	v_add_f32_e32 v0, v0, v7
	s_waitcnt lgkmcnt(1)
	v_add_f32_e32 v0, v0, v8
	v_add_f32_e32 v0, v0, v9
	;; [unrolled: 3-line block ×3, first 2 shown]
	v_mul_lo_u32 v0, v3, s10
	v_mul_lo_u32 v1, v1, s21
	v_readlane_b32 s0, v119, 0
	v_add3_u32 v16, v2, v1, v0
	v_readlane_b32 s1, v119, 1
	s_nop 1
	v_lshl_add_u64 v[0:1], v[16:17], 2, s[0:1]
	global_store_dword v[0:1], v4, off
.LBB114_59:
	s_endpgm
	.section	.rodata,"a",@progbits
	.p2align	6, 0x0
	.amdhsa_kernel _ZL13mul_mat_f_idsI7__half2Li64ELi14ELi6EEvPKT_PKfPKiS7_S7_Pfiiiiiiiiiiiiii15HIP_vector_typeIjLj3EESA_
		.amdhsa_group_segment_fixed_size 0
		.amdhsa_private_segment_fixed_size 0
		.amdhsa_kernarg_size 128
		.amdhsa_user_sgpr_count 2
		.amdhsa_user_sgpr_dispatch_ptr 0
		.amdhsa_user_sgpr_queue_ptr 0
		.amdhsa_user_sgpr_kernarg_segment_ptr 1
		.amdhsa_user_sgpr_dispatch_id 0
		.amdhsa_user_sgpr_kernarg_preload_length 0
		.amdhsa_user_sgpr_kernarg_preload_offset 0
		.amdhsa_user_sgpr_private_segment_size 0
		.amdhsa_uses_dynamic_stack 0
		.amdhsa_enable_private_segment 0
		.amdhsa_system_sgpr_workgroup_id_x 1
		.amdhsa_system_sgpr_workgroup_id_y 1
		.amdhsa_system_sgpr_workgroup_id_z 1
		.amdhsa_system_sgpr_workgroup_info 0
		.amdhsa_system_vgpr_workitem_id 1
		.amdhsa_next_free_vgpr 120
		.amdhsa_next_free_sgpr 100
		.amdhsa_accum_offset 120
		.amdhsa_reserve_vcc 1
		.amdhsa_float_round_mode_32 0
		.amdhsa_float_round_mode_16_64 0
		.amdhsa_float_denorm_mode_32 3
		.amdhsa_float_denorm_mode_16_64 3
		.amdhsa_dx10_clamp 1
		.amdhsa_ieee_mode 1
		.amdhsa_fp16_overflow 0
		.amdhsa_tg_split 0
		.amdhsa_exception_fp_ieee_invalid_op 0
		.amdhsa_exception_fp_denorm_src 0
		.amdhsa_exception_fp_ieee_div_zero 0
		.amdhsa_exception_fp_ieee_overflow 0
		.amdhsa_exception_fp_ieee_underflow 0
		.amdhsa_exception_fp_ieee_inexact 0
		.amdhsa_exception_int_div_zero 0
	.end_amdhsa_kernel
	.section	.text._ZL13mul_mat_f_idsI7__half2Li64ELi14ELi6EEvPKT_PKfPKiS7_S7_Pfiiiiiiiiiiiiii15HIP_vector_typeIjLj3EESA_,"axG",@progbits,_ZL13mul_mat_f_idsI7__half2Li64ELi14ELi6EEvPKT_PKfPKiS7_S7_Pfiiiiiiiiiiiiii15HIP_vector_typeIjLj3EESA_,comdat
.Lfunc_end114:
	.size	_ZL13mul_mat_f_idsI7__half2Li64ELi14ELi6EEvPKT_PKfPKiS7_S7_Pfiiiiiiiiiiiiii15HIP_vector_typeIjLj3EESA_, .Lfunc_end114-_ZL13mul_mat_f_idsI7__half2Li64ELi14ELi6EEvPKT_PKfPKiS7_S7_Pfiiiiiiiiiiiiii15HIP_vector_typeIjLj3EESA_
                                        ; -- End function
	.section	.AMDGPU.csdata,"",@progbits
; Kernel info:
; codeLenInByte = 6976
; NumSgprs: 106
; NumVgprs: 120
; NumAgprs: 0
; TotalNumVgprs: 120
; ScratchSize: 0
; MemoryBound: 0
; FloatMode: 240
; IeeeMode: 1
; LDSByteSize: 0 bytes/workgroup (compile time only)
; SGPRBlocks: 13
; VGPRBlocks: 14
; NumSGPRsForWavesPerEU: 106
; NumVGPRsForWavesPerEU: 120
; AccumOffset: 120
; Occupancy: 4
; WaveLimiterHint : 1
; COMPUTE_PGM_RSRC2:SCRATCH_EN: 0
; COMPUTE_PGM_RSRC2:USER_SGPR: 2
; COMPUTE_PGM_RSRC2:TRAP_HANDLER: 0
; COMPUTE_PGM_RSRC2:TGID_X_EN: 1
; COMPUTE_PGM_RSRC2:TGID_Y_EN: 1
; COMPUTE_PGM_RSRC2:TGID_Z_EN: 1
; COMPUTE_PGM_RSRC2:TIDIG_COMP_CNT: 1
; COMPUTE_PGM_RSRC3_GFX90A:ACCUM_OFFSET: 29
; COMPUTE_PGM_RSRC3_GFX90A:TG_SPLIT: 0
	.section	.text._ZL9mul_mat_fI7__half2Li64ELi14ELi6ELb1EEvPKT_PKfPKiPfiiiiiiiiiiiiiiii,"axG",@progbits,_ZL9mul_mat_fI7__half2Li64ELi14ELi6ELb1EEvPKT_PKfPKiPfiiiiiiiiiiiiiiii,comdat
	.globl	_ZL9mul_mat_fI7__half2Li64ELi14ELi6ELb1EEvPKT_PKfPKiPfiiiiiiiiiiiiiiii ; -- Begin function _ZL9mul_mat_fI7__half2Li64ELi14ELi6ELb1EEvPKT_PKfPKiPfiiiiiiiiiiiiiiii
	.p2align	8
	.type	_ZL9mul_mat_fI7__half2Li64ELi14ELi6ELb1EEvPKT_PKfPKiPfiiiiiiiiiiiiiiii,@function
_ZL9mul_mat_fI7__half2Li64ELi14ELi6ELb1EEvPKT_PKfPKiPfiiiiiiiiiiiiiiii: ; @_ZL9mul_mat_fI7__half2Li64ELi14ELi6ELb1EEvPKT_PKfPKiPfiiiiiiiiiiiiiiii
; %bb.0:
	s_load_dwordx8 s[44:51], s[0:1], 0x20
	s_load_dword s7, s[0:1], 0x64
	s_load_dwordx4 s[52:55], s[0:1], 0x44
	s_load_dwordx2 s[8:9], s[0:1], 0x10
	v_and_b32_e32 v16, 0x3ff, v0
	v_bfe_u32 v17, v0, 10, 10
	s_waitcnt lgkmcnt(0)
	s_add_i32 s6, s45, 13
	s_mul_hi_i32 s5, s6, 0x92492493
	s_add_i32 s5, s5, s6
	s_lshr_b32 s6, s5, 31
	s_ashr_i32 s5, s5, 3
	s_add_i32 s5, s5, s6
	v_cvt_f32_u32_e32 v1, s5
	s_add_u32 s12, s0, 0x60
	s_addc_u32 s13, s1, 0
	s_sub_i32 s6, 0, s5
	v_rcp_iflag_f32_e32 v1, v1
	s_abs_i32 s22, s55
	v_mul_f32_e32 v1, 0x4f7ffffe, v1
	v_cvt_u32_f32_e32 v1, v1
	v_mul_lo_u32 v2, s6, v1
	v_mul_hi_u32 v2, v1, v2
	v_add_u32_e32 v1, v1, v2
	v_mul_hi_u32 v1, s7, v1
	v_mul_lo_u32 v2, v1, s5
	v_sub_u32_e32 v2, s7, v2
	v_add_u32_e32 v3, 1, v1
	v_subrev_u32_e32 v4, s5, v2
	v_cmp_le_u32_e32 vcc, s5, v2
	s_nop 1
	v_cndmask_b32_e32 v1, v1, v3, vcc
	v_cndmask_b32_e32 v2, v2, v4, vcc
	v_add_u32_e32 v3, 1, v1
	v_cmp_le_u32_e32 vcc, s5, v2
	s_nop 1
	v_cndmask_b32_e32 v1, v1, v3, vcc
	v_cvt_f32_u32_e32 v2, v1
	v_cvt_f32_u32_e32 v3, s22
	v_sub_u32_e32 v4, 0, v1
	v_cmp_eq_u32_e32 vcc, 0, v16
	v_rcp_iflag_f32_e32 v2, v2
	v_rcp_iflag_f32_e32 v3, v3
	v_mul_f32_e32 v2, 0x4f7ffffe, v2
	v_cvt_u32_f32_e32 v2, v2
	v_mul_lo_u32 v4, v4, v2
	v_mul_hi_u32 v4, v2, v4
	v_add_u32_e32 v2, v2, v4
	v_mul_hi_u32 v2, s3, v2
	s_and_saveexec_b64 s[6:7], vcc
	s_cbranch_execz .LBB115_2
; %bb.1:
	v_mov_b32_e32 v4, 0x100
	v_lshl_add_u32 v4, v17, 2, v4
	v_mov_b32_e32 v5, -1
	ds_write_b32 v4, v5
.LBB115_2:
	s_or_b64 exec, exec, s[6:7]
	v_mul_f32_e32 v8, 0x4f7ffffe, v3
	v_mul_lo_u32 v3, v2, v1
	v_sub_u32_e32 v3, s3, v3
	v_add_u32_e32 v4, 1, v2
	v_sub_u32_e32 v5, v3, v1
	v_cmp_ge_u32_e64 s[6:7], v3, v1
	s_nop 1
	v_cndmask_b32_e64 v2, v2, v4, s[6:7]
	v_cndmask_b32_e64 v3, v3, v5, s[6:7]
	v_add_u32_e32 v4, 1, v2
	v_cmp_ge_u32_e64 s[6:7], v3, v1
	s_nop 1
	v_cndmask_b32_e64 v2, v2, v4, s[6:7]
	v_mul_lo_u32 v94, v2, 14
	v_mul_lo_u32 v1, v2, v1
	v_mul_hi_i32 v3, v94, s51
	v_mul_lo_u32 v2, v94, s51
	v_sub_u32_e32 v18, s3, v1
	v_lshlrev_b64 v[2:3], 2, v[2:3]
	v_add_u32_e32 v1, v17, v94
	v_lshl_add_u64 v[2:3], s[8:9], 0, v[2:3]
	v_cmp_gt_i32_e64 s[6:7], s46, v16
	v_cmp_gt_i32_e64 s[24:25], s45, v1
	v_mov_b32_e32 v1, 0
	s_and_saveexec_b64 s[14:15], s[24:25]
	s_cbranch_execz .LBB115_10
; %bb.3:
	v_mov_b32_e32 v1, 0
	s_and_saveexec_b64 s[16:17], s[6:7]
	s_cbranch_execz .LBB115_9
; %bb.4:
	v_mul_lo_u32 v4, v17, s51
	v_ashrrev_i32_e32 v5, 31, v4
	v_mov_b32_e32 v1, 0x100
	v_lshl_add_u64 v[4:5], v[4:5], 2, v[2:3]
	v_lshl_add_u32 v9, v17, 2, v1
	v_mul_lo_u32 v6, v16, s50
	s_lshl_b32 s3, s50, 6
	s_mov_b64 s[18:19], 0
	v_mov_b32_e32 v1, 0
	v_mov_b32_e32 v10, v16
	s_branch .LBB115_6
.LBB115_5:                              ;   in Loop: Header=BB115_6 Depth=1
	s_or_b64 exec, exec, s[20:21]
	v_add_u32_e32 v10, 64, v10
	v_cmp_le_i32_e64 s[10:11], s46, v10
	s_xor_b64 s[8:9], s[8:9], -1
	s_or_b64 s[8:9], s[8:9], s[10:11]
	s_and_b64 s[8:9], exec, s[8:9]
	s_or_b64 s[18:19], s[8:9], s[18:19]
	v_add_u32_e32 v6, s3, v6
	s_andn2_b64 exec, exec, s[18:19]
	s_cbranch_execz .LBB115_8
.LBB115_6:                              ; =>This Inner Loop Header: Depth=1
	v_ashrrev_i32_e32 v7, 31, v6
	v_lshl_add_u64 v[12:13], v[6:7], 2, v[4:5]
	global_load_dword v7, v[12:13], off
	s_waitcnt vmcnt(0)
	v_cmp_ne_u32_e64 s[8:9], v7, v18
	v_cmp_eq_u32_e64 s[10:11], v7, v18
	s_and_saveexec_b64 s[20:21], s[10:11]
	s_cbranch_execz .LBB115_5
; %bb.7:                                ;   in Loop: Header=BB115_6 Depth=1
	v_mov_b32_e32 v1, 1
	ds_write_b32 v9, v10
	s_branch .LBB115_5
.LBB115_8:
	s_or_b64 exec, exec, s[18:19]
.LBB115_9:
	s_or_b64 exec, exec, s[16:17]
.LBB115_10:
	s_or_b64 exec, exec, s[14:15]
	v_cvt_u32_f32_e32 v8, v8
	s_sub_i32 s3, 0, s22
	s_and_saveexec_b64 s[8:9], vcc
	s_cbranch_execz .LBB115_12
; %bb.11:
	v_mov_b32_e32 v4, 0x100
	v_lshl_add_u32 v4, v17, 2, v4
	v_mov_b32_e32 v5, -1
	ds_write_b32 v4, v5 offset:24
.LBB115_12:
	s_or_b64 exec, exec, s[8:9]
	v_add_u32_e32 v95, 6, v17
	v_mul_lo_u32 v9, s3, v8
	v_add_u32_e32 v4, v95, v94
	v_cmp_gt_i32_e64 s[8:9], s45, v4
	s_mov_b64 s[14:15], exec
                                        ; implicit-def: $vgpr110 : SGPR spill to VGPR lane
	s_nop 0
	v_writelane_b32 v110, s8, 0
	s_nop 1
	v_writelane_b32 v110, s9, 1
	s_and_b64 s[8:9], s[14:15], s[8:9]
	s_mov_b64 exec, s[8:9]
	s_cbranch_execz .LBB115_20
; %bb.13:
	s_and_saveexec_b64 s[16:17], s[6:7]
	s_cbranch_execz .LBB115_19
; %bb.14:
	v_mul_lo_u32 v4, v95, s51
	v_ashrrev_i32_e32 v5, 31, v4
	v_mov_b32_e32 v6, 0x100
	v_lshl_add_u64 v[4:5], v[4:5], 2, v[2:3]
	v_lshl_add_u32 v10, v17, 2, v6
	v_mul_lo_u32 v6, v16, s50
	s_lshl_b32 s3, s50, 6
	s_mov_b64 s[18:19], 0
	v_mov_b32_e32 v11, v16
	s_branch .LBB115_16
.LBB115_15:                             ;   in Loop: Header=BB115_16 Depth=1
	s_or_b64 exec, exec, s[20:21]
	v_add_u32_e32 v11, 64, v11
	v_cmp_le_i32_e64 s[10:11], s46, v11
	s_xor_b64 s[8:9], s[8:9], -1
	s_or_b64 s[8:9], s[8:9], s[10:11]
	s_and_b64 s[8:9], exec, s[8:9]
	s_or_b64 s[18:19], s[8:9], s[18:19]
	v_add_u32_e32 v6, s3, v6
	s_andn2_b64 exec, exec, s[18:19]
	s_cbranch_execz .LBB115_18
.LBB115_16:                             ; =>This Inner Loop Header: Depth=1
	v_ashrrev_i32_e32 v7, 31, v6
	v_lshl_add_u64 v[12:13], v[6:7], 2, v[4:5]
	global_load_dword v7, v[12:13], off
	s_waitcnt vmcnt(0)
	v_cmp_ne_u32_e64 s[8:9], v7, v18
	v_cmp_eq_u32_e64 s[10:11], v7, v18
	s_and_saveexec_b64 s[20:21], s[10:11]
	s_cbranch_execz .LBB115_15
; %bb.17:                               ;   in Loop: Header=BB115_16 Depth=1
	v_mov_b32_e32 v1, 1
	ds_write_b32 v10, v11 offset:24
	s_branch .LBB115_15
.LBB115_18:
	s_or_b64 exec, exec, s[18:19]
.LBB115_19:
	s_or_b64 exec, exec, s[16:17]
.LBB115_20:
	s_or_b64 exec, exec, s[14:15]
	v_mul_hi_u32 v4, v8, v9
	s_and_saveexec_b64 s[8:9], vcc
	s_cbranch_execz .LBB115_22
; %bb.21:
	v_mov_b32_e32 v5, 0x100
	v_lshl_add_u32 v5, v17, 2, v5
	v_mov_b32_e32 v6, -1
	ds_write_b32 v5, v6 offset:48
.LBB115_22:
	s_or_b64 exec, exec, s[8:9]
	s_load_dwordx4 s[28:31], s[0:1], 0x54
	v_add_u32_e32 v96, 12, v17
	s_abs_i32 s3, s4
	v_add_u32_e32 v6, v8, v4
	v_add_u32_e32 v4, v96, v94
	v_cmp_gt_i32_e64 s[10:11], s45, v4
	s_mov_b64 s[8:9], exec
	s_nop 0
	v_writelane_b32 v110, s10, 2
	s_nop 1
	v_writelane_b32 v110, s11, 3
	s_and_b64 s[10:11], s[8:9], s[10:11]
	s_mov_b64 exec, s[10:11]
	s_cbranch_execz .LBB115_30
; %bb.23:
	s_and_saveexec_b64 s[10:11], s[6:7]
	s_cbranch_execz .LBB115_29
; %bb.24:
	v_mul_lo_u32 v4, v96, s51
	v_ashrrev_i32_e32 v5, 31, v4
	v_lshl_add_u64 v[2:3], v[4:5], 2, v[2:3]
	v_mov_b32_e32 v4, 0x100
	v_lshl_add_u32 v7, v17, 2, v4
	v_mul_lo_u32 v4, v16, s50
	s_lshl_b32 s5, s50, 6
	s_mov_b64 s[14:15], 0
	v_mov_b32_e32 v8, v16
	s_branch .LBB115_26
.LBB115_25:                             ;   in Loop: Header=BB115_26 Depth=1
	s_or_b64 exec, exec, s[16:17]
	v_add_u32_e32 v8, 64, v8
	v_cmp_le_i32_e64 s[6:7], s46, v8
	s_xor_b64 s[16:17], vcc, -1
	s_or_b64 s[6:7], s[16:17], s[6:7]
	s_and_b64 s[6:7], exec, s[6:7]
	s_or_b64 s[14:15], s[6:7], s[14:15]
	v_add_u32_e32 v4, s5, v4
	s_andn2_b64 exec, exec, s[14:15]
	s_cbranch_execz .LBB115_28
.LBB115_26:                             ; =>This Inner Loop Header: Depth=1
	v_ashrrev_i32_e32 v5, 31, v4
	v_lshl_add_u64 v[10:11], v[4:5], 2, v[2:3]
	global_load_dword v5, v[10:11], off
	s_waitcnt vmcnt(0)
	v_cmp_ne_u32_e32 vcc, v5, v18
	v_cmp_eq_u32_e64 s[6:7], v5, v18
	s_and_saveexec_b64 s[16:17], s[6:7]
	s_cbranch_execz .LBB115_25
; %bb.27:                               ;   in Loop: Header=BB115_26 Depth=1
	v_mov_b32_e32 v1, 1
	ds_write_b32 v7, v8 offset:48
	s_branch .LBB115_25
.LBB115_28:
	s_or_b64 exec, exec, s[14:15]
.LBB115_29:
	s_or_b64 exec, exec, s[10:11]
.LBB115_30:
	s_or_b64 exec, exec, s[8:9]
	s_load_dwordx2 s[6:7], s[12:13], 0xc
	s_load_dwordx2 s[8:9], s[0:1], 0x8
	;; [unrolled: 1-line block ×3, first 2 shown]
	v_cmp_ne_u32_e32 vcc, 0, v1
	v_mul_hi_u32 v19, s3, v6
	s_waitcnt lgkmcnt(0)
	s_and_b32 s5, s7, 0xffff
	v_cndmask_b32_e64 v1, 0, 1, vcc
	v_writelane_b32 v110, s10, 4
	s_lshr_b32 s7, s6, 16
	v_or_b32_dpp v1, v1, v1 row_shl:1 row_mask:0xf bank_mask:0xf bound_ctrl:1
	s_and_b32 s6, s6, 0xffff
	v_writelane_b32 v110, s11, 5
	v_or_b32_dpp v1, v1, v1 row_shl:2 row_mask:0xf bank_mask:0xf bound_ctrl:1
	s_mul_i32 s10, s7, s6
	s_bfe_i32 s10, s10, 0x180000
	v_or_b32_dpp v1, v1, v1 row_shl:4 row_mask:0xf bank_mask:0xf bound_ctrl:1
	s_mul_i32 s5, s10, s5
	s_add_i32 s10, s5, 63
	v_or_b32_dpp v1, v1, v1 row_shl:8 row_mask:0xf bank_mask:0xf bound_ctrl:1
	s_bitcmp1_b32 exec_hi, 0
                                        ; kill: killed $sgpr12 killed $sgpr13
	s_nop 0
	v_mov_b32_dpp v2, v1 wave_shl:1 row_mask:0xf bank_mask:0xf bound_ctrl:1
	s_nop 1
	v_or_b32_dpp v1, v2, v1 row_mirror row_mask:0xf bank_mask:0xf bound_ctrl:1
	s_nop 0
	v_readlane_b32 s5, v1, 32
	s_cselect_b32 s5, s5, 0
	v_readlane_b32 s11, v1, 0
	s_or_b32 s5, s5, s11
	s_andn2_b32 s10, s10, 63
	s_cmp_lg_u32 s10, 64
	v_mov_b32_e32 v1, s5
	s_cbranch_scc0 .LBB115_37
; %bb.31:
	v_bfe_u32 v0, v0, 20, 10
	v_mbcnt_lo_u32_b32 v1, -1, 0
	v_mad_u32_u24 v0, v0, s7, v17
	v_mbcnt_hi_u32_b32 v2, -1, v1
	v_mad_u64_u32 v[0:1], s[6:7], v0, s6, v[16:17]
	v_lshrrev_b32_e32 v1, 6, v0
	v_or_b32_e32 v1, v2, v1
	v_cmp_eq_u32_e32 vcc, 0, v1
	s_and_saveexec_b64 s[6:7], vcc
	s_cbranch_execz .LBB115_33
; %bb.32:
	v_mov_b32_e32 v1, 0
	v_mov_b32_e32 v3, s5
	ds_write_b32 v1, v3
.LBB115_33:
	s_or_b64 exec, exec, s[6:7]
	v_cmp_eq_u32_e32 vcc, 0, v2
	v_cmp_lt_u32_e64 s[6:7], 63, v0
	s_and_b64 s[10:11], s[6:7], vcc
	s_waitcnt lgkmcnt(0)
	s_barrier
	s_and_saveexec_b64 s[6:7], s[10:11]
	s_cbranch_execz .LBB115_36
; %bb.34:
	v_mbcnt_lo_u32_b32 v0, exec_lo, 0
	v_mbcnt_hi_u32_b32 v0, exec_hi, v0
	v_cmp_eq_u32_e32 vcc, 0, v0
	s_and_b64 exec, exec, vcc
	s_cbranch_execz .LBB115_36
; %bb.35:
	v_mov_b32_e32 v0, 0
	v_mov_b32_e32 v1, s5
	ds_or_b32 v0, v1
.LBB115_36:
	s_or_b64 exec, exec, s[6:7]
	v_mov_b32_e32 v0, 0
	s_waitcnt lgkmcnt(0)
	s_barrier
	ds_read_b32 v1, v0
	s_waitcnt lgkmcnt(0)
	s_barrier
.LBB115_37:
	s_load_dwordx2 s[6:7], s[0:1], 0x0
	v_cmp_ne_u32_e32 vcc, 0, v1
	s_ashr_i32 s5, s4, 31
	s_ashr_i32 s10, s55, 31
	s_cbranch_vccz .LBB115_97
; %bb.38:
	v_lshlrev_b32_e32 v97, 6, v17
	v_add_u32_e32 v99, v97, v16
	v_cmp_le_i32_e32 vcc, s44, v99
	v_and_b32_e32 v98, 15, v16
                                        ; implicit-def: $sgpr11
	s_and_saveexec_b64 s[0:1], vcc
	s_xor_b64 s[0:1], exec, s[0:1]
; %bb.39:
	v_and_b32_e32 v98, 15, v16
	s_mov_b32 s11, 0
                                        ; implicit-def: $vgpr99
                                        ; implicit-def: $vgpr19
                                        ; implicit-def: $vgpr18
; %bb.40:
	s_or_saveexec_b64 s[0:1], s[0:1]
	s_lshl_b32 s12, s2, 6
	v_mov_b32_e32 v11, s11
	v_mov_b32_e32 v10, s11
	;; [unrolled: 1-line block ×16, first 2 shown]
	v_writelane_b32 v110, s0, 6
	s_nop 1
	v_writelane_b32 v110, s1, 7
	s_xor_b64 exec, exec, s[0:1]
	s_cbranch_execz .LBB115_86
; %bb.41:
	v_mul_lo_u32 v0, v19, s22
	v_sub_u32_e32 v0, s3, v0
	v_add_u32_e32 v1, 1, v19
	v_subrev_u32_e32 v2, s22, v0
	v_cmp_le_u32_e32 vcc, s22, v0
	s_xor_b32 s0, s5, s10
	v_writelane_b32 v110, s24, 8
	v_cndmask_b32_e32 v1, v19, v1, vcc
	v_cndmask_b32_e32 v0, v0, v2, vcc
	v_add_u32_e32 v2, 1, v1
	v_cmp_le_u32_e32 vcc, s22, v0
	v_writelane_b32 v110, s25, 9
	v_writelane_b32 v110, s12, 10
	v_cndmask_b32_e32 v0, v1, v2, vcc
	v_xor_b32_e32 v0, s0, v0
	v_subrev_u32_e32 v0, s0, v0
	v_mul_hi_i32 v1, v0, s28
	v_mul_lo_u32 v0, v0, s28
	v_mul_lo_u32 v2, v18, s52
	v_ashrrev_i32_e32 v3, 31, v2
	s_mul_i32 s0, s12, s47
	v_lshlrev_b64 v[0:1], 2, v[0:1]
	s_movk_i32 s2, 0x1080
	v_mov_b32_e32 v100, 0x100
	v_writelane_b32 v110, s4, 11
	s_waitcnt lgkmcnt(0)
	v_lshl_add_u64 v[4:5], s[6:7], 0, v[0:1]
	v_lshlrev_b64 v[2:3], 2, v[2:3]
	s_ashr_i32 s1, s0, 31
	v_mad_u32_u24 v6, v17, s2, v100
	s_mul_hi_i32 s3, s29, s4
	v_writelane_b32 v110, s28, 12
	s_mul_i32 s2, s29, s4
	v_lshl_add_u64 v[4:5], v[4:5], 0, v[2:3]
	s_lshl_b64 s[0:1], s[0:1], 2
	s_lshl_b64 s[2:3], s[2:3], 2
	v_lshl_add_u64 v[18:19], v[4:5], 0, s[0:1]
	v_writelane_b32 v110, s29, 13
	v_mul_hi_i32 v5, s48, v94
	v_mul_lo_u32 v4, s48, v94
	s_add_u32 s2, s8, s2
	v_writelane_b32 v110, s30, 14
	v_lshlrev_b64 v[4:5], 3, v[4:5]
	s_addc_u32 s3, s9, s3
	v_writelane_b32 v110, s31, 15
	v_lshl_add_u64 v[20:21], s[2:3], 0, v[4:5]
	s_lshl_b32 s2, s48, 3
	v_writelane_b32 v110, s2, 16
	s_mul_i32 s2, s48, 6
	v_writelane_b32 v110, s2, 17
	s_lshl_b32 s2, s48, 4
	v_writelane_b32 v110, s2, 18
	s_mul_i32 s2, s48, 10
	v_writelane_b32 v110, s2, 19
	s_mul_i32 s2, s48, 12
	v_writelane_b32 v110, s2, 20
	v_lshl_add_u64 v[0:1], v[0:1], 0, s[0:1]
	s_mul_i32 s0, s48, 26
	v_writelane_b32 v110, s0, 21
	s_mul_i32 s0, s48, 24
	v_writelane_b32 v110, s0, 22
	;; [unrolled: 2-line block ×5, first 2 shown]
	s_mul_i32 s0, s48, 14
	v_lshrrev_b32_e32 v5, 1, v16
	v_writelane_b32 v110, s0, 26
	s_lshl_b32 s0, s48, 1
	v_mul_u32_u24_e32 v4, 0x108, v98
	v_and_b32_e32 v5, 0x1f8, v5
	v_lshl_add_u64 v[0:1], v[0:1], 0, v[2:3]
	v_writelane_b32 v110, s0, 27
	s_mul_i32 s0, s47, 3
	v_add3_u32 v102, v6, v4, v5
	v_or_b32_e32 v26, 1, v94
	v_add_u32_e32 v27, 2, v94
	s_lshl_b32 s46, s48, 2
	v_add_u32_e32 v28, 3, v94
	v_add_u32_e32 v29, 4, v94
	;; [unrolled: 1-line block ×11, first 2 shown]
	s_ashr_i32 s3, s47, 31
	s_mov_b32 s2, s47
	v_lshlrev_b32_e32 v4, 1, v16
	v_lshlrev_b32_e32 v22, 2, v99
	v_mov_b32_e32 v23, 0
	v_lshl_add_u64 v[0:1], s[6:7], 0, v[0:1]
	v_writelane_b32 v110, s0, 28
	s_mul_i32 s0, s47, 5
	v_lshl_add_u32 v101, v16, 2, v6
	v_lshl_add_u32 v103, v17, 7, v4
	s_lshl_b64 s[2:3], s[2:3], 2
	v_lshl_add_u64 v[24:25], v[0:1], 0, v[22:23]
	s_lshl_b32 s66, s47, 1
	s_lshl_b32 s68, s47, 2
	v_writelane_b32 v110, s0, 29
	s_mul_i32 s70, s47, 6
	s_mul_i32 s71, s47, 7
	s_lshl_b32 s72, s47, 3
	s_mul_i32 s73, s47, 9
	s_mul_i32 s74, s47, 10
	;; [unrolled: 1-line block ×7, first 2 shown]
	s_lshl_b32 s80, s47, 4
	s_mul_i32 s81, s47, 17
	s_mul_i32 s82, s47, 18
	;; [unrolled: 1-line block ×15, first 2 shown]
	s_lshl_b32 s96, s47, 5
	s_mul_i32 s97, s47, 33
	s_mul_i32 s98, s47, 34
	s_mul_i32 s99, s47, 35
	s_mul_i32 s42, s47, 36
	s_mul_i32 s43, s47, 37
	s_mul_i32 s58, s47, 38
	s_mul_i32 s5, s47, 39
	s_mul_i32 s55, s47, 40
	s_mul_i32 s57, s47, 41
	s_mul_i32 s59, s47, 42
	v_cmp_gt_i32_e64 s[6:7], s45, v94
	s_mul_i32 s0, s47, 43
	s_mul_i32 s1, s47, 44
	v_mov_b32_e32 v12, 0
	v_mov_b32_e32 v13, v23
	;; [unrolled: 1-line block ×16, first 2 shown]
	s_mul_i32 s38, s47, 45
	s_mul_i32 s39, s47, 46
	s_mul_i32 s60, s47, 47
	s_mul_i32 s61, s47, 48
	s_mul_i32 s62, s47, 49
	s_mul_i32 s63, s47, 50
	s_mul_i32 s64, s47, 51
	s_mul_i32 s65, s47, 52
	s_mul_i32 s36, s47, 53
	s_mul_i32 s37, s47, 54
	s_mul_i32 s40, s47, 55
	s_mul_i32 s41, s47, 56
	s_mul_i32 s33, s47, 57
	s_mul_i32 s4, s47, 58
	s_mul_i32 s52, s47, 59
	s_mul_i32 s56, s47, 60
	s_mul_i32 s48, s47, 61
	s_mul_i32 s67, s47, 62
	s_mul_i32 s69, s47, 63
	v_cmp_gt_i32_e64 s[8:9], s45, v26
	v_cmp_gt_i32_e64 s[10:11], s45, v27
	;; [unrolled: 1-line block ×13, first 2 shown]
	s_mov_b32 s45, s46
	s_mov_b64 s[46:47], 0
	s_mov_b64 s[50:51], 0x600
	s_branch .LBB115_43
.LBB115_42:                             ;   in Loop: Header=BB115_43 Depth=1
	s_waitcnt vmcnt(0)
	v_cvt_f16_f32_e32 v22, v90
	v_cvt_f16_f32_e32 v90, v91
	v_add_u32_e32 v91, 0xc00, v101
	ds_write_b32 v101, v23 offset:4024
	v_add_u32_e32 v99, 0x180, v99
	v_pack_b32_f16 v22, v22, v90
	ds_write2_b32 v91, v22, v23 offset0:106 offset1:172
	ds_read2_b64 v[90:93], v102 offset0:8 offset1:12
	v_cmp_le_i32_e32 vcc, s44, v99
	v_add_u32_e32 v103, 0x300, v103
	v_lshl_add_u64 v[24:25], v[24:25], 0, s[50:51]
	s_waitcnt lgkmcnt(0)
	v_mfma_f32_16x16x16_f16 v[4:7], v[58:59], v[90:91], v[4:7]
	s_or_b64 s[46:47], vcc, s[46:47]
	v_mfma_f32_16x16x16_f16 v[8:11], v[42:43], v[90:91], v[8:11]
	v_mfma_f32_16x16x16_f16 v[0:3], v[74:75], v[90:91], v[0:3]
	v_mfma_f32_16x16x16_f16 v[12:15], v[88:89], v[90:91], v[12:15]
	v_mfma_f32_16x16x16_f16 v[4:7], v[56:57], v[92:93], v[4:7]
	ds_read2_b64 v[56:59], v102 offset0:16 offset1:20
	v_mfma_f32_16x16x16_f16 v[8:11], v[38:39], v[92:93], v[8:11]
	v_mfma_f32_16x16x16_f16 v[0:3], v[72:73], v[92:93], v[0:3]
	v_mfma_f32_16x16x16_f16 v[12:15], v[86:87], v[92:93], v[12:15]
	s_waitcnt lgkmcnt(0)
	v_mfma_f32_16x16x16_f16 v[8:11], v[36:37], v[56:57], v[8:11]
	v_mfma_f32_16x16x16_f16 v[4:7], v[52:53], v[56:57], v[4:7]
	v_mfma_f32_16x16x16_f16 v[0:3], v[70:71], v[56:57], v[0:3]
	v_mfma_f32_16x16x16_f16 v[12:15], v[82:83], v[56:57], v[12:15]
	v_mfma_f32_16x16x16_f16 v[8:11], v[34:35], v[58:59], v[8:11]
	ds_read2_b64 v[34:37], v102 offset0:24 offset1:28
	v_mfma_f32_16x16x16_f16 v[4:7], v[50:51], v[58:59], v[4:7]
	v_mfma_f32_16x16x16_f16 v[0:3], v[68:69], v[58:59], v[0:3]
	v_mfma_f32_16x16x16_f16 v[12:15], v[78:79], v[58:59], v[12:15]
	s_waitcnt lgkmcnt(0)
	v_mfma_f32_16x16x16_f16 v[8:11], v[32:33], v[34:35], v[8:11]
	;; [unrolled: 10-line block ×3, first 2 shown]
	v_mfma_f32_16x16x16_f16 v[4:7], v[44:45], v[30:31], v[4:7]
	v_mfma_f32_16x16x16_f16 v[0:3], v[60:61], v[30:31], v[0:3]
	;; [unrolled: 1-line block ×7, first 2 shown]
	s_andn2_b64 exec, exec, s[46:47]
	s_cbranch_execz .LBB115_85
.LBB115_43:                             ; =>This Inner Loop Header: Depth=1
	v_lshl_add_u64 v[26:27], v[24:25], 0, s[2:3]
	v_readlane_b32 vcc_lo, v110, 28
	global_load_dword v22, v[24:25], off
	global_load_dword v52, v[26:27], off
	v_add_u32_e32 v26, s66, v99
	v_add_u32_e32 v28, vcc_lo, v99
	v_readlane_b32 vcc_lo, v110, 29
	v_ashrrev_i32_e32 v27, 31, v26
	v_add_u32_e32 v30, s68, v99
	v_add_u32_e32 v32, vcc_lo, v99
	v_add_u32_e32 v34, s70, v99
	v_add_u32_e32 v36, s71, v99
	v_lshl_add_u64 v[26:27], v[26:27], 2, v[18:19]
	v_ashrrev_i32_e32 v29, 31, v28
	v_ashrrev_i32_e32 v31, 31, v30
	;; [unrolled: 1-line block ×5, first 2 shown]
	v_lshl_add_u64 v[28:29], v[28:29], 2, v[18:19]
	v_lshl_add_u64 v[30:31], v[30:31], 2, v[18:19]
	;; [unrolled: 1-line block ×5, first 2 shown]
	global_load_dword v53, v[26:27], off
	global_load_dword v54, v[28:29], off
	;; [unrolled: 1-line block ×6, first 2 shown]
	v_add_u32_e32 v26, s72, v99
	v_add_u32_e32 v44, s81, v99
	v_add_u32_e32 v28, s73, v99
	v_add_u32_e32 v30, s74, v99
	v_add_u32_e32 v32, s75, v99
	v_add_u32_e32 v34, s76, v99
	v_add_u32_e32 v36, s77, v99
	v_add_u32_e32 v38, s78, v99
	v_add_u32_e32 v40, s79, v99
	v_add_u32_e32 v42, s80, v99
	v_ashrrev_i32_e32 v27, 31, v26
	v_ashrrev_i32_e32 v45, 31, v44
	;; [unrolled: 1-line block ×10, first 2 shown]
	v_lshl_add_u64 v[26:27], v[26:27], 2, v[18:19]
	v_lshl_add_u64 v[44:45], v[44:45], 2, v[18:19]
	v_add_u32_e32 v46, s82, v99
	v_add_u32_e32 v48, s83, v99
	;; [unrolled: 1-line block ×3, first 2 shown]
	v_lshl_add_u64 v[28:29], v[28:29], 2, v[18:19]
	v_lshl_add_u64 v[30:31], v[30:31], 2, v[18:19]
	v_lshl_add_u64 v[32:33], v[32:33], 2, v[18:19]
	v_lshl_add_u64 v[34:35], v[34:35], 2, v[18:19]
	v_lshl_add_u64 v[36:37], v[36:37], 2, v[18:19]
	v_lshl_add_u64 v[38:39], v[38:39], 2, v[18:19]
	v_lshl_add_u64 v[40:41], v[40:41], 2, v[18:19]
	v_lshl_add_u64 v[42:43], v[42:43], 2, v[18:19]
	global_load_dword v59, v[26:27], off
	global_load_dword v60, v[28:29], off
	;; [unrolled: 1-line block ×9, first 2 shown]
	s_nop 0
	global_load_dword v44, v[44:45], off
	v_add_u32_e32 v26, s85, v99
	v_ashrrev_i32_e32 v47, 31, v46
	v_ashrrev_i32_e32 v49, 31, v48
	;; [unrolled: 1-line block ×4, first 2 shown]
	v_add_u32_e32 v28, s86, v99
	v_add_u32_e32 v30, s87, v99
	;; [unrolled: 1-line block ×4, first 2 shown]
	v_lshl_add_u64 v[46:47], v[46:47], 2, v[18:19]
	v_lshl_add_u64 v[48:49], v[48:49], 2, v[18:19]
	;; [unrolled: 1-line block ×4, first 2 shown]
	v_ashrrev_i32_e32 v29, 31, v28
	v_ashrrev_i32_e32 v31, 31, v30
	;; [unrolled: 1-line block ×4, first 2 shown]
	v_lshl_add_u64 v[28:29], v[28:29], 2, v[18:19]
	v_lshl_add_u64 v[30:31], v[30:31], 2, v[18:19]
	;; [unrolled: 1-line block ×4, first 2 shown]
	v_add_u32_e32 v36, s95, v99
	v_add_u32_e32 v38, s96, v99
	;; [unrolled: 1-line block ×3, first 2 shown]
	v_ashrrev_i32_e32 v37, 31, v36
	v_ashrrev_i32_e32 v39, 31, v38
	s_waitcnt vmcnt(17)
	ds_write_b32 v101, v22 offset:64
	s_waitcnt vmcnt(16)
	ds_write_b32 v101, v52 offset:328
	;; [unrolled: 2-line block ×8, first 2 shown]
	global_load_dword v22, v[46:47], off
	global_load_dword v45, v[48:49], off
	s_nop 0
	global_load_dword v46, v[50:51], off
	global_load_dword v47, v[26:27], off
	;; [unrolled: 1-line block ×4, first 2 shown]
	s_nop 0
	global_load_dword v50, v[32:33], off
	global_load_dword v51, v[34:35], off
	v_add_u32_e32 v26, s90, v99
	v_ashrrev_i32_e32 v27, 31, v26
	v_add_u32_e32 v28, s91, v99
	v_add_u32_e32 v30, s92, v99
	;; [unrolled: 1-line block ×4, first 2 shown]
	v_lshl_add_u64 v[26:27], v[26:27], 2, v[18:19]
	v_ashrrev_i32_e32 v29, 31, v28
	v_ashrrev_i32_e32 v31, 31, v30
	v_ashrrev_i32_e32 v33, 31, v32
	v_ashrrev_i32_e32 v35, 31, v34
	v_ashrrev_i32_e32 v41, 31, v40
	v_lshl_add_u64 v[28:29], v[28:29], 2, v[18:19]
	v_lshl_add_u64 v[30:31], v[30:31], 2, v[18:19]
	v_lshl_add_u64 v[32:33], v[32:33], 2, v[18:19]
	v_lshl_add_u64 v[34:35], v[34:35], 2, v[18:19]
	v_lshl_add_u64 v[36:37], v[36:37], 2, v[18:19]
	v_lshl_add_u64 v[38:39], v[38:39], 2, v[18:19]
	v_lshl_add_u64 v[40:41], v[40:41], 2, v[18:19]
	global_load_dword v52, v[26:27], off
	global_load_dword v53, v[28:29], off
	global_load_dword v54, v[30:31], off
	global_load_dword v55, v[32:33], off
	global_load_dword v56, v[34:35], off
	global_load_dword v57, v[36:37], off
	global_load_dword v68, v[38:39], off
	global_load_dword v69, v[40:41], off
	v_add_u32_e32 v26, s98, v99
	v_ashrrev_i32_e32 v27, 31, v26
	v_add_u32_e32 v28, s99, v99
	v_add_u32_e32 v30, s42, v99
	v_add_u32_e32 v32, s43, v99
	v_add_u32_e32 v34, s58, v99
	v_add_u32_e32 v36, s5, v99
	v_add_u32_e32 v38, s55, v99
	v_add_u32_e32 v40, s57, v99
	v_lshl_add_u64 v[26:27], v[26:27], 2, v[18:19]
	v_ashrrev_i32_e32 v29, 31, v28
	v_ashrrev_i32_e32 v31, 31, v30
	v_ashrrev_i32_e32 v33, 31, v32
	v_ashrrev_i32_e32 v35, 31, v34
	v_ashrrev_i32_e32 v37, 31, v36
	v_ashrrev_i32_e32 v39, 31, v38
	v_ashrrev_i32_e32 v41, 31, v40
	v_lshl_add_u64 v[28:29], v[28:29], 2, v[18:19]
	v_lshl_add_u64 v[30:31], v[30:31], 2, v[18:19]
	v_lshl_add_u64 v[32:33], v[32:33], 2, v[18:19]
	v_lshl_add_u64 v[34:35], v[34:35], 2, v[18:19]
	v_lshl_add_u64 v[36:37], v[36:37], 2, v[18:19]
	v_lshl_add_u64 v[38:39], v[38:39], 2, v[18:19]
	v_lshl_add_u64 v[40:41], v[40:41], 2, v[18:19]
	global_load_dword v70, v[26:27], off
	global_load_dword v71, v[28:29], off
	global_load_dword v72, v[30:31], off
	global_load_dword v73, v[32:33], off
	global_load_dword v74, v[34:35], off
	global_load_dword v75, v[36:37], off
	global_load_dword v76, v[38:39], off
	global_load_dword v77, v[40:41], off
	v_add_u32_e32 v26, s59, v99
	v_ashrrev_i32_e32 v27, 31, v26
	v_add_u32_e32 v28, s0, v99
	v_add_u32_e32 v30, s1, v99
	v_add_u32_e32 v32, s38, v99
	v_add_u32_e32 v34, s39, v99
	v_add_u32_e32 v36, s60, v99
	v_add_u32_e32 v38, s61, v99
	v_add_u32_e32 v40, s62, v99
	v_lshl_add_u64 v[26:27], v[26:27], 2, v[18:19]
	v_ashrrev_i32_e32 v29, 31, v28
	v_ashrrev_i32_e32 v31, 31, v30
	;; [unrolled: 32-line block ×3, first 2 shown]
	v_ashrrev_i32_e32 v33, 31, v32
	v_ashrrev_i32_e32 v35, 31, v34
	;; [unrolled: 1-line block ×5, first 2 shown]
	v_lshl_add_u64 v[28:29], v[28:29], 2, v[18:19]
	v_lshl_add_u64 v[30:31], v[30:31], 2, v[18:19]
	;; [unrolled: 1-line block ×7, first 2 shown]
	global_load_dword v86, v[26:27], off
	global_load_dword v87, v[28:29], off
	;; [unrolled: 1-line block ×8, first 2 shown]
	v_add_u32_e32 v26, s4, v99
	v_ashrrev_i32_e32 v27, 31, v26
	v_add_u32_e32 v28, s52, v99
	v_add_u32_e32 v30, s56, v99
	;; [unrolled: 1-line block ×5, first 2 shown]
	v_lshl_add_u64 v[26:27], v[26:27], 2, v[18:19]
	v_ashrrev_i32_e32 v29, 31, v28
	v_ashrrev_i32_e32 v31, 31, v30
	;; [unrolled: 1-line block ×5, first 2 shown]
	v_lshl_add_u64 v[28:29], v[28:29], 2, v[18:19]
	v_lshl_add_u64 v[30:31], v[30:31], 2, v[18:19]
	;; [unrolled: 1-line block ×5, first 2 shown]
	global_load_dword v104, v[26:27], off
	global_load_dword v105, v[28:29], off
	;; [unrolled: 1-line block ×6, first 2 shown]
	s_waitcnt vmcnt(55)
	ds_write_b32 v101, v59 offset:2176
	s_waitcnt vmcnt(54)
	ds_write_b32 v101, v60 offset:2440
	s_waitcnt vmcnt(53)
	ds_write_b32 v101, v61 offset:2704
	s_waitcnt vmcnt(52)
	ds_write_b32 v101, v62 offset:2968
	s_waitcnt vmcnt(51)
	ds_write_b32 v101, v63 offset:3232
	s_waitcnt vmcnt(50)
	ds_write_b32 v101, v64 offset:3496
	s_waitcnt vmcnt(49)
	ds_write_b32 v101, v65 offset:3760
	s_waitcnt vmcnt(48)
	ds_write_b32 v101, v66 offset:4024
	ds_read_b64 v[42:43], v102 offset:64
	ds_read_b64 v[38:39], v102 offset:96
	ds_read_b64 v[36:37], v102 offset:128
	ds_read_b64 v[34:35], v102 offset:160
	ds_read_b64 v[32:33], v102 offset:192
	ds_read_b64 v[30:31], v102 offset:224
	ds_read_b64 v[28:29], v102 offset:256
	ds_read_b64 v[26:27], v102 offset:288
	s_waitcnt vmcnt(47)
	ds_write_b32 v101, v67 offset:64
	s_waitcnt vmcnt(46)
	ds_write_b32 v101, v44 offset:328
	s_waitcnt vmcnt(45)
	ds_write_b32 v101, v22 offset:592
	s_waitcnt vmcnt(44)
	ds_write_b32 v101, v45 offset:856
	s_waitcnt vmcnt(43)
	ds_write_b32 v101, v46 offset:1120
	s_waitcnt vmcnt(42)
	ds_write_b32 v101, v47 offset:1384
	s_waitcnt vmcnt(41)
	ds_write_b32 v101, v48 offset:1648
	s_waitcnt vmcnt(40)
	ds_write_b32 v101, v49 offset:1912
	s_waitcnt vmcnt(39)
	ds_write_b32 v101, v50 offset:2176
	s_waitcnt vmcnt(38)
	ds_write_b32 v101, v51 offset:2440
	s_waitcnt vmcnt(37)
	ds_write_b32 v101, v52 offset:2704
	s_waitcnt vmcnt(36)
	ds_write_b32 v101, v53 offset:2968
	s_waitcnt vmcnt(35)
	ds_write_b32 v101, v54 offset:3232
	s_waitcnt vmcnt(34)
	ds_write_b32 v101, v55 offset:3496
	s_waitcnt vmcnt(33)
	ds_write_b32 v101, v56 offset:3760
	s_waitcnt vmcnt(32)
	ds_write_b32 v101, v57 offset:4024
	ds_read_b64 v[58:59], v102 offset:64
	ds_read_b64 v[56:57], v102 offset:96
	ds_read_b64 v[52:53], v102 offset:128
	ds_read_b64 v[50:51], v102 offset:160
	ds_read_b64 v[48:49], v102 offset:192
	ds_read_b64 v[46:47], v102 offset:224
	ds_read_b64 v[44:45], v102 offset:256
	ds_read_b64 v[40:41], v102 offset:288
	s_waitcnt vmcnt(31)
	ds_write_b32 v101, v68 offset:64
	s_waitcnt vmcnt(30)
	ds_write_b32 v101, v69 offset:328
	s_waitcnt vmcnt(29)
	ds_write_b32 v101, v70 offset:592
	s_waitcnt vmcnt(28)
	ds_write_b32 v101, v71 offset:856
	s_waitcnt vmcnt(27)
	ds_write_b32 v101, v72 offset:1120
	s_waitcnt vmcnt(26)
	ds_write_b32 v101, v73 offset:1384
	s_waitcnt vmcnt(25)
	ds_write_b32 v101, v74 offset:1648
	s_waitcnt vmcnt(24)
	ds_write_b32 v101, v75 offset:1912
	;; [unrolled: 40-line block ×3, first 2 shown]
	s_waitcnt vmcnt(7)
	ds_write_b32 v101, v92 offset:2176
	s_waitcnt vmcnt(6)
	ds_write_b32 v101, v93 offset:2440
	;; [unrolled: 2-line block ×8, first 2 shown]
	ds_read_b64 v[88:89], v102 offset:64
	ds_read_b64 v[86:87], v102 offset:96
	;; [unrolled: 1-line block ×8, first 2 shown]
	s_andn2_b64 vcc, exec, s[6:7]
	v_mov_b32_e32 v90, 0
	v_mov_b32_e32 v91, 0
	s_cbranch_vccnz .LBB115_46
; %bb.44:                               ;   in Loop: Header=BB115_43 Depth=1
	ds_read_b32 v22, v100
	v_mov_b32_e32 v91, 0
	v_mov_b32_e32 v90, 0
	s_waitcnt lgkmcnt(0)
	v_cmp_gt_i32_e32 vcc, 0, v22
	s_cbranch_vccnz .LBB115_46
; %bb.45:                               ;   in Loop: Header=BB115_43 Depth=1
	v_mul_lo_u32 v22, v22, s53
	v_add_u32_e32 v90, v103, v22
	v_ashrrev_i32_e32 v91, 31, v90
	v_lshl_add_u64 v[90:91], v[90:91], 2, v[20:21]
	global_load_dwordx2 v[90:91], v[90:91], off
.LBB115_46:                             ;   in Loop: Header=BB115_43 Depth=1
	s_waitcnt vmcnt(0)
	v_cvt_f16_f32_e32 v22, v90
	v_cvt_f16_f32_e32 v90, v91
	s_andn2_b64 vcc, exec, s[8:9]
	v_mov_b32_e32 v92, 0
	v_mov_b32_e32 v93, 0
	v_pack_b32_f16 v22, v22, v90
	v_mov_b32_e32 v90, 0
	ds_write_b32 v101, v22 offset:64
	s_cbranch_vccnz .LBB115_49
; %bb.47:                               ;   in Loop: Header=BB115_43 Depth=1
	ds_read_b32 v22, v100 offset:4
	v_mov_b32_e32 v93, 0
	v_mov_b32_e32 v92, 0
	s_waitcnt lgkmcnt(0)
	v_cmp_gt_i32_e32 vcc, 0, v22
	s_cbranch_vccnz .LBB115_49
; %bb.48:                               ;   in Loop: Header=BB115_43 Depth=1
	v_mul_lo_u32 v22, v22, s53
	v_readlane_b32 vcc_lo, v110, 27
	s_nop 1
	v_add_u32_e32 v22, vcc_lo, v22
	v_add_u32_e32 v92, v22, v103
	v_ashrrev_i32_e32 v93, 31, v92
	v_lshl_add_u64 v[92:93], v[92:93], 2, v[20:21]
	global_load_dwordx2 v[92:93], v[92:93], off
.LBB115_49:                             ;   in Loop: Header=BB115_43 Depth=1
	s_waitcnt vmcnt(0)
	v_cvt_f16_f32_e32 v22, v92
	v_cvt_f16_f32_e32 v91, v93
	s_andn2_b64 vcc, exec, s[10:11]
	v_pack_b32_f16 v22, v22, v91
	v_mov_b32_e32 v91, 0
	ds_write_b32 v101, v22 offset:328
	s_cbranch_vccnz .LBB115_52
; %bb.50:                               ;   in Loop: Header=BB115_43 Depth=1
	ds_read_b32 v22, v100 offset:8
	v_mov_b32_e32 v91, 0
	v_mov_b32_e32 v90, 0
	s_waitcnt lgkmcnt(0)
	v_cmp_gt_i32_e32 vcc, 0, v22
	s_cbranch_vccnz .LBB115_52
; %bb.51:                               ;   in Loop: Header=BB115_43 Depth=1
	v_mul_lo_u32 v22, v22, s53
	v_add_u32_e32 v22, s45, v22
	v_add_u32_e32 v90, v22, v103
	v_ashrrev_i32_e32 v91, 31, v90
	v_lshl_add_u64 v[90:91], v[90:91], 2, v[20:21]
	global_load_dwordx2 v[90:91], v[90:91], off
.LBB115_52:                             ;   in Loop: Header=BB115_43 Depth=1
	s_waitcnt vmcnt(0)
	v_cvt_f16_f32_e32 v22, v90
	v_cvt_f16_f32_e32 v90, v91
	s_andn2_b64 vcc, exec, s[12:13]
	v_mov_b32_e32 v92, 0
	v_mov_b32_e32 v93, 0
	v_pack_b32_f16 v22, v22, v90
	v_mov_b32_e32 v90, 0
	ds_write_b32 v101, v22 offset:592
	s_cbranch_vccnz .LBB115_55
; %bb.53:                               ;   in Loop: Header=BB115_43 Depth=1
	ds_read_b32 v22, v100 offset:12
	v_mov_b32_e32 v93, 0
	v_mov_b32_e32 v92, 0
	s_waitcnt lgkmcnt(0)
	v_cmp_gt_i32_e32 vcc, 0, v22
	s_cbranch_vccnz .LBB115_55
; %bb.54:                               ;   in Loop: Header=BB115_43 Depth=1
	v_mul_lo_u32 v22, v22, s53
	v_readlane_b32 vcc_lo, v110, 17
	s_nop 1
	v_add_u32_e32 v22, vcc_lo, v22
	v_add_u32_e32 v92, v22, v103
	v_ashrrev_i32_e32 v93, 31, v92
	v_lshl_add_u64 v[92:93], v[92:93], 2, v[20:21]
	global_load_dwordx2 v[92:93], v[92:93], off
.LBB115_55:                             ;   in Loop: Header=BB115_43 Depth=1
	s_waitcnt vmcnt(0)
	v_cvt_f16_f32_e32 v22, v92
	v_cvt_f16_f32_e32 v91, v93
	s_andn2_b64 vcc, exec, s[14:15]
	v_pack_b32_f16 v22, v22, v91
	v_mov_b32_e32 v91, 0
	ds_write_b32 v101, v22 offset:856
	s_cbranch_vccnz .LBB115_58
; %bb.56:                               ;   in Loop: Header=BB115_43 Depth=1
	ds_read_b32 v22, v100 offset:16
	v_mov_b32_e32 v91, 0
	v_mov_b32_e32 v90, 0
	s_waitcnt lgkmcnt(0)
	v_cmp_gt_i32_e32 vcc, 0, v22
	s_cbranch_vccnz .LBB115_58
; %bb.57:                               ;   in Loop: Header=BB115_43 Depth=1
	v_mul_lo_u32 v22, v22, s53
	v_readlane_b32 vcc_lo, v110, 16
	s_nop 1
	v_add_u32_e32 v22, vcc_lo, v22
	v_add_u32_e32 v90, v22, v103
	v_ashrrev_i32_e32 v91, 31, v90
	v_lshl_add_u64 v[90:91], v[90:91], 2, v[20:21]
	global_load_dwordx2 v[90:91], v[90:91], off
.LBB115_58:                             ;   in Loop: Header=BB115_43 Depth=1
	s_waitcnt vmcnt(0)
	v_cvt_f16_f32_e32 v22, v90
	v_cvt_f16_f32_e32 v90, v91
	s_andn2_b64 vcc, exec, s[16:17]
	v_mov_b32_e32 v92, 0
	v_mov_b32_e32 v93, 0
	v_pack_b32_f16 v22, v22, v90
	v_mov_b32_e32 v90, 0
	ds_write_b32 v101, v22 offset:1120
	s_cbranch_vccnz .LBB115_61
; %bb.59:                               ;   in Loop: Header=BB115_43 Depth=1
	ds_read_b32 v22, v100 offset:20
	v_mov_b32_e32 v93, 0
	v_mov_b32_e32 v92, 0
	s_waitcnt lgkmcnt(0)
	v_cmp_gt_i32_e32 vcc, 0, v22
	s_cbranch_vccnz .LBB115_61
; %bb.60:                               ;   in Loop: Header=BB115_43 Depth=1
	v_mul_lo_u32 v22, v22, s53
	v_readlane_b32 vcc_lo, v110, 19
	s_nop 1
	v_add_u32_e32 v22, vcc_lo, v22
	v_add_u32_e32 v92, v22, v103
	v_ashrrev_i32_e32 v93, 31, v92
	v_lshl_add_u64 v[92:93], v[92:93], 2, v[20:21]
	global_load_dwordx2 v[92:93], v[92:93], off
.LBB115_61:                             ;   in Loop: Header=BB115_43 Depth=1
	s_waitcnt vmcnt(0)
	v_cvt_f16_f32_e32 v22, v92
	v_cvt_f16_f32_e32 v91, v93
	s_andn2_b64 vcc, exec, s[18:19]
	v_pack_b32_f16 v22, v22, v91
	v_mov_b32_e32 v91, 0
	ds_write_b32 v101, v22 offset:1384
	s_cbranch_vccnz .LBB115_64
; %bb.62:                               ;   in Loop: Header=BB115_43 Depth=1
	ds_read_b32 v22, v100 offset:24
	v_mov_b32_e32 v91, 0
	v_mov_b32_e32 v90, 0
	s_waitcnt lgkmcnt(0)
	v_cmp_gt_i32_e32 vcc, 0, v22
	s_cbranch_vccnz .LBB115_64
; %bb.63:                               ;   in Loop: Header=BB115_43 Depth=1
	v_mul_lo_u32 v22, v22, s53
	v_readlane_b32 vcc_lo, v110, 20
	s_nop 1
	v_add_u32_e32 v22, vcc_lo, v22
	v_add_u32_e32 v90, v22, v103
	v_ashrrev_i32_e32 v91, 31, v90
	v_lshl_add_u64 v[90:91], v[90:91], 2, v[20:21]
	global_load_dwordx2 v[90:91], v[90:91], off
.LBB115_64:                             ;   in Loop: Header=BB115_43 Depth=1
	;; [unrolled: 52-line block ×5, first 2 shown]
	s_waitcnt vmcnt(0)
	v_cvt_f16_f32_e32 v22, v90
	v_cvt_f16_f32_e32 v90, v91
	s_andn2_b64 vcc, exec, s[34:35]
	v_mov_b32_e32 v91, 0
	v_pack_b32_f16 v22, v22, v90
	v_mov_b32_e32 v90, 0
	ds_write_b32 v101, v22 offset:3232
	s_cbranch_vccnz .LBB115_42
; %bb.83:                               ;   in Loop: Header=BB115_43 Depth=1
	ds_read_b32 v22, v100 offset:52
	v_mov_b32_e32 v91, 0
	v_mov_b32_e32 v90, 0
	s_waitcnt lgkmcnt(0)
	v_cmp_gt_i32_e32 vcc, 0, v22
	s_cbranch_vccnz .LBB115_42
; %bb.84:                               ;   in Loop: Header=BB115_43 Depth=1
	v_mul_lo_u32 v22, v22, s53
	v_readlane_b32 vcc_lo, v110, 21
	s_nop 1
	v_add_u32_e32 v22, vcc_lo, v22
	v_add_u32_e32 v90, v22, v103
	v_ashrrev_i32_e32 v91, 31, v90
	v_lshl_add_u64 v[90:91], v[90:91], 2, v[20:21]
	global_load_dwordx2 v[90:91], v[90:91], off
	s_branch .LBB115_42
.LBB115_85:
	s_or_b64 exec, exec, s[46:47]
	v_readlane_b32 s24, v110, 8
	v_readlane_b32 s28, v110, 12
	;; [unrolled: 1-line block ×8, first 2 shown]
.LBB115_86:
	v_readlane_b32 s0, v110, 6
	v_readlane_b32 s1, v110, 7
	s_or_b64 exec, exec, s[0:1]
	v_mul_u32_u24_e32 v18, 0x608, v98
	s_movk_i32 s1, 0x100
	v_lshlrev_b32_e32 v19, 2, v97
	v_add3_u32 v18, s1, v18, v19
	v_and_b32_e32 v20, 0x3f0, v16
	v_add_u32_e32 v21, v18, v20
	s_waitcnt lgkmcnt(0)
	s_barrier
	v_add_u32_e32 v19, 64, v18
	ds_write2_b32 v21, v8, v9 offset0:16 offset1:17
	v_or_b32_e32 v9, 12, v16
	v_add_u32_e32 v8, v19, v20
	v_and_b32_e32 v9, 0x3fc, v9
	ds_write_b32 v8, v10 offset:8
	v_add_u32_e32 v10, v18, v9
	ds_write_b32 v10, v11 offset:64
	ds_write2_b32 v8, v4, v5 offset0:16 offset1:17
	ds_write_b32 v8, v6 offset:72
	v_add_u32_e32 v4, v19, v9
	ds_write_b32 v4, v7 offset:64
	ds_write2_b32 v8, v0, v1 offset0:32 offset1:33
	ds_write_b32 v8, v2 offset:136
	ds_write_b32 v4, v3 offset:128
	ds_write2_b32 v8, v12, v13 offset0:48 offset1:49
	ds_write_b32 v8, v14 offset:200
	ds_write_b32 v4, v15 offset:192
	v_mov_b32_e32 v0, 0x100
	s_movk_i32 s0, 0x608
	v_lshl_add_u32 v9, v16, 2, v0
	v_mad_u32_u24 v1, v17, s0, v9
	s_waitcnt lgkmcnt(0)
	s_barrier
	ds_read2_b32 v[6:7], v1 offset0:16 offset1:80
	ds_read2_b32 v[2:3], v1 offset0:144 offset1:208
	v_add_u32_e32 v1, 64, v1
	ds_read2st64_b32 v[4:5], v1 offset0:4 offset1:5
	v_cmp_gt_u32_e32 vcc, 14, v17
	v_mov_b32_e32 v10, -1
	s_and_saveexec_b64 s[0:1], vcc
	s_cbranch_execz .LBB115_88
; %bb.87:
	v_lshl_add_u32 v0, v17, 2, v0
	ds_read_b32 v10, v0
.LBB115_88:
	s_or_b64 exec, exec, s[0:1]
	s_mul_hi_i32 s1, s30, s4
	s_mul_i32 s0, s30, s4
	s_lshl_b64 s[0:1], s[0:1], 2
	v_readlane_b32 s2, v110, 4
	v_mul_hi_i32 v1, v94, s49
	v_mul_lo_u32 v0, v94, s49
	v_readlane_b32 s3, v110, 5
	s_add_u32 s0, s2, s0
	s_addc_u32 s1, s3, s1
	v_lshlrev_b64 v[0:1], 2, v[0:1]
	s_waitcnt lgkmcnt(0)
	v_cmp_lt_i32_e32 vcc, -1, v10
	v_mul_u32_u24_e32 v11, 0x608, v17
	v_add_u32_e32 v8, s12, v16
	v_lshl_add_u64 v[0:1], s[0:1], 0, v[0:1]
	s_and_b64 s[2:3], vcc, s[24:25]
	s_and_saveexec_b64 s[0:1], s[2:3]
	s_cbranch_execz .LBB115_90
; %bb.89:
	v_add_f32_e32 v6, 0, v6
	v_add_f32_e32 v6, v6, v7
	;; [unrolled: 1-line block ×6, first 2 shown]
	v_mul_lo_u32 v2, v10, s54
	v_mul_lo_u32 v3, v17, s49
	v_add3_u32 v2, v8, v3, v2
	v_mov_b32_e32 v3, 0
	v_lshl_add_u64 v[2:3], v[2:3], 2, v[0:1]
	global_store_dword v[2:3], v4, off
.LBB115_90:
	s_or_b64 exec, exec, s[0:1]
	v_add_u32_e32 v9, v11, v9
	v_add_u32_e32 v2, 0x70, v9
	ds_read2st64_b32 v[6:7], v2 offset0:36 offset1:37
	ds_read2st64_b32 v[4:5], v2 offset0:38 offset1:39
	;; [unrolled: 1-line block ×3, first 2 shown]
	v_cmp_gt_u32_e32 vcc, 8, v17
	v_mov_b32_e32 v10, -1
	s_and_saveexec_b64 s[0:1], vcc
	s_cbranch_execz .LBB115_92
; %bb.91:
	v_mov_b32_e32 v10, 0x100
	v_lshl_add_u32 v10, v17, 2, v10
	ds_read_b32 v10, v10 offset:24
.LBB115_92:
	s_or_b64 exec, exec, s[0:1]
	v_readlane_b32 s0, v110, 0
	s_waitcnt lgkmcnt(0)
	v_cmp_lt_i32_e32 vcc, -1, v10
	v_readlane_b32 s1, v110, 1
	s_and_b64 s[2:3], vcc, s[0:1]
	s_and_saveexec_b64 s[0:1], s[2:3]
	s_cbranch_execz .LBB115_94
; %bb.93:
	v_add_f32_e32 v6, 0, v6
	v_add_f32_e32 v6, v6, v7
	;; [unrolled: 1-line block ×6, first 2 shown]
	v_mul_lo_u32 v2, v10, s54
	v_mul_lo_u32 v3, v95, s49
	v_add3_u32 v2, v8, v3, v2
	v_mov_b32_e32 v3, 0
	v_lshl_add_u64 v[2:3], v[2:3], 2, v[0:1]
	global_store_dword v[2:3], v4, off
.LBB115_94:
	s_or_b64 exec, exec, s[0:1]
	v_cmp_gt_u32_e32 vcc, 2, v17
	s_and_saveexec_b64 s[0:1], vcc
	s_cbranch_execz .LBB115_97
; %bb.95:
	v_mov_b32_e32 v2, 0x100
	v_lshl_add_u32 v2, v17, 2, v2
	ds_read_b32 v2, v2 offset:48
	v_readlane_b32 s0, v110, 2
	v_readlane_b32 s1, v110, 3
	s_waitcnt lgkmcnt(0)
	v_cmp_lt_i32_e32 vcc, -1, v2
	s_and_b64 s[0:1], vcc, s[0:1]
	s_and_b64 exec, exec, s[0:1]
	s_cbranch_execz .LBB115_97
; %bb.96:
	v_add_u32_e32 v6, 0xa0, v9
	ds_read2st64_b32 v[4:5], v6 offset0:72 offset1:73
	v_mul_lo_u32 v9, v2, s54
	ds_read2st64_b32 v[2:3], v6 offset0:74 offset1:75
	ds_read2st64_b32 v[6:7], v6 offset0:76 offset1:77
	v_mul_lo_u32 v10, v96, s49
	s_waitcnt lgkmcnt(2)
	v_add_f32_e32 v4, 0, v4
	v_add_f32_e32 v4, v4, v5
	s_waitcnt lgkmcnt(1)
	v_add_f32_e32 v2, v4, v2
	v_add_f32_e32 v2, v2, v3
	;; [unrolled: 3-line block ×3, first 2 shown]
	v_add3_u32 v2, v8, v10, v9
	v_mov_b32_e32 v3, 0
	v_lshl_add_u64 v[0:1], v[2:3], 2, v[0:1]
	global_store_dword v[0:1], v4, off
.LBB115_97:
	s_endpgm
	.section	.rodata,"a",@progbits
	.p2align	6, 0x0
	.amdhsa_kernel _ZL9mul_mat_fI7__half2Li64ELi14ELi6ELb1EEvPKT_PKfPKiPfiiiiiiiiiiiiiiii
		.amdhsa_group_segment_fixed_size 256
		.amdhsa_private_segment_fixed_size 0
		.amdhsa_kernarg_size 352
		.amdhsa_user_sgpr_count 2
		.amdhsa_user_sgpr_dispatch_ptr 0
		.amdhsa_user_sgpr_queue_ptr 0
		.amdhsa_user_sgpr_kernarg_segment_ptr 1
		.amdhsa_user_sgpr_dispatch_id 0
		.amdhsa_user_sgpr_kernarg_preload_length 0
		.amdhsa_user_sgpr_kernarg_preload_offset 0
		.amdhsa_user_sgpr_private_segment_size 0
		.amdhsa_uses_dynamic_stack 0
		.amdhsa_enable_private_segment 0
		.amdhsa_system_sgpr_workgroup_id_x 1
		.amdhsa_system_sgpr_workgroup_id_y 1
		.amdhsa_system_sgpr_workgroup_id_z 1
		.amdhsa_system_sgpr_workgroup_info 0
		.amdhsa_system_vgpr_workitem_id 2
		.amdhsa_next_free_vgpr 111
		.amdhsa_next_free_sgpr 100
		.amdhsa_accum_offset 112
		.amdhsa_reserve_vcc 1
		.amdhsa_float_round_mode_32 0
		.amdhsa_float_round_mode_16_64 0
		.amdhsa_float_denorm_mode_32 3
		.amdhsa_float_denorm_mode_16_64 3
		.amdhsa_dx10_clamp 1
		.amdhsa_ieee_mode 1
		.amdhsa_fp16_overflow 0
		.amdhsa_tg_split 0
		.amdhsa_exception_fp_ieee_invalid_op 0
		.amdhsa_exception_fp_denorm_src 0
		.amdhsa_exception_fp_ieee_div_zero 0
		.amdhsa_exception_fp_ieee_overflow 0
		.amdhsa_exception_fp_ieee_underflow 0
		.amdhsa_exception_fp_ieee_inexact 0
		.amdhsa_exception_int_div_zero 0
	.end_amdhsa_kernel
	.section	.text._ZL9mul_mat_fI7__half2Li64ELi14ELi6ELb1EEvPKT_PKfPKiPfiiiiiiiiiiiiiiii,"axG",@progbits,_ZL9mul_mat_fI7__half2Li64ELi14ELi6ELb1EEvPKT_PKfPKiPfiiiiiiiiiiiiiiii,comdat
.Lfunc_end115:
	.size	_ZL9mul_mat_fI7__half2Li64ELi14ELi6ELb1EEvPKT_PKfPKiPfiiiiiiiiiiiiiiii, .Lfunc_end115-_ZL9mul_mat_fI7__half2Li64ELi14ELi6ELb1EEvPKT_PKfPKiPfiiiiiiiiiiiiiiii
                                        ; -- End function
	.section	.AMDGPU.csdata,"",@progbits
; Kernel info:
; codeLenInByte = 8340
; NumSgprs: 106
; NumVgprs: 111
; NumAgprs: 0
; TotalNumVgprs: 111
; ScratchSize: 0
; MemoryBound: 0
; FloatMode: 240
; IeeeMode: 1
; LDSByteSize: 256 bytes/workgroup (compile time only)
; SGPRBlocks: 13
; VGPRBlocks: 13
; NumSGPRsForWavesPerEU: 106
; NumVGPRsForWavesPerEU: 111
; AccumOffset: 112
; Occupancy: 4
; WaveLimiterHint : 0
; COMPUTE_PGM_RSRC2:SCRATCH_EN: 0
; COMPUTE_PGM_RSRC2:USER_SGPR: 2
; COMPUTE_PGM_RSRC2:TRAP_HANDLER: 0
; COMPUTE_PGM_RSRC2:TGID_X_EN: 1
; COMPUTE_PGM_RSRC2:TGID_Y_EN: 1
; COMPUTE_PGM_RSRC2:TGID_Z_EN: 1
; COMPUTE_PGM_RSRC2:TIDIG_COMP_CNT: 2
; COMPUTE_PGM_RSRC3_GFX90A:ACCUM_OFFSET: 27
; COMPUTE_PGM_RSRC3_GFX90A:TG_SPLIT: 0
	.section	.text._ZL9mul_mat_fI7__half2Li64ELi14ELi6ELb0EEvPKT_PKfPKiPfiiiiiiiiiiiiiiii,"axG",@progbits,_ZL9mul_mat_fI7__half2Li64ELi14ELi6ELb0EEvPKT_PKfPKiPfiiiiiiiiiiiiiiii,comdat
	.globl	_ZL9mul_mat_fI7__half2Li64ELi14ELi6ELb0EEvPKT_PKfPKiPfiiiiiiiiiiiiiiii ; -- Begin function _ZL9mul_mat_fI7__half2Li64ELi14ELi6ELb0EEvPKT_PKfPKiPfiiiiiiiiiiiiiiii
	.p2align	8
	.type	_ZL9mul_mat_fI7__half2Li64ELi14ELi6ELb0EEvPKT_PKfPKiPfiiiiiiiiiiiiiiii,@function
_ZL9mul_mat_fI7__half2Li64ELi14ELi6ELb0EEvPKT_PKfPKiPfiiiiiiiiiiiiiiii: ; @_ZL9mul_mat_fI7__half2Li64ELi14ELi6ELb0EEvPKT_PKfPKiPfiiiiiiiiiiiiiiii
; %bb.0:
	s_load_dword s5, s[0:1], 0x20
	s_load_dwordx4 s[16:19], s[0:1], 0x2c
	v_bfe_u32 v38, v0, 10, 10
	v_lshlrev_b32_e32 v40, 6, v38
	v_and_b32_e32 v39, 0x3ff, v0
	v_add_u32_e32 v42, v40, v39
	s_mov_b32 s20, 0
	s_waitcnt lgkmcnt(0)
	s_ashr_i32 s19, s4, 31
	v_cmp_le_i32_e32 vcc, s5, v42
	v_and_b32_e32 v41, 15, v39
	s_and_saveexec_b64 s[6:7], vcc
	s_xor_b64 s[6:7], exec, s[6:7]
; %bb.1:
	v_and_b32_e32 v41, 15, v39
                                        ; implicit-def: $vgpr42
; %bb.2:
	s_or_saveexec_b64 s[24:25], s[6:7]
	s_load_dwordx8 s[8:15], s[0:1], 0x40
	s_load_dwordx2 s[6:7], s[0:1], 0x18
	s_lshl_b32 s2, s2, 6
	v_mov_b32_e32 v15, s20
	v_mov_b32_e32 v14, s20
	;; [unrolled: 1-line block ×16, first 2 shown]
	s_xor_b64 exec, exec, s[24:25]
	s_cbranch_execz .LBB116_6
; %bb.3:
	s_waitcnt lgkmcnt(0)
	s_abs_i32 s26, s8
	v_cvt_f32_u32_e32 v0, s26
	s_abs_i32 s27, s12
	v_cvt_f32_u32_e32 v1, s27
	s_sub_i32 s20, 0, s26
	v_rcp_iflag_f32_e32 v0, v0
	s_abs_i32 s28, s3
	v_rcp_iflag_f32_e32 v1, v1
	s_sub_i32 s21, 0, s27
	v_mul_f32_e32 v0, 0x4f7ffffe, v0
	v_cvt_u32_f32_e32 v0, v0
	v_mul_f32_e32 v1, 0x4f7ffffe, v1
	v_cvt_u32_f32_e32 v1, v1
	s_abs_i32 s29, s4
	v_mul_lo_u32 v2, s20, v0
	v_mul_hi_u32 v2, v0, v2
	v_add_u32_e32 v0, v0, v2
	v_mul_hi_u32 v0, s28, v0
	v_mul_lo_u32 v3, s21, v1
	v_mul_lo_u32 v2, v0, s26
	v_mul_hi_u32 v3, v1, v3
	v_sub_u32_e32 v2, s28, v2
	v_add_u32_e32 v1, v1, v3
	v_add_u32_e32 v3, 1, v0
	v_subrev_u32_e32 v4, s26, v2
	v_cmp_le_u32_e32 vcc, s26, v2
	s_load_dwordx4 s[20:23], s[0:1], 0x0
	s_ashr_i32 s0, s3, 31
	v_cndmask_b32_e32 v0, v0, v3, vcc
	v_cndmask_b32_e32 v2, v2, v4, vcc
	s_ashr_i32 s1, s8, 31
	v_add_u32_e32 v3, 1, v0
	v_cmp_le_u32_e32 vcc, s26, v2
	s_xor_b32 s0, s0, s1
	v_mul_hi_u32 v1, s29, v1
	v_cndmask_b32_e32 v0, v0, v3, vcc
	v_xor_b32_e32 v0, s0, v0
	v_subrev_u32_e32 v2, s0, v0
	v_mul_lo_u32 v0, v1, s27
	v_sub_u32_e32 v0, s29, v0
	v_add_u32_e32 v3, 1, v1
	v_subrev_u32_e32 v4, s27, v0
	v_cmp_le_u32_e32 vcc, s27, v0
	s_ashr_i32 s8, s12, 31
	s_xor_b32 s0, s19, s8
	v_cndmask_b32_e32 v1, v1, v3, vcc
	v_cndmask_b32_e32 v0, v0, v4, vcc
	v_add_u32_e32 v3, 1, v1
	v_cmp_le_u32_e32 vcc, s27, v0
	v_mul_lo_u32 v2, v2, s9
	s_mul_hi_i32 s9, s14, s4
	v_cndmask_b32_e32 v0, v1, v3, vcc
	v_xor_b32_e32 v0, s0, v0
	v_subrev_u32_e32 v0, s0, v0
	s_mul_i32 s0, s2, s16
	v_mul_hi_i32 v1, v0, s13
	v_mul_lo_u32 v0, v0, s13
	v_ashrrev_i32_e32 v3, 31, v2
	s_ashr_i32 s1, s0, 31
	v_lshlrev_b64 v[0:1], 2, v[0:1]
	s_mul_i32 s8, s14, s4
	s_mul_i32 s12, s3, s10
	s_lshl_b64 s[0:1], s[0:1], 2
	v_lshlrev_b64 v[2:3], 2, v[2:3]
	s_waitcnt lgkmcnt(0)
	v_lshl_add_u64 v[4:5], s[20:21], 0, v[0:1]
	v_lshl_add_u64 v[2:3], v[2:3], 0, s[0:1]
	s_ashr_i32 s13, s12, 31
	s_lshl_b64 s[26:27], s[8:9], 2
	s_movk_i32 s8, 0x1080
	v_lshrrev_b32_e32 v7, 1, v39
	v_lshl_add_u64 v[16:17], v[2:3], 0, v[4:5]
	s_lshl_b64 s[0:1], s[12:13], 2
	v_mad_u32_u24 v5, v38, s8, 0
	v_lshlrev_b32_e32 v4, 2, v39
	v_mul_u32_u24_e32 v6, 0x108, v41
	v_and_b32_e32 v7, 0x1f8, v7
	v_lshlrev_b32_e32 v18, 8, v38
	v_mov_b32_e32 v19, 0
	v_lshl_add_u64 v[0:1], v[2:3], 0, v[0:1]
	s_add_u32 s22, s22, s0
	v_add_u32_e32 v43, v5, v4
	v_add3_u32 v44, v5, v6, v7
	v_lshl_add_u64 v[0:1], v[0:1], 0, v[18:19]
	v_mov_b32_e32 v5, v19
	s_addc_u32 s23, s23, s1
	v_lshl_add_u64 v[0:1], v[0:1], 0, v[4:5]
	v_lshlrev_b32_e32 v18, 9, v38
	s_add_u32 s0, s22, s26
	v_lshl_add_u64 v[20:21], s[20:21], 0, v[0:1]
	v_lshl_add_u64 v[0:1], s[26:27], 0, v[18:19]
	v_lshlrev_b32_e32 v18, 3, v39
	s_addc_u32 s1, s23, s27
	s_ashr_i32 s9, s16, 31
	s_mov_b32 s8, s16
	s_ashr_i32 s13, s17, 31
	s_mov_b32 s12, s17
	v_lshl_add_u64 v[0:1], v[0:1], 0, v[18:19]
	s_lshl_b64 s[8:9], s[8:9], 2
	s_lshl_b64 s[12:13], s[12:13], 3
	v_lshl_add_u64 v[22:23], s[22:23], 0, v[0:1]
	s_mul_i32 s10, s16, 63
	s_lshl_b32 s14, s17, 1
	s_mul_i32 s19, s17, 3
	s_lshl_b32 s26, s17, 2
	s_mul_i32 s27, s17, 5
	s_mul_i32 s28, s17, 6
	;; [unrolled: 1-line block ×3, first 2 shown]
	s_lshl_b32 s30, s17, 3
	s_mul_i32 s31, s17, 9
	s_mul_i32 s33, s17, 10
	;; [unrolled: 1-line block ×5, first 2 shown]
	s_lshl_b32 s37, s16, 1
	s_mul_i32 s38, s16, 3
	s_lshl_b32 s39, s16, 2
	s_mul_i32 s40, s16, 5
	s_mul_i32 s41, s16, 6
	;; [unrolled: 1-line block ×3, first 2 shown]
	s_lshl_b32 s43, s16, 3
	s_mul_i32 s44, s16, 9
	s_mul_i32 s45, s16, 10
	;; [unrolled: 1-line block ×7, first 2 shown]
	s_lshl_b32 s51, s16, 4
	s_mul_i32 s52, s16, 17
	s_mul_i32 s53, s16, 18
	;; [unrolled: 1-line block ×15, first 2 shown]
	s_lshl_b32 s67, s16, 5
	s_mul_i32 s68, s16, 33
	s_mul_i32 s69, s16, 34
	;; [unrolled: 1-line block ×11, first 2 shown]
	v_mov_b32_e32 v4, 0
	v_mov_b32_e32 v6, v19
	;; [unrolled: 1-line block ×15, first 2 shown]
	s_mul_i32 s79, s16, 44
	s_mul_i32 s80, s16, 45
	;; [unrolled: 1-line block ×19, first 2 shown]
	s_mov_b64 s[16:17], 0
	s_mov_b64 s[20:21], 0x600
	;; [unrolled: 1-line block ×3, first 2 shown]
.LBB116_4:                              ; =>This Inner Loop Header: Depth=1
	v_add_u32_e32 v32, s37, v42
	v_add_u32_e32 v36, s38, v42
	;; [unrolled: 1-line block ×4, first 2 shown]
	v_lshl_add_u64 v[26:27], v[20:21], 0, s[8:9]
	v_add_u32_e32 v46, s39, v42
	v_add_u32_e32 v60, s42, v42
	v_ashrrev_i32_e32 v33, 31, v32
	v_ashrrev_i32_e32 v37, 31, v36
	;; [unrolled: 1-line block ×4, first 2 shown]
	v_add_u32_e32 v62, s43, v42
	global_load_dword v52, v[26:27], off
	v_lshl_add_u64 v[26:27], v[32:33], 2, v[16:17]
	v_lshl_add_u64 v[32:33], v[36:37], 2, v[16:17]
	v_ashrrev_i32_e32 v47, 31, v46
	v_ashrrev_i32_e32 v61, 31, v60
	v_lshl_add_u64 v[24:25], v[24:25], 2, v[16:17]
	v_lshl_add_u64 v[28:29], v[28:29], 2, v[16:17]
	v_add_u32_e32 v64, s44, v42
	global_load_dword v49, v[26:27], off
	global_load_dword v53, v[32:33], off
	v_ashrrev_i32_e32 v63, 31, v62
	global_load_dword v24, v[24:25], off
	v_add_u32_e32 v66, s45, v42
	global_load_dword v25, v[28:29], off
	v_lshl_add_u64 v[32:33], v[46:47], 2, v[16:17]
	v_lshl_add_u64 v[46:47], v[60:61], 2, v[16:17]
	global_load_dword v54, v[32:33], off
	global_load_dword v61, v[46:47], off
	v_lshl_add_u64 v[46:47], v[62:63], 2, v[16:17]
	v_ashrrev_i32_e32 v65, 31, v64
	v_add_u32_e32 v68, s46, v42
	global_load_dword v62, v[46:47], off
	v_lshl_add_u64 v[46:47], v[64:65], 2, v[16:17]
	v_ashrrev_i32_e32 v67, 31, v66
	v_add_u32_e32 v70, s47, v42
	;; [unrolled: 4-line block ×6, first 2 shown]
	global_load_dword v71, v[46:47], off
	v_lshl_add_u64 v[46:47], v[74:75], 2, v[16:17]
	v_ashrrev_i32_e32 v77, 31, v76
	global_load_dword v72, v[46:47], off
	v_lshl_add_u64 v[46:47], v[76:77], 2, v[16:17]
	v_ashrrev_i32_e32 v79, 31, v78
	v_add_u32_e32 v30, s55, v42
	v_add_u32_e32 v26, s59, v42
	;; [unrolled: 1-line block ×3, first 2 shown]
	global_load_dword v75, v[46:47], off
	v_lshl_add_u64 v[46:47], v[78:79], 2, v[16:17]
	v_add_u32_e32 v78, s66, v42
	v_add_u32_e32 v50, s40, v42
	v_ashrrev_i32_e32 v31, 31, v30
	v_ashrrev_i32_e32 v27, 31, v26
	;; [unrolled: 1-line block ×4, first 2 shown]
	v_add_u32_e32 v58, s41, v42
	v_add_u32_e32 v80, s52, v42
	v_ashrrev_i32_e32 v51, 31, v50
	v_lshl_add_u64 v[30:31], v[30:31], 2, v[16:17]
	v_lshl_add_u64 v[26:27], v[26:27], 2, v[16:17]
	;; [unrolled: 1-line block ×4, first 2 shown]
	v_ashrrev_i32_e32 v59, 31, v58
	v_ashrrev_i32_e32 v81, 31, v80
	global_load_dword v30, v[30:31], off
	v_add_u32_e32 v82, s53, v42
	global_load_dword v36, v[36:37], off
	v_add_u32_e32 v34, s56, v42
	;; [unrolled: 2-line block ×3, first 2 shown]
	global_load_dword v27, v[28:29], off
	v_lshl_add_u64 v[32:33], v[50:51], 2, v[16:17]
	global_load_dword v57, v[32:33], off
	global_load_dword v18, v[46:47], off
	v_lshl_add_u64 v[32:33], v[58:59], 2, v[16:17]
	v_lshl_add_u64 v[46:47], v[80:81], 2, v[16:17]
	global_load_dword v58, v[32:33], off
	global_load_dword v45, v[46:47], off
	v_add_u32_e32 v32, s61, v42
	v_add_u32_e32 v50, s62, v42
	;; [unrolled: 1-line block ×4, first 2 shown]
	v_ashrrev_i32_e32 v83, 31, v82
	v_ashrrev_i32_e32 v35, 31, v34
	;; [unrolled: 1-line block ×4, first 2 shown]
	v_add_u32_e32 v76, s65, v42
	v_lshl_add_u64 v[46:47], v[82:83], 2, v[16:17]
	v_ashrrev_i32_e32 v85, 31, v84
	v_lshl_add_u64 v[34:35], v[34:35], 2, v[16:17]
	v_lshl_add_u64 v[28:29], v[32:33], 2, v[16:17]
	;; [unrolled: 1-line block ×3, first 2 shown]
	v_ashrrev_i32_e32 v87, 31, v86
	v_ashrrev_i32_e32 v89, 31, v88
	global_load_dword v46, v[46:47], off
	v_lshl_add_u64 v[80:81], v[84:85], 2, v[16:17]
	global_load_dword v31, v[34:35], off
	v_ashrrev_i32_e32 v77, 31, v76
	global_load_dword v28, v[28:29], off
	v_lshl_add_u64 v[34:35], v[88:89], 2, v[16:17]
	global_load_dword v29, v[32:33], off
	v_lshl_add_u64 v[32:33], v[86:87], 2, v[16:17]
	global_load_dword v47, v[80:81], off
	v_add_u32_e32 v82, s67, v42
	global_load_dword v32, v[32:33], off
	v_add_u32_e32 v78, s74, v42
	global_load_dword v33, v[34:35], off
	v_lshl_add_u64 v[34:35], v[76:77], 2, v[16:17]
	v_add_u32_e32 v76, s73, v42
	v_ashrrev_i32_e32 v77, 31, v76
	v_add_u32_e32 v80, s68, v42
	v_ashrrev_i32_e32 v83, 31, v82
	v_lshl_add_u64 v[76:77], v[76:77], 2, v[16:17]
	v_ashrrev_i32_e32 v79, 31, v78
	global_load_dword v34, v[34:35], off
	v_lshl_add_u64 v[50:51], v[82:83], 2, v[16:17]
	global_load_dword v56, v[76:77], off
	v_ashrrev_i32_e32 v81, 31, v80
	v_lshl_add_u64 v[76:77], v[78:79], 2, v[16:17]
	global_load_dword v35, v[50:51], off
	global_load_dword v59, v[76:77], off
	v_lshl_add_u64 v[50:51], v[80:81], 2, v[16:17]
	v_add_u32_e32 v80, s75, v42
	v_add_u32_e32 v84, s69, v42
	v_ashrrev_i32_e32 v81, 31, v80
	v_ashrrev_i32_e32 v85, 31, v84
	v_lshl_add_u64 v[76:77], v[80:81], 2, v[16:17]
	global_load_dword v37, v[50:51], off
	global_load_dword v60, v[76:77], off
	v_lshl_add_u64 v[50:51], v[84:85], 2, v[16:17]
	v_add_u32_e32 v84, s76, v42
	v_add_u32_e32 v90, s70, v42
	;; [unrolled: 1-line block ×3, first 2 shown]
	v_ashrrev_i32_e32 v85, 31, v84
	v_add_u32_e32 v92, s71, v42
	v_ashrrev_i32_e32 v91, 31, v90
	v_lshl_add_u64 v[76:77], v[84:85], 2, v[16:17]
	v_add_u32_e32 v80, s78, v42
	v_ashrrev_i32_e32 v79, 31, v78
	v_add_u32_e32 v86, s72, v42
	global_load_dword v48, v[50:51], off
	global_load_dword v64, v[76:77], off
	v_lshl_add_u64 v[50:51], v[90:91], 2, v[16:17]
	v_ashrrev_i32_e32 v93, 31, v92
	v_lshl_add_u64 v[76:77], v[78:79], 2, v[16:17]
	v_ashrrev_i32_e32 v81, 31, v80
	v_add_u32_e32 v78, s79, v42
	global_load_dword v50, v[50:51], off
	v_lshl_add_u64 v[82:83], v[92:93], 2, v[16:17]
	global_load_dword v66, v[76:77], off
	v_ashrrev_i32_e32 v87, 31, v86
	v_lshl_add_u64 v[76:77], v[80:81], 2, v[16:17]
	v_ashrrev_i32_e32 v79, 31, v78
	global_load_dword v51, v[82:83], off
	global_load_dword v69, v[76:77], off
	v_lshl_add_u64 v[82:83], v[86:87], 2, v[16:17]
	v_lshl_add_u64 v[76:77], v[78:79], 2, v[16:17]
	global_load_dword v55, v[82:83], off
	global_load_dword v70, v[76:77], off
	v_add_u32_e32 v76, s80, v42
	v_ashrrev_i32_e32 v77, 31, v76
	v_lshl_add_u64 v[76:77], v[76:77], 2, v[16:17]
	global_load_dword v73, v[76:77], off
	v_add_u32_e32 v76, s81, v42
	v_ashrrev_i32_e32 v77, 31, v76
	v_lshl_add_u64 v[76:77], v[76:77], 2, v[16:17]
	global_load_dword v74, v[76:77], off
	v_add_u32_e32 v76, s82, v42
	v_add_u32_e32 v78, s83, v42
	v_ashrrev_i32_e32 v77, 31, v76
	v_ashrrev_i32_e32 v79, 31, v78
	v_lshl_add_u64 v[76:77], v[76:77], 2, v[16:17]
	v_lshl_add_u64 v[78:79], v[78:79], 2, v[16:17]
	global_load_dword v76, v[76:77], off
	v_add_u32_e32 v80, s85, v42
	global_load_dword v77, v[78:79], off
	v_add_u32_e32 v78, s84, v42
	v_ashrrev_i32_e32 v79, 31, v78
	v_ashrrev_i32_e32 v81, 31, v80
	v_lshl_add_u64 v[78:79], v[78:79], 2, v[16:17]
	v_lshl_add_u64 v[80:81], v[80:81], 2, v[16:17]
	global_load_dword v78, v[78:79], off
	v_add_u32_e32 v82, s87, v42
	global_load_dword v79, v[80:81], off
	;; [unrolled: 8-line block ×8, first 2 shown]
	v_add_u32_e32 v92, s10, v42
	v_ashrrev_i32_e32 v93, 31, v92
	v_lshl_add_u64 v[92:93], v[92:93], 2, v[16:17]
	global_load_dword v92, v[92:93], off
	s_nop 0
	global_load_dword v93, v[20:21], off
	global_load_dwordx2 v[94:95], v[22:23], off
	s_waitcnt vmcnt(62)
	ds_write_b32 v43, v52 offset:264
	v_add_u32_e32 v52, s14, v42
	v_ashrrev_i32_e32 v97, 31, v96
	v_lshl_add_u64 v[96:97], v[96:97], 3, s[0:1]
	v_lshl_add_u64 v[20:21], v[20:21], 0, s[20:21]
	s_waitcnt vmcnt(1)
	ds_write_b32 v43, v93
	s_waitcnt vmcnt(0)
	v_cvt_f16_f32_e32 v93, v94
	v_cvt_f16_f32_e32 v106, v95
	v_lshl_add_u64 v[94:95], v[22:23], 0, s[12:13]
	global_load_dwordx2 v[94:95], v[94:95], off
	ds_write_b32 v43, v49 offset:528
	ds_write_b32 v43, v53 offset:792
	;; [unrolled: 1-line block ×14, first 2 shown]
	v_add_u32_e32 v62, s19, v42
	v_ashrrev_i32_e32 v53, 31, v52
	v_ashrrev_i32_e32 v63, 31, v62
	v_lshl_add_u64 v[52:53], v[52:53], 3, s[0:1]
	v_lshl_add_u64 v[62:63], v[62:63], 3, s[0:1]
	;; [unrolled: 1-line block ×3, first 2 shown]
	s_waitcnt vmcnt(0)
	v_cvt_f16_f32_e32 v110, v94
	v_add_u32_e32 v94, s26, v42
	v_cvt_f16_f32_e32 v111, v95
	v_ashrrev_i32_e32 v95, 31, v94
	v_lshl_add_u64 v[94:95], v[94:95], 3, s[0:1]
	global_load_dwordx2 v[52:53], v[52:53], off
	s_nop 0
	global_load_dwordx2 v[62:63], v[62:63], off
	s_nop 0
	;; [unrolled: 2-line block ×3, first 2 shown]
	global_load_dwordx2 v[96:97], v[96:97], off
	s_waitcnt vmcnt(3)
	v_cvt_f16_f32_e32 v112, v52
	s_waitcnt vmcnt(2)
	v_cvt_f16_f32_e32 v114, v62
	;; [unrolled: 2-line block ×4, first 2 shown]
	v_add_u32_e32 v52, s28, v42
	v_add_u32_e32 v62, s29, v42
	;; [unrolled: 1-line block ×4, first 2 shown]
	v_cvt_f16_f32_e32 v113, v53
	v_cvt_f16_f32_e32 v115, v63
	;; [unrolled: 1-line block ×4, first 2 shown]
	v_ashrrev_i32_e32 v53, 31, v52
	v_ashrrev_i32_e32 v63, 31, v62
	;; [unrolled: 1-line block ×4, first 2 shown]
	v_lshl_add_u64 v[52:53], v[52:53], 3, s[0:1]
	v_lshl_add_u64 v[62:63], v[62:63], 3, s[0:1]
	;; [unrolled: 1-line block ×4, first 2 shown]
	global_load_dwordx2 v[52:53], v[52:53], off
	s_nop 0
	global_load_dwordx2 v[62:63], v[62:63], off
	s_nop 0
	;; [unrolled: 2-line block ×3, first 2 shown]
	global_load_dwordx2 v[96:97], v[96:97], off
	s_waitcnt vmcnt(3)
	v_cvt_f16_f32_e32 v120, v52
	s_waitcnt vmcnt(2)
	v_cvt_f16_f32_e32 v122, v62
	s_waitcnt vmcnt(1)
	v_cvt_f16_f32_e32 v124, v94
	s_waitcnt vmcnt(0)
	v_cvt_f16_f32_e32 v126, v96
	v_add_u32_e32 v52, s33, v42
	v_add_u32_e32 v62, s34, v42
	;; [unrolled: 1-line block ×4, first 2 shown]
	v_cvt_f16_f32_e32 v121, v53
	v_cvt_f16_f32_e32 v123, v63
	;; [unrolled: 1-line block ×4, first 2 shown]
	v_ashrrev_i32_e32 v53, 31, v52
	v_ashrrev_i32_e32 v63, 31, v62
	;; [unrolled: 1-line block ×4, first 2 shown]
	v_lshl_add_u64 v[52:53], v[52:53], 3, s[0:1]
	v_lshl_add_u64 v[62:63], v[62:63], 3, s[0:1]
	;; [unrolled: 1-line block ×4, first 2 shown]
	global_load_dwordx2 v[52:53], v[52:53], off
	s_nop 0
	global_load_dwordx2 v[62:63], v[62:63], off
	s_nop 0
	;; [unrolled: 2-line block ×3, first 2 shown]
	global_load_dwordx2 v[96:97], v[96:97], off
	v_add_u32_e32 v42, 0x180, v42
	v_cmp_le_i32_e32 vcc, s5, v42
	s_or_b64 s[16:17], vcc, s[16:17]
	s_waitcnt vmcnt(3)
	v_cvt_f16_f32_e32 v128, v52
	v_cvt_f16_f32_e32 v129, v53
	s_waitcnt vmcnt(2)
	v_cvt_f16_f32_e32 v130, v62
	v_cvt_f16_f32_e32 v131, v63
	;; [unrolled: 3-line block ×4, first 2 shown]
	ds_read_b64 v[52:53], v44
	ds_read_b64 v[62:63], v44 offset:32
	ds_read_b64 v[94:95], v44 offset:64
	;; [unrolled: 1-line block ×7, first 2 shown]
	ds_write_b32 v43, v18
	ds_write_b32 v43, v45 offset:264
	ds_write_b32 v43, v46 offset:528
	;; [unrolled: 1-line block ×15, first 2 shown]
	v_pack_b32_f16 v18, v93, v106
	ds_read_b64 v[24:25], v44
	ds_read_b64 v[26:27], v44 offset:32
	ds_read_b64 v[28:29], v44 offset:64
	;; [unrolled: 1-line block ×7, first 2 shown]
	ds_write_b32 v43, v35
	ds_write_b32 v43, v37 offset:264
	ds_write_b32 v43, v48 offset:528
	;; [unrolled: 1-line block ×15, first 2 shown]
	ds_read_b64 v[34:35], v44
	ds_read_b64 v[36:37], v44 offset:32
	ds_read_b64 v[48:49], v44 offset:64
	ds_read_b64 v[50:51], v44 offset:96
	ds_read_b64 v[54:55], v44 offset:128
	ds_read_b64 v[56:57], v44 offset:160
	ds_read_b64 v[58:59], v44 offset:192
	ds_read_b64 v[60:61], v44 offset:224
	ds_write_b32 v43, v77
	ds_write_b32 v43, v78 offset:264
	ds_write_b32 v43, v79 offset:528
	;; [unrolled: 1-line block ×15, first 2 shown]
	v_pack_b32_f16 v45, v110, v111
	ds_read_b64 v[64:65], v44
	ds_read_b64 v[66:67], v44 offset:32
	ds_read_b64 v[68:69], v44 offset:64
	;; [unrolled: 1-line block ×7, first 2 shown]
	ds_write_b32 v43, v18
	ds_write_b32 v43, v45 offset:264
	v_pack_b32_f16 v18, v112, v113
	v_pack_b32_f16 v45, v114, v115
	;; [unrolled: 1-line block ×12, first 2 shown]
	ds_write_b32 v43, v18 offset:528
	ds_write_b32 v43, v45 offset:792
	;; [unrolled: 1-line block ×14, first 2 shown]
	ds_read_b64 v[80:81], v44
	ds_read_b64 v[82:83], v44 offset:32
	ds_read_b64 v[84:85], v44 offset:64
	;; [unrolled: 1-line block ×3, first 2 shown]
	s_waitcnt lgkmcnt(3)
	v_mfma_f32_16x16x16_f16 v[12:15], v[52:53], v[80:81], v[12:15]
	v_mfma_f32_16x16x16_f16 v[8:11], v[24:25], v[80:81], v[8:11]
	ds_read_b64 v[24:25], v44 offset:128
	v_mfma_f32_16x16x16_f16 v[0:3], v[34:35], v[80:81], v[0:3]
	v_mfma_f32_16x16x16_f16 v[4:7], v[64:65], v[80:81], v[4:7]
	s_waitcnt lgkmcnt(3)
	v_mfma_f32_16x16x16_f16 v[12:15], v[62:63], v[82:83], v[12:15]
	v_mfma_f32_16x16x16_f16 v[8:11], v[26:27], v[82:83], v[8:11]
	v_mfma_f32_16x16x16_f16 v[0:3], v[36:37], v[82:83], v[0:3]
	v_mfma_f32_16x16x16_f16 v[4:7], v[66:67], v[82:83], v[4:7]
	s_waitcnt lgkmcnt(2)
	v_mfma_f32_16x16x16_f16 v[12:15], v[94:95], v[84:85], v[12:15]
	v_mfma_f32_16x16x16_f16 v[8:11], v[28:29], v[84:85], v[8:11]
	v_mfma_f32_16x16x16_f16 v[0:3], v[48:49], v[84:85], v[0:3]
	v_mfma_f32_16x16x16_f16 v[4:7], v[68:69], v[84:85], v[4:7]
	s_waitcnt lgkmcnt(1)
	v_mfma_f32_16x16x16_f16 v[12:15], v[96:97], v[86:87], v[12:15]
	v_mfma_f32_16x16x16_f16 v[8:11], v[30:31], v[86:87], v[8:11]
	ds_read_b64 v[26:27], v44 offset:160
	ds_read_b64 v[28:29], v44 offset:192
	;; [unrolled: 1-line block ×3, first 2 shown]
	v_mfma_f32_16x16x16_f16 v[0:3], v[50:51], v[86:87], v[0:3]
	v_mfma_f32_16x16x16_f16 v[4:7], v[70:71], v[86:87], v[4:7]
	s_waitcnt lgkmcnt(3)
	v_mfma_f32_16x16x16_f16 v[12:15], v[98:99], v[24:25], v[12:15]
	v_mfma_f32_16x16x16_f16 v[8:11], v[32:33], v[24:25], v[8:11]
	v_mfma_f32_16x16x16_f16 v[0:3], v[54:55], v[24:25], v[0:3]
	v_mfma_f32_16x16x16_f16 v[4:7], v[72:73], v[24:25], v[4:7]
	s_waitcnt lgkmcnt(2)
	v_mfma_f32_16x16x16_f16 v[12:15], v[100:101], v[26:27], v[12:15]
	v_mfma_f32_16x16x16_f16 v[8:11], v[46:47], v[26:27], v[8:11]
	;; [unrolled: 5-line block ×4, first 2 shown]
	v_mfma_f32_16x16x16_f16 v[0:3], v[60:61], v[30:31], v[0:3]
	v_mfma_f32_16x16x16_f16 v[4:7], v[78:79], v[30:31], v[4:7]
	s_andn2_b64 exec, exec, s[16:17]
	s_cbranch_execnz .LBB116_4
; %bb.5:
	s_or_b64 exec, exec, s[16:17]
.LBB116_6:
	s_or_b64 exec, exec, s[24:25]
	v_mul_u32_u24_e32 v16, 0x608, v41
	v_lshlrev_b32_e32 v17, 2, v40
	s_waitcnt lgkmcnt(0)
	s_mul_hi_i32 s1, s15, s4
	s_mul_i32 s0, s15, s4
	v_add3_u32 v16, 0, v16, v17
	v_and_b32_e32 v17, 0x3f0, v39
	s_lshl_b64 s[0:1], s[0:1], 2
	v_add_u32_e32 v17, v16, v17
	s_mul_i32 s4, s3, s11
	s_add_u32 s3, s6, s0
	s_barrier
	ds_write2_b32 v17, v12, v13 offset1:1
	ds_write_b32 v17, v14 offset:8
	v_or_b32_e32 v12, 12, v39
	s_addc_u32 s6, s7, s1
	s_ashr_i32 s5, s4, 31
	v_and_b32_e32 v12, 0x3fc, v12
	s_lshl_b64 s[0:1], s[4:5], 2
	v_add_u32_e32 v12, v16, v12
	s_add_u32 s0, s3, s0
	s_movk_i32 s3, 0x608
	ds_write_b32 v12, v15
	ds_write2_b32 v17, v8, v9 offset0:16 offset1:17
	ds_write_b32 v17, v10 offset:72
	ds_write_b32 v12, v11 offset:64
	ds_write2_b32 v17, v0, v1 offset0:32 offset1:33
	ds_write_b32 v17, v2 offset:136
	ds_write_b32 v12, v3 offset:128
	;; [unrolled: 3-line block ×3, first 2 shown]
	v_lshl_add_u32 v1, v39, 2, 0
	v_mad_u32_u24 v8, v38, s3, v1
	s_waitcnt lgkmcnt(0)
	s_barrier
	ds_read2st64_b32 v[2:3], v8 offset1:1
	ds_read2st64_b32 v[4:5], v8 offset0:2 offset1:3
	ds_read2st64_b32 v[6:7], v8 offset0:4 offset1:5
	v_add_u32_e32 v11, 48, v8
	v_add_u32_e32 v0, s2, v39
	s_waitcnt lgkmcnt(2)
	v_add_f32_e32 v2, 0, v2
	v_add_f32_e32 v2, v2, v3
	s_waitcnt lgkmcnt(1)
	v_add_f32_e32 v2, v2, v4
	v_add_f32_e32 v2, v2, v5
	s_waitcnt lgkmcnt(0)
	v_add_f32_e32 v2, v2, v6
	ds_read2st64_b32 v[4:5], v11 offset0:36 offset1:37
	ds_read2st64_b32 v[8:9], v11 offset0:38 offset1:39
	v_add_f32_e32 v10, v2, v7
	v_mad_u64_u32 v[2:3], s[4:5], v38, s18, v[0:1]
	s_addc_u32 s1, s6, s1
	v_mov_b32_e32 v3, 0
	v_lshl_add_u64 v[6:7], v[2:3], 2, s[0:1]
	global_store_dword v[6:7], v10, off
	ds_read2st64_b32 v[6:7], v11 offset0:40 offset1:41
	s_waitcnt lgkmcnt(2)
	v_add_f32_e32 v4, 0, v4
	v_add_f32_e32 v4, v4, v5
	s_waitcnt lgkmcnt(1)
	v_add_f32_e32 v4, v4, v8
	v_add_f32_e32 v4, v4, v9
	;; [unrolled: 3-line block ×3, first 2 shown]
	v_mad_u64_u32 v[4:5], s[4:5], s18, 6, v[2:3]
	v_mov_b32_e32 v5, v3
	v_lshl_add_u64 v[4:5], v[4:5], 2, s[0:1]
	v_cmp_gt_u32_e32 vcc, 2, v38
	global_store_dword v[4:5], v6, off
	s_and_saveexec_b64 s[4:5], vcc
	s_cbranch_execz .LBB116_8
; %bb.7:
	v_or_b32_e32 v2, 12, v38
	v_mad_u32_u24 v8, v2, s3, v1
	ds_read2st64_b32 v[4:5], v8 offset1:1
	ds_read2st64_b32 v[6:7], v8 offset0:2 offset1:3
	v_mad_u64_u32 v[0:1], s[2:3], v2, s18, v[0:1]
	ds_read2st64_b32 v[8:9], v8 offset0:4 offset1:5
	s_waitcnt lgkmcnt(2)
	v_add_f32_e32 v1, 0, v4
	v_add_f32_e32 v1, v1, v5
	s_waitcnt lgkmcnt(1)
	v_add_f32_e32 v1, v1, v6
	v_add_f32_e32 v1, v1, v7
	s_waitcnt lgkmcnt(0)
	v_add_f32_e32 v1, v1, v8
	v_add_f32_e32 v2, v1, v9
	v_mov_b32_e32 v1, v3
	v_lshl_add_u64 v[0:1], v[0:1], 2, s[0:1]
	global_store_dword v[0:1], v2, off
.LBB116_8:
	s_endpgm
	.section	.rodata,"a",@progbits
	.p2align	6, 0x0
	.amdhsa_kernel _ZL9mul_mat_fI7__half2Li64ELi14ELi6ELb0EEvPKT_PKfPKiPfiiiiiiiiiiiiiiii
		.amdhsa_group_segment_fixed_size 0
		.amdhsa_private_segment_fixed_size 0
		.amdhsa_kernarg_size 96
		.amdhsa_user_sgpr_count 2
		.amdhsa_user_sgpr_dispatch_ptr 0
		.amdhsa_user_sgpr_queue_ptr 0
		.amdhsa_user_sgpr_kernarg_segment_ptr 1
		.amdhsa_user_sgpr_dispatch_id 0
		.amdhsa_user_sgpr_kernarg_preload_length 0
		.amdhsa_user_sgpr_kernarg_preload_offset 0
		.amdhsa_user_sgpr_private_segment_size 0
		.amdhsa_uses_dynamic_stack 0
		.amdhsa_enable_private_segment 0
		.amdhsa_system_sgpr_workgroup_id_x 1
		.amdhsa_system_sgpr_workgroup_id_y 1
		.amdhsa_system_sgpr_workgroup_id_z 1
		.amdhsa_system_sgpr_workgroup_info 0
		.amdhsa_system_vgpr_workitem_id 1
		.amdhsa_next_free_vgpr 136
		.amdhsa_next_free_sgpr 98
		.amdhsa_accum_offset 136
		.amdhsa_reserve_vcc 1
		.amdhsa_float_round_mode_32 0
		.amdhsa_float_round_mode_16_64 0
		.amdhsa_float_denorm_mode_32 3
		.amdhsa_float_denorm_mode_16_64 3
		.amdhsa_dx10_clamp 1
		.amdhsa_ieee_mode 1
		.amdhsa_fp16_overflow 0
		.amdhsa_tg_split 0
		.amdhsa_exception_fp_ieee_invalid_op 0
		.amdhsa_exception_fp_denorm_src 0
		.amdhsa_exception_fp_ieee_div_zero 0
		.amdhsa_exception_fp_ieee_overflow 0
		.amdhsa_exception_fp_ieee_underflow 0
		.amdhsa_exception_fp_ieee_inexact 0
		.amdhsa_exception_int_div_zero 0
	.end_amdhsa_kernel
	.section	.text._ZL9mul_mat_fI7__half2Li64ELi14ELi6ELb0EEvPKT_PKfPKiPfiiiiiiiiiiiiiiii,"axG",@progbits,_ZL9mul_mat_fI7__half2Li64ELi14ELi6ELb0EEvPKT_PKfPKiPfiiiiiiiiiiiiiiii,comdat
.Lfunc_end116:
	.size	_ZL9mul_mat_fI7__half2Li64ELi14ELi6ELb0EEvPKT_PKfPKiPfiiiiiiiiiiiiiiii, .Lfunc_end116-_ZL9mul_mat_fI7__half2Li64ELi14ELi6ELb0EEvPKT_PKfPKiPfiiiiiiiiiiiiiiii
                                        ; -- End function
	.section	.AMDGPU.csdata,"",@progbits
; Kernel info:
; codeLenInByte = 5040
; NumSgprs: 104
; NumVgprs: 136
; NumAgprs: 0
; TotalNumVgprs: 136
; ScratchSize: 0
; MemoryBound: 0
; FloatMode: 240
; IeeeMode: 1
; LDSByteSize: 0 bytes/workgroup (compile time only)
; SGPRBlocks: 12
; VGPRBlocks: 16
; NumSGPRsForWavesPerEU: 104
; NumVGPRsForWavesPerEU: 136
; AccumOffset: 136
; Occupancy: 3
; WaveLimiterHint : 0
; COMPUTE_PGM_RSRC2:SCRATCH_EN: 0
; COMPUTE_PGM_RSRC2:USER_SGPR: 2
; COMPUTE_PGM_RSRC2:TRAP_HANDLER: 0
; COMPUTE_PGM_RSRC2:TGID_X_EN: 1
; COMPUTE_PGM_RSRC2:TGID_Y_EN: 1
; COMPUTE_PGM_RSRC2:TGID_Z_EN: 1
; COMPUTE_PGM_RSRC2:TIDIG_COMP_CNT: 1
; COMPUTE_PGM_RSRC3_GFX90A:ACCUM_OFFSET: 33
; COMPUTE_PGM_RSRC3_GFX90A:TG_SPLIT: 0
	.section	.text._ZL13mul_mat_f_idsI7__half2Li64ELi14ELi7EEvPKT_PKfPKiS7_S7_Pfiiiiiiiiiiiiii15HIP_vector_typeIjLj3EESA_,"axG",@progbits,_ZL13mul_mat_f_idsI7__half2Li64ELi14ELi7EEvPKT_PKfPKiS7_S7_Pfiiiiiiiiiiiiii15HIP_vector_typeIjLj3EESA_,comdat
	.globl	_ZL13mul_mat_f_idsI7__half2Li64ELi14ELi7EEvPKT_PKfPKiS7_S7_Pfiiiiiiiiiiiiii15HIP_vector_typeIjLj3EESA_ ; -- Begin function _ZL13mul_mat_f_idsI7__half2Li64ELi14ELi7EEvPKT_PKfPKiS7_S7_Pfiiiiiiiiiiiiii15HIP_vector_typeIjLj3EESA_
	.p2align	8
	.type	_ZL13mul_mat_f_idsI7__half2Li64ELi14ELi7EEvPKT_PKfPKiS7_S7_Pfiiiiiiiiiiiiii15HIP_vector_typeIjLj3EESA_,@function
_ZL13mul_mat_f_idsI7__half2Li64ELi14ELi7EEvPKT_PKfPKiS7_S7_Pfiiiiiiiiiiiiii15HIP_vector_typeIjLj3EESA_: ; @_ZL13mul_mat_f_idsI7__half2Li64ELi14ELi7EEvPKT_PKfPKiS7_S7_Pfiiiiiiiiiiiiii15HIP_vector_typeIjLj3EESA_
; %bb.0:
	s_load_dwordx2 s[6:7], s[0:1], 0x20
	s_mov_b32 s34, s3
	s_ashr_i32 s35, s3, 31
	s_lshl_b64 s[8:9], s[34:35], 2
	s_waitcnt lgkmcnt(0)
	s_add_u32 s6, s6, s8
	s_addc_u32 s7, s7, s9
	s_load_dwordx2 s[26:27], s[6:7], 0x0
	s_waitcnt lgkmcnt(0)
	s_sub_i32 s33, s27, s26
	s_add_i32 s3, s33, 13
	s_mul_hi_i32 s5, s3, 0x92492493
	s_add_i32 s5, s5, s3
	s_lshr_b32 s3, s5, 31
	s_ashr_i32 s5, s5, 3
	s_add_i32 s5, s5, s3
	s_cmp_ge_i32 s4, s5
	s_cbranch_scc1 .LBB117_55
; %bb.1:
	v_bfe_u32 v16, v0, 10, 10
	v_lshlrev_b32_e32 v114, 6, v16
	v_and_b32_e32 v17, 0x3ff, v0
	s_load_dwordx4 s[12:15], s[0:1], 0x30
	s_load_dwordx2 s[20:21], s[0:1], 0x40
	s_load_dwordx4 s[8:11], s[0:1], 0x4c
	s_load_dwordx4 s[16:19], s[0:1], 0x68
	s_load_dwordx2 s[24:25], s[0:1], 0x78
	v_add_u32_e32 v116, v114, v17
	s_ashr_i32 s27, s26, 31
	s_waitcnt lgkmcnt(0)
	v_cmp_le_i32_e32 vcc, s12, v116
	v_and_b32_e32 v115, 15, v17
                                        ; implicit-def: $sgpr3
	s_and_saveexec_b64 s[6:7], vcc
	s_xor_b64 s[6:7], exec, s[6:7]
; %bb.2:
	v_and_b32_e32 v115, 15, v17
	s_mov_b32 s3, 0
                                        ; implicit-def: $vgpr116
; %bb.3:
	s_or_saveexec_b64 s[28:29], s[6:7]
	s_load_dwordx2 s[22:23], s[0:1], 0x18
	s_load_dwordx2 s[6:7], s[0:1], 0x28
                                        ; implicit-def: $vgpr119 : SGPR spill to VGPR lane
	s_lshl_b32 s11, s2, 6
	s_mul_i32 s2, s4, 14
	v_mov_b32_e32 v15, s3
	v_mov_b32_e32 v14, s3
	s_waitcnt lgkmcnt(0)
	v_writelane_b32 v119, s6, 0
	v_mov_b32_e32 v13, s3
	v_mov_b32_e32 v12, s3
	;; [unrolled: 1-line block ×14, first 2 shown]
	v_writelane_b32 v119, s7, 1
	s_xor_b64 exec, exec, s[28:29]
	s_cbranch_execz .LBB117_49
; %bb.4:
	v_writelane_b32 v119, s28, 2
	s_movk_i32 s3, 0x1080
	v_mad_u32_u24 v1, v16, s3, 0
	v_writelane_b32 v119, s29, 3
	v_writelane_b32 v119, s22, 4
	v_lshrrev_b32_e32 v3, 1, v17
	v_mov_b32_e32 v19, 0
	v_writelane_b32 v119, s23, 5
	v_writelane_b32 v119, s24, 6
	s_load_dwordx4 s[4:7], s[0:1], 0x0
	s_load_dwordx2 s[22:23], s[0:1], 0x10
	v_writelane_b32 v119, s25, 7
	s_mul_i32 s0, s34, s8
	s_mul_i32 s24, s11, s15
	s_ashr_i32 s1, s0, 31
	s_ashr_i32 s25, s24, 31
	s_lshl_b64 s[24:25], s[24:25], 2
	s_lshl_b64 s[0:1], s[0:1], 2
	s_add_u32 s24, s0, s24
	v_writelane_b32 v119, s11, 8
	s_addc_u32 s25, s1, s25
	s_waitcnt lgkmcnt(0)
	s_add_u32 s0, s24, s4
	v_writelane_b32 v119, s26, 9
	s_addc_u32 s1, s25, s5
	v_lshlrev_b32_e32 v0, 2, v17
	v_writelane_b32 v119, s27, 10
	s_lshl_b64 s[26:27], s[26:27], 2
	s_add_u32 s8, s22, s26
	s_addc_u32 s11, s23, s27
	s_cmp_lt_i32 s2, s33
	s_cselect_b64 s[34:35], -1, 0
	s_ashr_i32 s3, s2, 31
	s_lshl_b64 s[22:23], s[2:3], 2
	s_add_u32 s36, s8, s22
	s_addc_u32 s37, s11, s23
	s_or_b32 s3, s2, 1
	s_cmp_lt_i32 s3, s33
	s_cselect_b64 s[38:39], -1, 0
	s_add_i32 s3, s2, 2
	s_cmp_lt_i32 s3, s33
	s_cselect_b64 s[40:41], -1, 0
	s_add_i32 s3, s2, 3
	;; [unrolled: 3-line block ×3, first 2 shown]
	v_mul_u32_u24_e32 v2, 0x108, v115
	v_and_b32_e32 v3, 0x1f8, v3
	s_cmp_lt_i32 s3, s33
	v_lshlrev_b32_e32 v18, 8, v16
	v_add_u32_e32 v117, v1, v0
	v_add3_u32 v118, v1, v2, v3
	s_cselect_b64 s[44:45], -1, 0
	s_add_i32 s3, s2, 5
	v_lshl_add_u64 v[2:3], s[24:25], 0, v[18:19]
	v_mov_b32_e32 v1, v19
	s_cmp_lt_i32 s3, s33
	v_lshl_add_u64 v[0:1], v[2:3], 0, v[0:1]
	s_cselect_b64 s[46:47], -1, 0
	s_add_i32 s3, s2, 6
	v_lshl_add_u64 v[20:21], s[4:5], 0, v[0:1]
	s_mul_i32 s4, s15, 3
	s_cmp_lt_i32 s3, s33
	v_writelane_b32 v119, s4, 11
	s_mul_i32 s4, s15, 5
	s_cselect_b64 s[48:49], -1, 0
	s_add_i32 s3, s2, 7
	v_writelane_b32 v119, s4, 12
	s_mul_i32 s4, s15, 6
	s_cmp_lt_i32 s3, s33
	v_writelane_b32 v119, s4, 13
	s_mul_i32 s4, s15, 7
	s_cselect_b64 s[50:51], -1, 0
	s_add_i32 s3, s2, 8
	v_writelane_b32 v119, s4, 14
	;; [unrolled: 7-line block ×7, first 2 shown]
	s_mul_i32 s4, s15, 20
	s_cmp_lt_i32 s3, s33
	v_writelane_b32 v119, s4, 25
	s_mul_i32 s4, s15, 21
	s_cselect_b64 s[62:63], -1, 0
	s_ashr_i32 s23, s15, 31
	s_mov_b32 s22, s15
	v_writelane_b32 v119, s4, 26
	s_mul_i32 s4, s15, 22
	s_lshl_b64 s[64:65], s[22:23], 2
	s_lshl_b32 s3, s15, 1
	s_lshl_b32 s68, s15, 2
	;; [unrolled: 1-line block ×4, first 2 shown]
	v_writelane_b32 v119, s4, 27
	s_mul_i32 s87, s15, 23
	s_mul_i32 s88, s15, 24
	;; [unrolled: 1-line block ×9, first 2 shown]
	s_lshl_b32 s96, s15, 5
	s_mul_i32 s97, s15, 33
	s_mul_i32 s98, s15, 34
	;; [unrolled: 1-line block ×7, first 2 shown]
	v_mov_b32_e32 v8, 0
	v_mov_b32_e32 v9, v19
	;; [unrolled: 1-line block ×16, first 2 shown]
	s_mul_i32 s28, s15, 40
	s_mul_i32 s29, s15, 41
	;; [unrolled: 1-line block ×24, first 2 shown]
	s_mov_b64 s[4:5], 0
	s_mov_b64 s[66:67], 0x700
	s_branch .LBB117_6
.LBB117_5:                              ;   in Loop: Header=BB117_6 Depth=1
	s_waitcnt vmcnt(0)
	v_cvt_f16_f32_e32 v18, v86
	v_cvt_f16_f32_e32 v86, v87
	;; [unrolled: 1-line block ×6, first 2 shown]
	v_pack_b32_f16 v18, v18, v86
	v_pack_b32_f16 v86, v87, v90
	ds_write2_b32 v117, v18, v86 offset1:66
	v_cvt_f16_f32_e32 v86, v94
	v_cvt_f16_f32_e32 v87, v95
	v_pack_b32_f16 v18, v88, v89
	v_cvt_f16_f32_e32 v88, v92
	v_cvt_f16_f32_e32 v89, v93
	;; [unrolled: 1-line block ×4, first 2 shown]
	v_pack_b32_f16 v86, v86, v87
	ds_write2_b32 v117, v18, v86 offset0:132 offset1:198
	v_pack_b32_f16 v18, v88, v89
	v_cvt_f16_f32_e32 v87, v96
	v_cvt_f16_f32_e32 v88, v97
	v_pack_b32_f16 v86, v90, v91
	v_cvt_f16_f32_e32 v89, v102
	v_cvt_f16_f32_e32 v90, v103
	v_add_u32_e32 v91, 0x400, v117
	ds_write2_b32 v91, v18, v86 offset0:8 offset1:74
	v_pack_b32_f16 v18, v87, v88
	v_cvt_f16_f32_e32 v87, v100
	v_cvt_f16_f32_e32 v88, v101
	v_pack_b32_f16 v86, v89, v90
	ds_write2_b32 v91, v18, v86 offset0:140 offset1:206
	v_cvt_f16_f32_e32 v18, v106
	v_cvt_f16_f32_e32 v86, v107
	v_pack_b32_f16 v87, v87, v88
	v_cvt_f16_f32_e32 v88, v104
	v_cvt_f16_f32_e32 v89, v105
	v_pack_b32_f16 v18, v18, v86
	v_add_u32_e32 v86, 0x800, v117
	ds_write2_b32 v86, v87, v18 offset0:16 offset1:82
	v_pack_b32_f16 v18, v88, v89
	v_cvt_f16_f32_e32 v87, v110
	v_cvt_f16_f32_e32 v88, v111
	;; [unrolled: 1-line block ×6, first 2 shown]
	v_pack_b32_f16 v87, v87, v88
	ds_write2_b32 v86, v18, v87 offset0:148 offset1:214
	v_pack_b32_f16 v18, v89, v90
	v_pack_b32_f16 v86, v91, v92
	v_add_u32_e32 v87, 0xc00, v117
	ds_write2_b32 v87, v18, v86 offset0:24 offset1:90
	ds_write2_b32 v87, v19, v19 offset0:156 offset1:222
	ds_read2_b64 v[86:89], v118 offset1:4
	s_waitcnt lgkmcnt(0)
	v_mfma_f32_16x16x16_f16 v[0:3], v[70:71], v[86:87], v[0:3]
	v_add_u32_e32 v116, 0x1c0, v116
	v_cmp_le_i32_e32 vcc, s12, v116
	v_lshl_add_u64 v[20:21], v[20:21], 0, s[66:67]
	v_mfma_f32_16x16x16_f16 v[8:11], v[38:39], v[86:87], v[8:11]
	s_or_b64 s[4:5], vcc, s[4:5]
	v_mfma_f32_16x16x16_f16 v[4:7], v[54:55], v[86:87], v[4:7]
	v_mfma_f32_16x16x16_f16 v[12:15], v[84:85], v[86:87], v[12:15]
	v_mfma_f32_16x16x16_f16 v[0:3], v[68:69], v[88:89], v[0:3]
	ds_read2_b64 v[68:71], v118 offset0:8 offset1:12
	v_mfma_f32_16x16x16_f16 v[8:11], v[34:35], v[88:89], v[8:11]
	v_mfma_f32_16x16x16_f16 v[4:7], v[50:51], v[88:89], v[4:7]
	v_mfma_f32_16x16x16_f16 v[12:15], v[82:83], v[88:89], v[12:15]
	s_waitcnt lgkmcnt(0)
	v_mfma_f32_16x16x16_f16 v[8:11], v[32:33], v[68:69], v[8:11]
	v_mfma_f32_16x16x16_f16 v[4:7], v[48:49], v[68:69], v[4:7]
	v_mfma_f32_16x16x16_f16 v[0:3], v[66:67], v[68:69], v[0:3]
	v_mfma_f32_16x16x16_f16 v[12:15], v[78:79], v[68:69], v[12:15]
	v_mfma_f32_16x16x16_f16 v[8:11], v[30:31], v[70:71], v[8:11]
	ds_read2_b64 v[30:33], v118 offset0:16 offset1:20
	v_mfma_f32_16x16x16_f16 v[4:7], v[46:47], v[70:71], v[4:7]
	v_mfma_f32_16x16x16_f16 v[0:3], v[64:65], v[70:71], v[0:3]
	v_mfma_f32_16x16x16_f16 v[12:15], v[74:75], v[70:71], v[12:15]
	s_waitcnt lgkmcnt(0)
	v_mfma_f32_16x16x16_f16 v[8:11], v[28:29], v[30:31], v[8:11]
	v_mfma_f32_16x16x16_f16 v[4:7], v[44:45], v[30:31], v[4:7]
	;; [unrolled: 10-line block ×3, first 2 shown]
	v_mfma_f32_16x16x16_f16 v[0:3], v[56:57], v[26:27], v[0:3]
	v_mfma_f32_16x16x16_f16 v[12:15], v[72:73], v[26:27], v[12:15]
	;; [unrolled: 1-line block ×6, first 2 shown]
	s_andn2_b64 exec, exec, s[4:5]
	s_cbranch_execz .LBB117_48
.LBB117_6:                              ; =>This Inner Loop Header: Depth=1
	v_readlane_b32 s86, v119, 11
	v_lshl_add_u64 v[22:23], v[20:21], 0, s[64:65]
	global_load_dword v18, v[20:21], off
	global_load_dword v48, v[22:23], off
	v_add_u32_e32 v24, s86, v116
	v_readlane_b32 s86, v119, 12
	v_add_u32_e32 v22, s3, v116
	v_ashrrev_i32_e32 v23, 31, v22
	v_add_u32_e32 v28, s86, v116
	v_readlane_b32 s86, v119, 13
	v_add_u32_e32 v26, s68, v116
	v_lshl_add_u64 v[22:23], v[22:23], 2, s[0:1]
	v_add_u32_e32 v30, s86, v116
	v_readlane_b32 s86, v119, 14
	v_ashrrev_i32_e32 v25, 31, v24
	v_ashrrev_i32_e32 v27, 31, v26
	v_add_u32_e32 v32, s86, v116
	v_ashrrev_i32_e32 v29, 31, v28
	v_ashrrev_i32_e32 v31, 31, v30
	;; [unrolled: 1-line block ×3, first 2 shown]
	v_lshl_add_u64 v[24:25], v[24:25], 2, s[0:1]
	v_lshl_add_u64 v[26:27], v[26:27], 2, s[0:1]
	;; [unrolled: 1-line block ×5, first 2 shown]
	global_load_dword v49, v[22:23], off
	global_load_dword v50, v[24:25], off
	;; [unrolled: 1-line block ×6, first 2 shown]
	v_readlane_b32 s86, v119, 15
	v_add_u32_e32 v22, s72, v116
	v_add_u32_e32 v38, s80, v116
	;; [unrolled: 1-line block ×3, first 2 shown]
	v_readlane_b32 s86, v119, 16
	v_ashrrev_i32_e32 v23, 31, v22
	v_ashrrev_i32_e32 v25, 31, v24
	v_add_u32_e32 v26, s86, v116
	v_readlane_b32 s86, v119, 17
	v_ashrrev_i32_e32 v27, 31, v26
	v_ashrrev_i32_e32 v39, 31, v38
	v_add_u32_e32 v28, s86, v116
	v_readlane_b32 s86, v119, 18
	v_ashrrev_i32_e32 v29, 31, v28
	v_lshl_add_u64 v[22:23], v[22:23], 2, s[0:1]
	v_add_u32_e32 v30, s86, v116
	v_readlane_b32 s86, v119, 19
	v_ashrrev_i32_e32 v31, 31, v30
	v_lshl_add_u64 v[24:25], v[24:25], 2, s[0:1]
	;; [unrolled: 4-line block ×6, first 2 shown]
	v_add_u32_e32 v42, s86, v116
	v_readlane_b32 s86, v119, 24
	v_lshl_add_u64 v[32:33], v[32:33], 2, s[0:1]
	v_lshl_add_u64 v[34:35], v[34:35], 2, s[0:1]
	v_add_u32_e32 v44, s86, v116
	v_readlane_b32 s86, v119, 25
	v_lshl_add_u64 v[36:37], v[36:37], 2, s[0:1]
	v_lshl_add_u64 v[38:39], v[38:39], 2, s[0:1]
	v_add_u32_e32 v46, s86, v116
	v_readlane_b32 s86, v119, 26
	global_load_dword v55, v[22:23], off
	global_load_dword v56, v[24:25], off
	global_load_dword v57, v[26:27], off
	global_load_dword v58, v[28:29], off
	global_load_dword v59, v[30:31], off
	global_load_dword v60, v[32:33], off
	global_load_dword v61, v[34:35], off
	global_load_dword v62, v[36:37], off
	global_load_dword v63, v[38:39], off
	s_nop 0
	global_load_dword v40, v[40:41], off
	v_add_u32_e32 v22, s86, v116
	v_readlane_b32 s86, v119, 27
	v_ashrrev_i32_e32 v43, 31, v42
	v_ashrrev_i32_e32 v45, 31, v44
	;; [unrolled: 1-line block ×4, first 2 shown]
	v_add_u32_e32 v24, s86, v116
	v_add_u32_e32 v26, s87, v116
	;; [unrolled: 1-line block ×4, first 2 shown]
	v_lshl_add_u64 v[42:43], v[42:43], 2, s[0:1]
	v_lshl_add_u64 v[44:45], v[44:45], 2, s[0:1]
	;; [unrolled: 1-line block ×4, first 2 shown]
	s_waitcnt vmcnt(17)
	ds_write_b32 v117, v18
	s_waitcnt vmcnt(16)
	ds_write_b32 v117, v48 offset:264
	s_waitcnt vmcnt(15)
	ds_write_b32 v117, v49 offset:528
	;; [unrolled: 2-line block ×7, first 2 shown]
	v_ashrrev_i32_e32 v25, 31, v24
	v_ashrrev_i32_e32 v27, 31, v26
	;; [unrolled: 1-line block ×4, first 2 shown]
	v_lshl_add_u64 v[24:25], v[24:25], 2, s[0:1]
	v_lshl_add_u64 v[26:27], v[26:27], 2, s[0:1]
	;; [unrolled: 1-line block ×4, first 2 shown]
	global_load_dword v18, v[42:43], off
	global_load_dword v41, v[44:45], off
	s_nop 0
	global_load_dword v42, v[46:47], off
	global_load_dword v43, v[22:23], off
	;; [unrolled: 1-line block ×4, first 2 shown]
	s_nop 0
	global_load_dword v46, v[28:29], off
	global_load_dword v47, v[30:31], off
	v_add_u32_e32 v22, s90, v116
	v_ashrrev_i32_e32 v23, 31, v22
	v_add_u32_e32 v24, s91, v116
	v_add_u32_e32 v26, s92, v116
	v_add_u32_e32 v28, s93, v116
	v_add_u32_e32 v30, s94, v116
	v_add_u32_e32 v32, s95, v116
	v_add_u32_e32 v34, s96, v116
	v_add_u32_e32 v36, s97, v116
	v_lshl_add_u64 v[22:23], v[22:23], 2, s[0:1]
	v_ashrrev_i32_e32 v25, 31, v24
	v_ashrrev_i32_e32 v27, 31, v26
	v_ashrrev_i32_e32 v29, 31, v28
	v_ashrrev_i32_e32 v31, 31, v30
	v_ashrrev_i32_e32 v33, 31, v32
	v_ashrrev_i32_e32 v35, 31, v34
	v_ashrrev_i32_e32 v37, 31, v36
	v_lshl_add_u64 v[24:25], v[24:25], 2, s[0:1]
	v_lshl_add_u64 v[26:27], v[26:27], 2, s[0:1]
	v_lshl_add_u64 v[28:29], v[28:29], 2, s[0:1]
	v_lshl_add_u64 v[30:31], v[30:31], 2, s[0:1]
	v_lshl_add_u64 v[32:33], v[32:33], 2, s[0:1]
	v_lshl_add_u64 v[34:35], v[34:35], 2, s[0:1]
	v_lshl_add_u64 v[36:37], v[36:37], 2, s[0:1]
	global_load_dword v48, v[22:23], off
	global_load_dword v49, v[24:25], off
	global_load_dword v50, v[26:27], off
	global_load_dword v51, v[28:29], off
	global_load_dword v52, v[30:31], off
	global_load_dword v53, v[32:33], off
	global_load_dword v64, v[34:35], off
	global_load_dword v65, v[36:37], off
	v_add_u32_e32 v22, s98, v116
	v_ashrrev_i32_e32 v23, 31, v22
	v_add_u32_e32 v24, s99, v116
	v_add_u32_e32 v26, s24, v116
	v_add_u32_e32 v28, s25, v116
	v_add_u32_e32 v30, s22, v116
	v_add_u32_e32 v32, s23, v116
	v_add_u32_e32 v34, s28, v116
	v_add_u32_e32 v36, s29, v116
	v_lshl_add_u64 v[22:23], v[22:23], 2, s[0:1]
	v_ashrrev_i32_e32 v25, 31, v24
	v_ashrrev_i32_e32 v27, 31, v26
	v_ashrrev_i32_e32 v29, 31, v28
	v_ashrrev_i32_e32 v31, 31, v30
	v_ashrrev_i32_e32 v33, 31, v32
	v_ashrrev_i32_e32 v35, 31, v34
	v_ashrrev_i32_e32 v37, 31, v36
	v_lshl_add_u64 v[24:25], v[24:25], 2, s[0:1]
	v_lshl_add_u64 v[26:27], v[26:27], 2, s[0:1]
	v_lshl_add_u64 v[28:29], v[28:29], 2, s[0:1]
	v_lshl_add_u64 v[30:31], v[30:31], 2, s[0:1]
	v_lshl_add_u64 v[32:33], v[32:33], 2, s[0:1]
	v_lshl_add_u64 v[34:35], v[34:35], 2, s[0:1]
	v_lshl_add_u64 v[36:37], v[36:37], 2, s[0:1]
	global_load_dword v66, v[22:23], off
	global_load_dword v67, v[24:25], off
	global_load_dword v68, v[26:27], off
	global_load_dword v69, v[28:29], off
	global_load_dword v70, v[30:31], off
	global_load_dword v71, v[32:33], off
	;; [unrolled: 32-line block ×4, first 2 shown]
	global_load_dword v88, v[34:35], off
	global_load_dword v89, v[36:37], off
	v_add_u32_e32 v22, s81, v116
	v_ashrrev_i32_e32 v23, 31, v22
	v_add_u32_e32 v24, s82, v116
	v_add_u32_e32 v26, s83, v116
	;; [unrolled: 1-line block ×5, first 2 shown]
	v_lshl_add_u64 v[22:23], v[22:23], 2, s[0:1]
	v_ashrrev_i32_e32 v25, 31, v24
	v_ashrrev_i32_e32 v27, 31, v26
	;; [unrolled: 1-line block ×5, first 2 shown]
	v_lshl_add_u64 v[24:25], v[24:25], 2, s[0:1]
	v_lshl_add_u64 v[26:27], v[26:27], 2, s[0:1]
	;; [unrolled: 1-line block ×5, first 2 shown]
	global_load_dword v90, v[22:23], off
	global_load_dword v91, v[24:25], off
	;; [unrolled: 1-line block ×6, first 2 shown]
	s_waitcnt vmcnt(55)
	ds_write_b32 v117, v55 offset:2112
	s_waitcnt vmcnt(54)
	ds_write_b32 v117, v56 offset:2376
	s_waitcnt vmcnt(53)
	ds_write_b32 v117, v57 offset:2640
	s_waitcnt vmcnt(52)
	ds_write_b32 v117, v58 offset:2904
	s_waitcnt vmcnt(51)
	ds_write_b32 v117, v59 offset:3168
	s_waitcnt vmcnt(50)
	ds_write_b32 v117, v60 offset:3432
	s_waitcnt vmcnt(49)
	ds_write_b32 v117, v61 offset:3696
	s_waitcnt vmcnt(48)
	ds_write_b32 v117, v62 offset:3960
	ds_read_b64 v[38:39], v118
	ds_read_b64 v[34:35], v118 offset:32
	ds_read_b64 v[32:33], v118 offset:64
	ds_read_b64 v[30:31], v118 offset:96
	ds_read_b64 v[28:29], v118 offset:128
	ds_read_b64 v[26:27], v118 offset:160
	ds_read_b64 v[24:25], v118 offset:192
	ds_read_b64 v[22:23], v118 offset:224
	s_waitcnt vmcnt(47)
	ds_write_b32 v117, v63
	s_waitcnt vmcnt(46)
	ds_write_b32 v117, v40 offset:264
	s_waitcnt vmcnt(45)
	ds_write_b32 v117, v18 offset:528
	s_waitcnt vmcnt(44)
	ds_write_b32 v117, v41 offset:792
	s_waitcnt vmcnt(43)
	ds_write_b32 v117, v42 offset:1056
	s_waitcnt vmcnt(42)
	ds_write_b32 v117, v43 offset:1320
	s_waitcnt vmcnt(41)
	ds_write_b32 v117, v44 offset:1584
	s_waitcnt vmcnt(40)
	ds_write_b32 v117, v45 offset:1848
	s_waitcnt vmcnt(39)
	ds_write_b32 v117, v46 offset:2112
	s_waitcnt vmcnt(38)
	ds_write_b32 v117, v47 offset:2376
	s_waitcnt vmcnt(37)
	ds_write_b32 v117, v48 offset:2640
	s_waitcnt vmcnt(36)
	ds_write_b32 v117, v49 offset:2904
	s_waitcnt vmcnt(35)
	ds_write_b32 v117, v50 offset:3168
	s_waitcnt vmcnt(34)
	ds_write_b32 v117, v51 offset:3432
	s_waitcnt vmcnt(33)
	ds_write_b32 v117, v52 offset:3696
	s_waitcnt vmcnt(32)
	ds_write_b32 v117, v53 offset:3960
	ds_read_b64 v[54:55], v118
	ds_read_b64 v[50:51], v118 offset:32
	ds_read_b64 v[48:49], v118 offset:64
	ds_read_b64 v[46:47], v118 offset:96
	ds_read_b64 v[44:45], v118 offset:128
	ds_read_b64 v[42:43], v118 offset:160
	ds_read_b64 v[40:41], v118 offset:192
	ds_read_b64 v[36:37], v118 offset:224
	s_waitcnt vmcnt(31)
	ds_write_b32 v117, v64
	s_waitcnt vmcnt(30)
	ds_write_b32 v117, v65 offset:264
	s_waitcnt vmcnt(29)
	ds_write_b32 v117, v66 offset:528
	s_waitcnt vmcnt(28)
	ds_write_b32 v117, v67 offset:792
	s_waitcnt vmcnt(27)
	ds_write_b32 v117, v68 offset:1056
	s_waitcnt vmcnt(26)
	ds_write_b32 v117, v69 offset:1320
	s_waitcnt vmcnt(25)
	ds_write_b32 v117, v70 offset:1584
	s_waitcnt vmcnt(24)
	ds_write_b32 v117, v71 offset:1848
	;; [unrolled: 40-line block ×3, first 2 shown]
	s_waitcnt vmcnt(7)
	ds_write_b32 v117, v88 offset:2112
	s_waitcnt vmcnt(6)
	ds_write_b32 v117, v89 offset:2376
	;; [unrolled: 2-line block ×8, first 2 shown]
	ds_read_b64 v[84:85], v118
	ds_read_b64 v[82:83], v118 offset:32
	ds_read_b64 v[78:79], v118 offset:64
	;; [unrolled: 1-line block ×7, first 2 shown]
	s_andn2_b64 vcc, exec, s[34:35]
	v_mov_b32_e32 v86, 0
	v_mov_b32_e32 v87, 0
	s_cbranch_vccnz .LBB117_9
; %bb.7:                                ;   in Loop: Header=BB117_6 Depth=1
	s_load_dword vcc_lo, s[36:37], 0x0
	v_mov_b32_e32 v87, 0
	v_mov_b32_e32 v86, 0
	s_waitcnt lgkmcnt(0)
	s_mul_hi_u32 vcc_hi, vcc_lo, s16
	s_add_i32 vcc_hi, vcc_lo, vcc_hi
	s_lshr_b32 s86, vcc_hi, s17
	s_cmp_ge_i32 s86, s13
	s_cbranch_scc1 .LBB117_9
; %bb.8:                                ;   in Loop: Header=BB117_6 Depth=1
	s_mul_i32 vcc_hi, s86, s18
	s_sub_i32 vcc_lo, vcc_lo, vcc_hi
	s_mul_i32 s86, s86, s20
	s_mul_i32 vcc_lo, vcc_lo, s9
	v_add_u32_e32 v18, s86, v116
	v_lshl_add_u32 v86, v18, 1, vcc_lo
	v_ashrrev_i32_e32 v87, 31, v86
	v_lshl_add_u64 v[86:87], v[86:87], 2, s[6:7]
	global_load_dwordx2 v[86:87], v[86:87], off
.LBB117_9:                              ;   in Loop: Header=BB117_6 Depth=1
	s_andn2_b64 vcc, exec, s[38:39]
	v_mov_b32_e32 v88, 0
	v_mov_b32_e32 v90, 0
	v_mov_b32_e32 v91, 0
	s_cbranch_vccnz .LBB117_12
; %bb.10:                               ;   in Loop: Header=BB117_6 Depth=1
	s_load_dword vcc_lo, s[36:37], 0x4
	v_mov_b32_e32 v91, 0
	v_mov_b32_e32 v90, 0
	s_waitcnt lgkmcnt(0)
	s_mul_hi_u32 s86, vcc_lo, s16
	s_add_i32 s86, vcc_lo, s86
	s_lshr_b32 vcc_hi, s86, s17
	s_cmp_ge_i32 vcc_hi, s13
	s_cbranch_scc1 .LBB117_12
; %bb.11:                               ;   in Loop: Header=BB117_6 Depth=1
	s_mul_i32 s86, vcc_hi, s18
	s_sub_i32 s86, vcc_lo, s86
	s_mul_i32 vcc_hi, vcc_hi, s20
	s_mul_i32 s86, s86, s9
	v_add_u32_e32 v18, vcc_hi, v116
	v_lshl_add_u32 v90, v18, 1, s86
	v_ashrrev_i32_e32 v91, 31, v90
	v_lshl_add_u64 v[90:91], v[90:91], 2, s[6:7]
	global_load_dwordx2 v[90:91], v[90:91], off
.LBB117_12:                             ;   in Loop: Header=BB117_6 Depth=1
	s_andn2_b64 vcc, exec, s[40:41]
	v_mov_b32_e32 v89, 0
	s_cbranch_vccnz .LBB117_15
; %bb.13:                               ;   in Loop: Header=BB117_6 Depth=1
	s_load_dword vcc_lo, s[36:37], 0x8
	v_mov_b32_e32 v89, 0
	v_mov_b32_e32 v88, 0
	s_waitcnt lgkmcnt(0)
	s_mul_hi_u32 s86, vcc_lo, s16
	s_add_i32 s86, vcc_lo, s86
	s_lshr_b32 vcc_hi, s86, s17
	s_cmp_ge_i32 vcc_hi, s13
	s_cbranch_scc1 .LBB117_15
; %bb.14:                               ;   in Loop: Header=BB117_6 Depth=1
	s_mul_i32 s86, vcc_hi, s18
	s_sub_i32 s86, vcc_lo, s86
	s_mul_i32 vcc_hi, vcc_hi, s20
	s_mul_i32 s86, s86, s9
	v_add_u32_e32 v18, vcc_hi, v116
	v_lshl_add_u32 v88, v18, 1, s86
	v_ashrrev_i32_e32 v89, 31, v88
	v_lshl_add_u64 v[88:89], v[88:89], 2, s[6:7]
	global_load_dwordx2 v[88:89], v[88:89], off
.LBB117_15:                             ;   in Loop: Header=BB117_6 Depth=1
	s_andn2_b64 vcc, exec, s[42:43]
	v_mov_b32_e32 v92, 0
	v_mov_b32_e32 v94, 0
	v_mov_b32_e32 v95, 0
	s_cbranch_vccnz .LBB117_18
; %bb.16:                               ;   in Loop: Header=BB117_6 Depth=1
	s_load_dword vcc_lo, s[36:37], 0xc
	v_mov_b32_e32 v95, 0
	v_mov_b32_e32 v94, 0
	s_waitcnt lgkmcnt(0)
	s_mul_hi_u32 s86, vcc_lo, s16
	s_add_i32 s86, vcc_lo, s86
	s_lshr_b32 vcc_hi, s86, s17
	s_cmp_ge_i32 vcc_hi, s13
	s_cbranch_scc1 .LBB117_18
; %bb.17:                               ;   in Loop: Header=BB117_6 Depth=1
	s_mul_i32 s86, vcc_hi, s18
	s_sub_i32 s86, vcc_lo, s86
	s_mul_i32 vcc_hi, vcc_hi, s20
	s_mul_i32 s86, s86, s9
	v_add_u32_e32 v18, vcc_hi, v116
	v_lshl_add_u32 v94, v18, 1, s86
	v_ashrrev_i32_e32 v95, 31, v94
	v_lshl_add_u64 v[94:95], v[94:95], 2, s[6:7]
	global_load_dwordx2 v[94:95], v[94:95], off
.LBB117_18:                             ;   in Loop: Header=BB117_6 Depth=1
	s_andn2_b64 vcc, exec, s[44:45]
	v_mov_b32_e32 v93, 0
	s_cbranch_vccnz .LBB117_21
; %bb.19:                               ;   in Loop: Header=BB117_6 Depth=1
	s_load_dword vcc_lo, s[36:37], 0x10
	v_mov_b32_e32 v93, 0
	v_mov_b32_e32 v92, 0
	s_waitcnt lgkmcnt(0)
	s_mul_hi_u32 s86, vcc_lo, s16
	s_add_i32 s86, vcc_lo, s86
	s_lshr_b32 vcc_hi, s86, s17
	s_cmp_ge_i32 vcc_hi, s13
	s_cbranch_scc1 .LBB117_21
; %bb.20:                               ;   in Loop: Header=BB117_6 Depth=1
	s_mul_i32 s86, vcc_hi, s18
	s_sub_i32 s86, vcc_lo, s86
	s_mul_i32 vcc_hi, vcc_hi, s20
	s_mul_i32 s86, s86, s9
	v_add_u32_e32 v18, vcc_hi, v116
	v_lshl_add_u32 v92, v18, 1, s86
	v_ashrrev_i32_e32 v93, 31, v92
	v_lshl_add_u64 v[92:93], v[92:93], 2, s[6:7]
	global_load_dwordx2 v[92:93], v[92:93], off
.LBB117_21:                             ;   in Loop: Header=BB117_6 Depth=1
	;; [unrolled: 50-line block ×6, first 2 shown]
	s_andn2_b64 vcc, exec, s[62:63]
	v_mov_b32_e32 v112, 0
	v_mov_b32_e32 v113, 0
	s_cbranch_vccnz .LBB117_5
; %bb.46:                               ;   in Loop: Header=BB117_6 Depth=1
	s_load_dword vcc_lo, s[36:37], 0x34
	v_mov_b32_e32 v113, 0
	v_mov_b32_e32 v112, 0
	s_waitcnt lgkmcnt(0)
	s_mul_hi_u32 s86, vcc_lo, s16
	s_add_i32 s86, vcc_lo, s86
	s_lshr_b32 vcc_hi, s86, s17
	s_cmp_ge_i32 vcc_hi, s13
	s_cbranch_scc1 .LBB117_5
; %bb.47:                               ;   in Loop: Header=BB117_6 Depth=1
	s_mul_i32 s86, vcc_hi, s18
	s_sub_i32 s86, vcc_lo, s86
	s_mul_i32 vcc_hi, vcc_hi, s20
	s_mul_i32 s86, s86, s9
	v_add_u32_e32 v18, vcc_hi, v116
	v_lshl_add_u32 v112, v18, 1, s86
	v_ashrrev_i32_e32 v113, 31, v112
	v_lshl_add_u64 v[112:113], v[112:113], 2, s[6:7]
	global_load_dwordx2 v[112:113], v[112:113], off
	s_branch .LBB117_5
.LBB117_48:
	s_or_b64 exec, exec, s[4:5]
	v_readlane_b32 s24, v119, 6
	v_readlane_b32 s26, v119, 9
	;; [unrolled: 1-line block ×9, first 2 shown]
.LBB117_49:
	s_or_b64 exec, exec, s[28:29]
	v_mul_u32_u24_e32 v18, 0x708, v115
	v_lshlrev_b32_e32 v19, 2, v114
	v_add3_u32 v18, 0, v18, v19
	v_and_b32_e32 v19, 0x3f0, v17
	v_add_u32_e32 v19, v18, v19
	s_lshl_b64 s[0:1], s[26:27], 2
	s_barrier
	ds_write2_b32 v19, v8, v9 offset1:1
	ds_write_b32 v19, v10 offset:8
	v_or_b32_e32 v8, 12, v17
	s_add_u32 s4, s22, s0
	v_and_b32_e32 v8, 0x3fc, v8
	s_addc_u32 s5, s23, s1
	v_add_u32_e32 v8, v18, v8
	ds_write_b32 v8, v11
	ds_write2_b32 v19, v4, v5 offset0:16 offset1:17
	ds_write_b32 v19, v6 offset:72
	ds_write_b32 v8, v7 offset:64
	ds_write2_b32 v19, v0, v1 offset0:32 offset1:33
	ds_write_b32 v19, v2 offset:136
	ds_write_b32 v8, v3 offset:128
	;; [unrolled: 3-line block ×3, first 2 shown]
	s_cmp_gt_i32 s14, 0
	v_add_u32_e32 v0, s2, v16
	s_cselect_b64 s[6:7], -1, 0
	v_cmp_gt_i32_e64 s[0:1], s33, v0
	v_cmp_gt_u32_e32 vcc, 14, v16
	s_and_b64 s[0:1], s[6:7], s[0:1]
	v_lshl_add_u32 v3, v17, 2, 0
	v_add_u32_e32 v2, s11, v17
	v_mul_u32_u24_e32 v4, 0x708, v16
	s_and_b64 s[8:9], vcc, s[0:1]
	s_waitcnt lgkmcnt(0)
	s_barrier
	s_and_saveexec_b64 s[0:1], s[8:9]
	s_cbranch_execz .LBB117_52
; %bb.50:
	v_ashrrev_i32_e32 v1, 31, v0
	v_lshl_add_u64 v[6:7], v[0:1], 2, s[4:5]
	global_load_dword v1, v[6:7], off
	s_waitcnt vmcnt(0)
	v_mul_hi_u32 v5, v1, s19
	v_add_u32_e32 v5, v1, v5
	v_lshrrev_b32_e32 v5, s24, v5
	v_cmp_gt_i32_e32 vcc, s13, v5
	s_and_b64 exec, exec, vcc
	s_cbranch_execz .LBB117_52
; %bb.51:
	v_add_u32_e32 v12, v3, v4
	ds_read2st64_b32 v[6:7], v12 offset1:1
	ds_read2st64_b32 v[8:9], v12 offset0:2 offset1:3
	ds_read2st64_b32 v[10:11], v12 offset0:4 offset1:5
	ds_read_b32 v12, v12 offset:1536
	v_mul_lo_u32 v13, v5, s25
	v_sub_u32_e32 v1, v1, v13
	v_mul_lo_u32 v1, v1, s10
	s_waitcnt lgkmcnt(3)
	v_add_f32_e32 v6, 0, v6
	v_add_f32_e32 v6, v6, v7
	s_waitcnt lgkmcnt(2)
	v_add_f32_e32 v6, v6, v8
	v_add_f32_e32 v6, v6, v9
	;; [unrolled: 3-line block ×3, first 2 shown]
	v_mul_lo_u32 v5, v5, s21
	v_readlane_b32 s8, v119, 0
	s_waitcnt lgkmcnt(0)
	v_add_f32_e32 v8, v6, v12
	v_add3_u32 v6, v2, v5, v1
	v_mov_b32_e32 v7, 0
	v_readlane_b32 s9, v119, 1
	s_nop 1
	v_lshl_add_u64 v[6:7], v[6:7], 2, s[8:9]
	global_store_dword v[6:7], v8, off
.LBB117_52:
	s_or_b64 exec, exec, s[0:1]
	v_add_u32_e32 v0, 7, v0
	v_cmp_gt_i32_e64 s[0:1], s33, v0
	v_cmp_gt_u32_e32 vcc, 7, v16
	s_and_b64 s[0:1], s[6:7], s[0:1]
	s_and_b64 s[0:1], vcc, s[0:1]
	s_and_saveexec_b64 s[6:7], s[0:1]
	s_cbranch_execz .LBB117_55
; %bb.53:
	s_ashr_i32 s3, s2, 31
	v_mov_b32_e32 v17, 0
	v_lshl_add_u64 v[0:1], v[16:17], 0, s[2:3]
	v_lshl_add_u64 v[0:1], v[0:1], 2, s[4:5]
	global_load_dword v0, v[0:1], off offset:28
	s_waitcnt vmcnt(0)
	v_mul_hi_u32 v1, v0, s19
	v_add_u32_e32 v1, v0, v1
	v_lshrrev_b32_e32 v1, s24, v1
	v_cmp_gt_i32_e32 vcc, s13, v1
	s_and_b64 exec, exec, vcc
	s_cbranch_execz .LBB117_55
; %bb.54:
	v_add_u32_e32 v3, v4, v3
	v_add_u32_e32 v8, 56, v3
	ds_read2st64_b32 v[4:5], v8 offset0:49 offset1:50
	ds_read2st64_b32 v[6:7], v8 offset0:51 offset1:52
	ds_read_b32 v3, v3 offset:14136
	ds_read2st64_b32 v[8:9], v8 offset0:53 offset1:54
	v_mul_lo_u32 v10, v1, s25
	v_sub_u32_e32 v0, v0, v10
	v_mul_lo_u32 v0, v0, s10
	s_waitcnt lgkmcnt(3)
	v_add_f32_e32 v4, 0, v4
	v_add_f32_e32 v4, v4, v5
	s_waitcnt lgkmcnt(2)
	v_add_f32_e32 v4, v4, v6
	v_add_f32_e32 v4, v4, v7
	s_waitcnt lgkmcnt(0)
	v_add_f32_e32 v4, v4, v8
	v_mul_lo_u32 v1, v1, s21
	v_readlane_b32 s0, v119, 0
	v_add_f32_e32 v4, v4, v9
	v_add3_u32 v16, v2, v1, v0
	v_readlane_b32 s1, v119, 1
	v_add_f32_e32 v3, v4, v3
	s_nop 0
	v_lshl_add_u64 v[0:1], v[16:17], 2, s[0:1]
	global_store_dword v[0:1], v3, off
.LBB117_55:
	s_endpgm
	.section	.rodata,"a",@progbits
	.p2align	6, 0x0
	.amdhsa_kernel _ZL13mul_mat_f_idsI7__half2Li64ELi14ELi7EEvPKT_PKfPKiS7_S7_Pfiiiiiiiiiiiiii15HIP_vector_typeIjLj3EESA_
		.amdhsa_group_segment_fixed_size 0
		.amdhsa_private_segment_fixed_size 0
		.amdhsa_kernarg_size 128
		.amdhsa_user_sgpr_count 2
		.amdhsa_user_sgpr_dispatch_ptr 0
		.amdhsa_user_sgpr_queue_ptr 0
		.amdhsa_user_sgpr_kernarg_segment_ptr 1
		.amdhsa_user_sgpr_dispatch_id 0
		.amdhsa_user_sgpr_kernarg_preload_length 0
		.amdhsa_user_sgpr_kernarg_preload_offset 0
		.amdhsa_user_sgpr_private_segment_size 0
		.amdhsa_uses_dynamic_stack 0
		.amdhsa_enable_private_segment 0
		.amdhsa_system_sgpr_workgroup_id_x 1
		.amdhsa_system_sgpr_workgroup_id_y 1
		.amdhsa_system_sgpr_workgroup_id_z 1
		.amdhsa_system_sgpr_workgroup_info 0
		.amdhsa_system_vgpr_workitem_id 1
		.amdhsa_next_free_vgpr 120
		.amdhsa_next_free_sgpr 100
		.amdhsa_accum_offset 120
		.amdhsa_reserve_vcc 1
		.amdhsa_float_round_mode_32 0
		.amdhsa_float_round_mode_16_64 0
		.amdhsa_float_denorm_mode_32 3
		.amdhsa_float_denorm_mode_16_64 3
		.amdhsa_dx10_clamp 1
		.amdhsa_ieee_mode 1
		.amdhsa_fp16_overflow 0
		.amdhsa_tg_split 0
		.amdhsa_exception_fp_ieee_invalid_op 0
		.amdhsa_exception_fp_denorm_src 0
		.amdhsa_exception_fp_ieee_div_zero 0
		.amdhsa_exception_fp_ieee_overflow 0
		.amdhsa_exception_fp_ieee_underflow 0
		.amdhsa_exception_fp_ieee_inexact 0
		.amdhsa_exception_int_div_zero 0
	.end_amdhsa_kernel
	.section	.text._ZL13mul_mat_f_idsI7__half2Li64ELi14ELi7EEvPKT_PKfPKiS7_S7_Pfiiiiiiiiiiiiii15HIP_vector_typeIjLj3EESA_,"axG",@progbits,_ZL13mul_mat_f_idsI7__half2Li64ELi14ELi7EEvPKT_PKfPKiS7_S7_Pfiiiiiiiiiiiiii15HIP_vector_typeIjLj3EESA_,comdat
.Lfunc_end117:
	.size	_ZL13mul_mat_f_idsI7__half2Li64ELi14ELi7EEvPKT_PKfPKiS7_S7_Pfiiiiiiiiiiiiii15HIP_vector_typeIjLj3EESA_, .Lfunc_end117-_ZL13mul_mat_f_idsI7__half2Li64ELi14ELi7EEvPKT_PKfPKiS7_S7_Pfiiiiiiiiiiiiii15HIP_vector_typeIjLj3EESA_
                                        ; -- End function
	.section	.AMDGPU.csdata,"",@progbits
; Kernel info:
; codeLenInByte = 6752
; NumSgprs: 106
; NumVgprs: 120
; NumAgprs: 0
; TotalNumVgprs: 120
; ScratchSize: 0
; MemoryBound: 0
; FloatMode: 240
; IeeeMode: 1
; LDSByteSize: 0 bytes/workgroup (compile time only)
; SGPRBlocks: 13
; VGPRBlocks: 14
; NumSGPRsForWavesPerEU: 106
; NumVGPRsForWavesPerEU: 120
; AccumOffset: 120
; Occupancy: 4
; WaveLimiterHint : 1
; COMPUTE_PGM_RSRC2:SCRATCH_EN: 0
; COMPUTE_PGM_RSRC2:USER_SGPR: 2
; COMPUTE_PGM_RSRC2:TRAP_HANDLER: 0
; COMPUTE_PGM_RSRC2:TGID_X_EN: 1
; COMPUTE_PGM_RSRC2:TGID_Y_EN: 1
; COMPUTE_PGM_RSRC2:TGID_Z_EN: 1
; COMPUTE_PGM_RSRC2:TIDIG_COMP_CNT: 1
; COMPUTE_PGM_RSRC3_GFX90A:ACCUM_OFFSET: 29
; COMPUTE_PGM_RSRC3_GFX90A:TG_SPLIT: 0
	.section	.text._ZL9mul_mat_fI7__half2Li64ELi14ELi7ELb1EEvPKT_PKfPKiPfiiiiiiiiiiiiiiii,"axG",@progbits,_ZL9mul_mat_fI7__half2Li64ELi14ELi7ELb1EEvPKT_PKfPKiPfiiiiiiiiiiiiiiii,comdat
	.globl	_ZL9mul_mat_fI7__half2Li64ELi14ELi7ELb1EEvPKT_PKfPKiPfiiiiiiiiiiiiiiii ; -- Begin function _ZL9mul_mat_fI7__half2Li64ELi14ELi7ELb1EEvPKT_PKfPKiPfiiiiiiiiiiiiiiii
	.p2align	8
	.type	_ZL9mul_mat_fI7__half2Li64ELi14ELi7ELb1EEvPKT_PKfPKiPfiiiiiiiiiiiiiiii,@function
_ZL9mul_mat_fI7__half2Li64ELi14ELi7ELb1EEvPKT_PKfPKiPfiiiiiiiiiiiiiiii: ; @_ZL9mul_mat_fI7__half2Li64ELi14ELi7ELb1EEvPKT_PKfPKiPfiiiiiiiiiiiiiiii
; %bb.0:
	s_load_dwordx8 s[40:47], s[0:1], 0x20
	s_load_dwordx4 s[48:51], s[0:1], 0x44
	s_load_dword s7, s[0:1], 0x64
	s_load_dwordx2 s[8:9], s[0:1], 0x10
	v_and_b32_e32 v16, 0x3ff, v0
	v_bfe_u32 v17, v0, 10, 10
	s_waitcnt lgkmcnt(0)
	s_add_i32 s6, s41, 13
	s_mul_hi_i32 s5, s6, 0x92492493
	s_add_i32 s5, s5, s6
	s_lshr_b32 s6, s5, 31
	s_ashr_i32 s5, s5, 3
	s_add_i32 s5, s5, s6
	v_cvt_f32_u32_e32 v1, s5
	s_add_u32 s12, s0, 0x60
	s_addc_u32 s13, s1, 0
	s_sub_i32 s6, 0, s5
	v_rcp_iflag_f32_e32 v1, v1
	s_abs_i32 s22, s51
	v_mul_f32_e32 v1, 0x4f7ffffe, v1
	v_cvt_u32_f32_e32 v1, v1
	v_mul_lo_u32 v2, s6, v1
	v_mul_hi_u32 v2, v1, v2
	v_add_u32_e32 v1, v1, v2
	v_mul_hi_u32 v1, s7, v1
	v_mul_lo_u32 v2, v1, s5
	v_sub_u32_e32 v2, s7, v2
	v_add_u32_e32 v3, 1, v1
	v_subrev_u32_e32 v4, s5, v2
	v_cmp_le_u32_e32 vcc, s5, v2
	s_nop 1
	v_cndmask_b32_e32 v1, v1, v3, vcc
	v_cndmask_b32_e32 v2, v2, v4, vcc
	v_add_u32_e32 v3, 1, v1
	v_cmp_le_u32_e32 vcc, s5, v2
	s_sub_i32 s5, 0, s22
	s_nop 0
	v_cndmask_b32_e32 v1, v1, v3, vcc
	v_cvt_f32_u32_e32 v2, v1
	v_cvt_f32_u32_e32 v3, s22
	v_cmp_eq_u32_e32 vcc, 0, v16
	v_rcp_iflag_f32_e32 v2, v2
	v_rcp_iflag_f32_e32 v3, v3
	v_mul_f32_e32 v2, 0x4f7ffffe, v2
	v_cvt_u32_f32_e32 v2, v2
	v_mul_f32_e32 v3, 0x4f7ffffe, v3
	v_cvt_u32_f32_e32 v8, v3
	v_sub_u32_e32 v3, 0, v1
	v_mul_lo_u32 v3, v3, v2
	v_mul_hi_u32 v3, v2, v3
	v_add_u32_e32 v2, v2, v3
	v_mul_hi_u32 v2, s3, v2
	s_and_saveexec_b64 s[6:7], vcc
	s_cbranch_execz .LBB118_2
; %bb.1:
	v_mov_b32_e32 v3, 0x100
	v_lshl_add_u32 v3, v17, 2, v3
	v_mov_b32_e32 v4, -1
	ds_write_b32 v3, v4
.LBB118_2:
	s_or_b64 exec, exec, s[6:7]
	v_mul_lo_u32 v3, v2, v1
	v_sub_u32_e32 v3, s3, v3
	v_add_u32_e32 v4, 1, v2
	v_sub_u32_e32 v5, v3, v1
	v_cmp_ge_u32_e64 s[6:7], v3, v1
	v_mul_lo_u32 v9, s5, v8
	s_nop 0
	v_cndmask_b32_e64 v2, v2, v4, s[6:7]
	v_cndmask_b32_e64 v3, v3, v5, s[6:7]
	v_add_u32_e32 v4, 1, v2
	v_cmp_ge_u32_e64 s[6:7], v3, v1
	s_nop 1
	v_cndmask_b32_e64 v2, v2, v4, s[6:7]
	v_mul_lo_u32 v94, v2, 14
	v_mul_lo_u32 v1, v2, v1
	v_mul_hi_i32 v3, v94, s47
	v_mul_lo_u32 v2, v94, s47
	v_sub_u32_e32 v18, s3, v1
	v_lshlrev_b64 v[2:3], 2, v[2:3]
	v_add_u32_e32 v1, v17, v94
	v_lshl_add_u64 v[2:3], s[8:9], 0, v[2:3]
	v_cmp_gt_i32_e64 s[6:7], s42, v16
	v_cmp_gt_i32_e64 s[24:25], s41, v1
	v_mov_b32_e32 v1, 0
	s_and_saveexec_b64 s[14:15], s[24:25]
	s_cbranch_execz .LBB118_10
; %bb.3:
	v_mov_b32_e32 v1, 0
	s_and_saveexec_b64 s[16:17], s[6:7]
	s_cbranch_execz .LBB118_9
; %bb.4:
	v_mul_lo_u32 v4, v17, s47
	v_ashrrev_i32_e32 v5, 31, v4
	v_mov_b32_e32 v1, 0x100
	v_lshl_add_u64 v[4:5], v[4:5], 2, v[2:3]
	v_lshl_add_u32 v10, v17, 2, v1
	v_mul_lo_u32 v6, v16, s46
	s_lshl_b32 s3, s46, 6
	s_mov_b64 s[18:19], 0
	v_mov_b32_e32 v1, 0
	v_mov_b32_e32 v11, v16
	s_branch .LBB118_6
.LBB118_5:                              ;   in Loop: Header=BB118_6 Depth=1
	s_or_b64 exec, exec, s[20:21]
	v_add_u32_e32 v11, 64, v11
	v_cmp_le_i32_e64 s[10:11], s42, v11
	s_xor_b64 s[8:9], s[8:9], -1
	s_or_b64 s[8:9], s[8:9], s[10:11]
	s_and_b64 s[8:9], exec, s[8:9]
	s_or_b64 s[18:19], s[8:9], s[18:19]
	v_add_u32_e32 v6, s3, v6
	s_andn2_b64 exec, exec, s[18:19]
	s_cbranch_execz .LBB118_8
.LBB118_6:                              ; =>This Inner Loop Header: Depth=1
	v_ashrrev_i32_e32 v7, 31, v6
	v_lshl_add_u64 v[12:13], v[6:7], 2, v[4:5]
	global_load_dword v7, v[12:13], off
	s_waitcnt vmcnt(0)
	v_cmp_ne_u32_e64 s[8:9], v7, v18
	v_cmp_eq_u32_e64 s[10:11], v7, v18
	s_and_saveexec_b64 s[20:21], s[10:11]
	s_cbranch_execz .LBB118_5
; %bb.7:                                ;   in Loop: Header=BB118_6 Depth=1
	v_mov_b32_e32 v1, 1
	ds_write_b32 v10, v11
	s_branch .LBB118_5
.LBB118_8:
	s_or_b64 exec, exec, s[18:19]
.LBB118_9:
	s_or_b64 exec, exec, s[16:17]
.LBB118_10:
	s_or_b64 exec, exec, s[14:15]
	v_mul_hi_u32 v4, v8, v9
	s_and_saveexec_b64 s[8:9], vcc
	s_cbranch_execz .LBB118_12
; %bb.11:
	v_mov_b32_e32 v5, 0x100
	v_lshl_add_u32 v5, v17, 2, v5
	v_mov_b32_e32 v6, -1
	ds_write_b32 v5, v6 offset:28
.LBB118_12:
	s_or_b64 exec, exec, s[8:9]
	s_load_dwordx4 s[28:31], s[0:1], 0x54
	v_add_u32_e32 v95, 7, v17
	s_abs_i32 s3, s4
	v_add_u32_e32 v6, v8, v4
	v_add_u32_e32 v4, v95, v94
	v_cmp_gt_i32_e64 s[10:11], s41, v4
	s_mov_b64 s[8:9], exec
                                        ; implicit-def: $vgpr109 : SGPR spill to VGPR lane
	s_nop 0
	v_writelane_b32 v109, s10, 0
	s_nop 1
	v_writelane_b32 v109, s11, 1
	s_and_b64 s[10:11], s[8:9], s[10:11]
	s_mov_b64 exec, s[10:11]
	s_cbranch_execz .LBB118_20
; %bb.13:
	s_and_saveexec_b64 s[10:11], s[6:7]
	s_cbranch_execz .LBB118_19
; %bb.14:
	v_mul_lo_u32 v4, v95, s47
	v_ashrrev_i32_e32 v5, 31, v4
	v_lshl_add_u64 v[2:3], v[4:5], 2, v[2:3]
	v_mov_b32_e32 v4, 0x100
	v_lshl_add_u32 v7, v17, 2, v4
	v_mul_lo_u32 v4, v16, s46
	s_lshl_b32 s5, s46, 6
	s_mov_b64 s[14:15], 0
	v_mov_b32_e32 v8, v16
	s_branch .LBB118_16
.LBB118_15:                             ;   in Loop: Header=BB118_16 Depth=1
	s_or_b64 exec, exec, s[16:17]
	v_add_u32_e32 v8, 64, v8
	v_cmp_le_i32_e64 s[6:7], s42, v8
	s_xor_b64 s[16:17], vcc, -1
	s_or_b64 s[6:7], s[16:17], s[6:7]
	s_and_b64 s[6:7], exec, s[6:7]
	s_or_b64 s[14:15], s[6:7], s[14:15]
	v_add_u32_e32 v4, s5, v4
	s_andn2_b64 exec, exec, s[14:15]
	s_cbranch_execz .LBB118_18
.LBB118_16:                             ; =>This Inner Loop Header: Depth=1
	v_ashrrev_i32_e32 v5, 31, v4
	v_lshl_add_u64 v[10:11], v[4:5], 2, v[2:3]
	global_load_dword v5, v[10:11], off
	s_waitcnt vmcnt(0)
	v_cmp_ne_u32_e32 vcc, v5, v18
	v_cmp_eq_u32_e64 s[6:7], v5, v18
	s_and_saveexec_b64 s[16:17], s[6:7]
	s_cbranch_execz .LBB118_15
; %bb.17:                               ;   in Loop: Header=BB118_16 Depth=1
	v_mov_b32_e32 v1, 1
	ds_write_b32 v7, v8 offset:28
	s_branch .LBB118_15
.LBB118_18:
	s_or_b64 exec, exec, s[14:15]
.LBB118_19:
	s_or_b64 exec, exec, s[10:11]
.LBB118_20:
	s_or_b64 exec, exec, s[8:9]
	s_load_dwordx2 s[6:7], s[12:13], 0xc
	s_load_dwordx2 s[8:9], s[0:1], 0x8
	;; [unrolled: 1-line block ×3, first 2 shown]
	v_cmp_ne_u32_e32 vcc, 0, v1
	v_mul_hi_u32 v19, s3, v6
	s_waitcnt lgkmcnt(0)
	s_and_b32 s5, s7, 0xffff
	v_cndmask_b32_e64 v1, 0, 1, vcc
	v_writelane_b32 v109, s10, 2
	s_lshr_b32 s7, s6, 16
	v_or_b32_dpp v1, v1, v1 row_shl:1 row_mask:0xf bank_mask:0xf bound_ctrl:1
	s_and_b32 s6, s6, 0xffff
	v_writelane_b32 v109, s11, 3
	v_or_b32_dpp v1, v1, v1 row_shl:2 row_mask:0xf bank_mask:0xf bound_ctrl:1
	s_mul_i32 s10, s7, s6
	s_bfe_i32 s10, s10, 0x180000
	v_or_b32_dpp v1, v1, v1 row_shl:4 row_mask:0xf bank_mask:0xf bound_ctrl:1
	s_mul_i32 s5, s10, s5
	s_add_i32 s10, s5, 63
	v_or_b32_dpp v1, v1, v1 row_shl:8 row_mask:0xf bank_mask:0xf bound_ctrl:1
	s_bitcmp1_b32 exec_hi, 0
                                        ; kill: killed $sgpr12 killed $sgpr13
	s_nop 0
	v_mov_b32_dpp v2, v1 wave_shl:1 row_mask:0xf bank_mask:0xf bound_ctrl:1
	s_nop 1
	v_or_b32_dpp v1, v2, v1 row_mirror row_mask:0xf bank_mask:0xf bound_ctrl:1
	s_nop 0
	v_readlane_b32 s5, v1, 32
	s_cselect_b32 s5, s5, 0
	v_readlane_b32 s11, v1, 0
	s_or_b32 s5, s5, s11
	s_andn2_b32 s10, s10, 63
	s_cmp_lg_u32 s10, 64
	v_mov_b32_e32 v1, s5
	s_cbranch_scc0 .LBB118_27
; %bb.21:
	v_bfe_u32 v0, v0, 20, 10
	v_mbcnt_lo_u32_b32 v1, -1, 0
	v_mad_u32_u24 v0, v0, s7, v17
	v_mbcnt_hi_u32_b32 v2, -1, v1
	v_mad_u64_u32 v[0:1], s[6:7], v0, s6, v[16:17]
	v_lshrrev_b32_e32 v1, 6, v0
	v_or_b32_e32 v1, v2, v1
	v_cmp_eq_u32_e32 vcc, 0, v1
	s_and_saveexec_b64 s[6:7], vcc
	s_cbranch_execz .LBB118_23
; %bb.22:
	v_mov_b32_e32 v1, 0
	v_mov_b32_e32 v3, s5
	ds_write_b32 v1, v3
.LBB118_23:
	s_or_b64 exec, exec, s[6:7]
	v_cmp_eq_u32_e32 vcc, 0, v2
	v_cmp_lt_u32_e64 s[6:7], 63, v0
	s_and_b64 s[10:11], s[6:7], vcc
	s_waitcnt lgkmcnt(0)
	s_barrier
	s_and_saveexec_b64 s[6:7], s[10:11]
	s_cbranch_execz .LBB118_26
; %bb.24:
	v_mbcnt_lo_u32_b32 v0, exec_lo, 0
	v_mbcnt_hi_u32_b32 v0, exec_hi, v0
	v_cmp_eq_u32_e32 vcc, 0, v0
	s_and_b64 exec, exec, vcc
	s_cbranch_execz .LBB118_26
; %bb.25:
	v_mov_b32_e32 v0, 0
	v_mov_b32_e32 v1, s5
	ds_or_b32 v0, v1
.LBB118_26:
	s_or_b64 exec, exec, s[6:7]
	v_mov_b32_e32 v0, 0
	s_waitcnt lgkmcnt(0)
	s_barrier
	ds_read_b32 v1, v0
	s_waitcnt lgkmcnt(0)
	s_barrier
.LBB118_27:
	s_load_dwordx2 s[0:1], s[0:1], 0x0
	v_cmp_ne_u32_e32 vcc, 0, v1
	s_ashr_i32 s5, s4, 31
	s_ashr_i32 s10, s51, 31
	s_cbranch_vccz .LBB118_84
; %bb.28:
	v_lshlrev_b32_e32 v96, 6, v17
	v_add_u32_e32 v98, v96, v16
	v_cmp_le_i32_e32 vcc, s40, v98
	v_and_b32_e32 v97, 15, v16
                                        ; implicit-def: $sgpr11
	s_and_saveexec_b64 s[6:7], vcc
	s_xor_b64 s[6:7], exec, s[6:7]
; %bb.29:
	v_and_b32_e32 v97, 15, v16
	s_mov_b32 s11, 0
                                        ; implicit-def: $vgpr98
                                        ; implicit-def: $vgpr19
                                        ; implicit-def: $vgpr18
; %bb.30:
	s_or_saveexec_b64 s[12:13], s[6:7]
	s_lshl_b32 s6, s2, 6
	v_mov_b32_e32 v11, s11
	v_mov_b32_e32 v10, s11
	;; [unrolled: 1-line block ×16, first 2 shown]
	v_writelane_b32 v109, s12, 4
	s_nop 1
	v_writelane_b32 v109, s13, 5
	s_xor_b64 exec, exec, s[12:13]
	s_cbranch_execz .LBB118_76
; %bb.31:
	v_mul_lo_u32 v0, v19, s22
	v_sub_u32_e32 v0, s3, v0
	v_add_u32_e32 v1, 1, v19
	v_subrev_u32_e32 v2, s22, v0
	v_cmp_le_u32_e32 vcc, s22, v0
	s_xor_b32 s2, s5, s10
	v_writelane_b32 v109, s24, 6
	v_cndmask_b32_e32 v1, v19, v1, vcc
	v_cndmask_b32_e32 v0, v0, v2, vcc
	v_add_u32_e32 v2, 1, v1
	v_cmp_le_u32_e32 vcc, s22, v0
	v_writelane_b32 v109, s25, 7
	v_writelane_b32 v109, s6, 8
	v_cndmask_b32_e32 v0, v1, v2, vcc
	v_xor_b32_e32 v0, s2, v0
	v_subrev_u32_e32 v0, s2, v0
	s_mul_i32 s2, s6, s43
	v_mul_hi_i32 v1, v0, s28
	v_mul_lo_u32 v0, v0, s28
	v_mul_lo_u32 v2, v18, s48
	s_ashr_i32 s3, s2, 31
	v_ashrrev_i32_e32 v3, 31, v2
	v_lshlrev_b64 v[0:1], 2, v[0:1]
	s_lshl_b64 s[6:7], s[2:3], 2
	s_movk_i32 s2, 0x1080
	v_mov_b32_e32 v99, 0x100
	v_writelane_b32 v109, s4, 9
	s_waitcnt lgkmcnt(0)
	v_lshl_add_u64 v[4:5], s[0:1], 0, v[0:1]
	v_lshlrev_b64 v[2:3], 2, v[2:3]
	v_mad_u32_u24 v6, v17, s2, v99
	s_mul_hi_i32 s3, s29, s4
	v_writelane_b32 v109, s28, 10
	s_mul_i32 s2, s29, s4
	v_lshl_add_u64 v[4:5], v[4:5], 0, v[2:3]
	s_lshl_b64 s[2:3], s[2:3], 2
	v_lshl_add_u64 v[18:19], v[4:5], 0, s[6:7]
	v_writelane_b32 v109, s29, 11
	v_mul_hi_i32 v5, s44, v94
	v_mul_lo_u32 v4, s44, v94
	s_add_u32 s2, s8, s2
	v_writelane_b32 v109, s30, 12
	v_lshlrev_b64 v[4:5], 3, v[4:5]
	s_addc_u32 s3, s9, s3
	v_writelane_b32 v109, s31, 13
	v_lshl_add_u64 v[20:21], s[2:3], 0, v[4:5]
	s_lshl_b32 s2, s44, 3
	v_writelane_b32 v109, s2, 14
	s_mul_i32 s2, s44, 6
	v_writelane_b32 v109, s2, 15
	s_lshl_b32 s2, s44, 4
	v_writelane_b32 v109, s2, 16
	s_mul_i32 s2, s44, 10
	v_lshl_add_u64 v[0:1], v[0:1], 0, s[6:7]
	v_writelane_b32 v109, s2, 17
	s_mul_i32 s2, s44, 12
	v_lshl_add_u64 v[0:1], v[0:1], 0, v[2:3]
	v_writelane_b32 v109, s2, 18
	v_lshl_add_u64 v[0:1], s[0:1], 0, v[0:1]
	s_mul_i32 s0, s44, 26
	v_writelane_b32 v109, s0, 19
	s_mul_i32 s0, s44, 24
	v_writelane_b32 v109, s0, 20
	;; [unrolled: 2-line block ×5, first 2 shown]
	s_mul_i32 s0, s44, 14
	v_lshrrev_b32_e32 v5, 1, v16
	v_writelane_b32 v109, s0, 24
	s_lshl_b32 s0, s44, 1
	v_mul_u32_u24_e32 v4, 0x108, v97
	v_and_b32_e32 v5, 0x1f8, v5
	v_writelane_b32 v109, s0, 25
	s_mul_i32 s0, s43, 3
	v_add3_u32 v101, v6, v4, v5
	v_or_b32_e32 v26, 1, v94
	v_add_u32_e32 v27, 2, v94
	s_lshl_b32 s42, s44, 2
	v_add_u32_e32 v28, 3, v94
	v_add_u32_e32 v29, 4, v94
	v_add_u32_e32 v30, 5, v94
	v_add_u32_e32 v31, 6, v94
	v_add_u32_e32 v32, 7, v94
	v_add_u32_e32 v33, 8, v94
	v_add_u32_e32 v34, 9, v94
	v_add_u32_e32 v35, 10, v94
	v_add_u32_e32 v36, 11, v94
	v_add_u32_e32 v37, 12, v94
	v_add_u32_e32 v38, 13, v94
	s_ashr_i32 s3, s43, 31
	s_mov_b32 s2, s43
	v_lshlrev_b32_e32 v4, 1, v16
	v_lshlrev_b32_e32 v22, 2, v98
	v_mov_b32_e32 v23, 0
	v_writelane_b32 v109, s0, 26
	s_mul_i32 s0, s43, 5
	v_lshl_add_u32 v100, v16, 2, v6
	v_lshl_add_u32 v102, v17, 7, v4
	s_lshl_b64 s[2:3], s[2:3], 2
	v_lshl_add_u64 v[24:25], v[0:1], 0, v[22:23]
	s_lshl_b32 s64, s43, 1
	s_lshl_b32 s66, s43, 2
	v_writelane_b32 v109, s0, 27
	s_mul_i32 s68, s43, 6
	s_mul_i32 s69, s43, 7
	s_lshl_b32 s70, s43, 3
	s_mul_i32 s71, s43, 9
	s_mul_i32 s72, s43, 10
	;; [unrolled: 1-line block ×7, first 2 shown]
	s_lshl_b32 s78, s43, 4
	s_mul_i32 s79, s43, 17
	s_mul_i32 s80, s43, 18
	;; [unrolled: 1-line block ×15, first 2 shown]
	s_lshl_b32 s94, s43, 5
	s_mul_i32 s95, s43, 33
	s_mul_i32 s96, s43, 34
	;; [unrolled: 1-line block ×22, first 2 shown]
	v_cmp_gt_i32_e64 s[0:1], s41, v94
	s_mul_i32 s36, s43, 55
	s_mul_i32 s37, s43, 56
	v_mov_b32_e32 v12, 0
	v_mov_b32_e32 v13, v23
	;; [unrolled: 1-line block ×16, first 2 shown]
	s_mul_i32 s33, s43, 57
	s_mul_i32 s48, s43, 58
	;; [unrolled: 1-line block ×7, first 2 shown]
	v_cmp_gt_i32_e64 s[6:7], s41, v26
	v_cmp_gt_i32_e64 s[8:9], s41, v27
	;; [unrolled: 1-line block ×13, first 2 shown]
	s_mov_b32 s41, s42
	s_mov_b64 s[42:43], 0
	s_mov_b64 s[52:53], 0x700
	s_branch .LBB118_33
.LBB118_32:                             ;   in Loop: Header=BB118_33 Depth=1
	s_waitcnt vmcnt(0)
	v_cvt_f16_f32_e32 v22, v90
	v_cvt_f16_f32_e32 v90, v91
	v_add_u32_e32 v91, 0xc00, v100
	ds_write_b32 v100, v23 offset:4024
	v_add_u32_e32 v98, 0x1c0, v98
	v_pack_b32_f16 v22, v22, v90
	ds_write2_b32 v91, v22, v23 offset0:106 offset1:172
	ds_read2_b64 v[90:93], v101 offset0:8 offset1:12
	v_cmp_le_i32_e32 vcc, s40, v98
	v_add_u32_e32 v102, 0x380, v102
	v_lshl_add_u64 v[24:25], v[24:25], 0, s[52:53]
	s_waitcnt lgkmcnt(0)
	v_mfma_f32_16x16x16_f16 v[4:7], v[58:59], v[90:91], v[4:7]
	s_or_b64 s[42:43], vcc, s[42:43]
	v_mfma_f32_16x16x16_f16 v[8:11], v[42:43], v[90:91], v[8:11]
	v_mfma_f32_16x16x16_f16 v[0:3], v[74:75], v[90:91], v[0:3]
	v_mfma_f32_16x16x16_f16 v[12:15], v[88:89], v[90:91], v[12:15]
	v_mfma_f32_16x16x16_f16 v[4:7], v[56:57], v[92:93], v[4:7]
	ds_read2_b64 v[56:59], v101 offset0:16 offset1:20
	v_mfma_f32_16x16x16_f16 v[8:11], v[38:39], v[92:93], v[8:11]
	v_mfma_f32_16x16x16_f16 v[0:3], v[72:73], v[92:93], v[0:3]
	v_mfma_f32_16x16x16_f16 v[12:15], v[86:87], v[92:93], v[12:15]
	s_waitcnt lgkmcnt(0)
	v_mfma_f32_16x16x16_f16 v[8:11], v[36:37], v[56:57], v[8:11]
	v_mfma_f32_16x16x16_f16 v[4:7], v[52:53], v[56:57], v[4:7]
	v_mfma_f32_16x16x16_f16 v[0:3], v[70:71], v[56:57], v[0:3]
	v_mfma_f32_16x16x16_f16 v[12:15], v[82:83], v[56:57], v[12:15]
	v_mfma_f32_16x16x16_f16 v[8:11], v[34:35], v[58:59], v[8:11]
	ds_read2_b64 v[34:37], v101 offset0:24 offset1:28
	v_mfma_f32_16x16x16_f16 v[4:7], v[50:51], v[58:59], v[4:7]
	v_mfma_f32_16x16x16_f16 v[0:3], v[68:69], v[58:59], v[0:3]
	v_mfma_f32_16x16x16_f16 v[12:15], v[78:79], v[58:59], v[12:15]
	s_waitcnt lgkmcnt(0)
	v_mfma_f32_16x16x16_f16 v[8:11], v[32:33], v[34:35], v[8:11]
	;; [unrolled: 10-line block ×3, first 2 shown]
	v_mfma_f32_16x16x16_f16 v[4:7], v[44:45], v[30:31], v[4:7]
	v_mfma_f32_16x16x16_f16 v[0:3], v[60:61], v[30:31], v[0:3]
	;; [unrolled: 1-line block ×7, first 2 shown]
	s_andn2_b64 exec, exec, s[42:43]
	s_cbranch_execz .LBB118_75
.LBB118_33:                             ; =>This Inner Loop Header: Depth=1
	v_lshl_add_u64 v[26:27], v[24:25], 0, s[2:3]
	v_readlane_b32 vcc_lo, v109, 26
	global_load_dword v22, v[24:25], off
	global_load_dword v52, v[26:27], off
	v_add_u32_e32 v26, s64, v98
	v_add_u32_e32 v28, vcc_lo, v98
	v_readlane_b32 vcc_lo, v109, 27
	v_ashrrev_i32_e32 v27, 31, v26
	v_add_u32_e32 v30, s66, v98
	v_add_u32_e32 v32, vcc_lo, v98
	v_add_u32_e32 v34, s68, v98
	v_add_u32_e32 v36, s69, v98
	v_lshl_add_u64 v[26:27], v[26:27], 2, v[18:19]
	v_ashrrev_i32_e32 v29, 31, v28
	v_ashrrev_i32_e32 v31, 31, v30
	;; [unrolled: 1-line block ×5, first 2 shown]
	v_lshl_add_u64 v[28:29], v[28:29], 2, v[18:19]
	v_lshl_add_u64 v[30:31], v[30:31], 2, v[18:19]
	;; [unrolled: 1-line block ×5, first 2 shown]
	global_load_dword v53, v[26:27], off
	global_load_dword v54, v[28:29], off
	;; [unrolled: 1-line block ×6, first 2 shown]
	v_add_u32_e32 v26, s70, v98
	v_add_u32_e32 v44, s79, v98
	;; [unrolled: 1-line block ×10, first 2 shown]
	v_ashrrev_i32_e32 v27, 31, v26
	v_ashrrev_i32_e32 v45, 31, v44
	;; [unrolled: 1-line block ×10, first 2 shown]
	v_lshl_add_u64 v[26:27], v[26:27], 2, v[18:19]
	v_lshl_add_u64 v[44:45], v[44:45], 2, v[18:19]
	v_add_u32_e32 v46, s80, v98
	v_add_u32_e32 v48, s81, v98
	v_add_u32_e32 v50, s82, v98
	v_lshl_add_u64 v[28:29], v[28:29], 2, v[18:19]
	v_lshl_add_u64 v[30:31], v[30:31], 2, v[18:19]
	;; [unrolled: 1-line block ×8, first 2 shown]
	global_load_dword v59, v[26:27], off
	global_load_dword v60, v[28:29], off
	;; [unrolled: 1-line block ×9, first 2 shown]
	s_nop 0
	global_load_dword v44, v[44:45], off
	v_add_u32_e32 v26, s83, v98
	v_ashrrev_i32_e32 v47, 31, v46
	v_ashrrev_i32_e32 v49, 31, v48
	;; [unrolled: 1-line block ×4, first 2 shown]
	v_add_u32_e32 v28, s84, v98
	v_add_u32_e32 v30, s85, v98
	;; [unrolled: 1-line block ×4, first 2 shown]
	v_lshl_add_u64 v[46:47], v[46:47], 2, v[18:19]
	v_lshl_add_u64 v[48:49], v[48:49], 2, v[18:19]
	v_lshl_add_u64 v[50:51], v[50:51], 2, v[18:19]
	v_lshl_add_u64 v[26:27], v[26:27], 2, v[18:19]
	v_ashrrev_i32_e32 v29, 31, v28
	v_ashrrev_i32_e32 v31, 31, v30
	;; [unrolled: 1-line block ×4, first 2 shown]
	v_lshl_add_u64 v[28:29], v[28:29], 2, v[18:19]
	v_lshl_add_u64 v[30:31], v[30:31], 2, v[18:19]
	;; [unrolled: 1-line block ×4, first 2 shown]
	v_add_u32_e32 v36, s93, v98
	v_add_u32_e32 v38, s94, v98
	;; [unrolled: 1-line block ×3, first 2 shown]
	v_ashrrev_i32_e32 v37, 31, v36
	v_ashrrev_i32_e32 v39, 31, v38
	s_waitcnt vmcnt(17)
	ds_write_b32 v100, v22 offset:64
	s_waitcnt vmcnt(16)
	ds_write_b32 v100, v52 offset:328
	;; [unrolled: 2-line block ×8, first 2 shown]
	global_load_dword v22, v[46:47], off
	global_load_dword v45, v[48:49], off
	s_nop 0
	global_load_dword v46, v[50:51], off
	global_load_dword v47, v[26:27], off
	;; [unrolled: 1-line block ×4, first 2 shown]
	s_nop 0
	global_load_dword v50, v[32:33], off
	global_load_dword v51, v[34:35], off
	v_add_u32_e32 v26, s88, v98
	v_ashrrev_i32_e32 v27, 31, v26
	v_add_u32_e32 v28, s89, v98
	v_add_u32_e32 v30, s90, v98
	;; [unrolled: 1-line block ×4, first 2 shown]
	v_lshl_add_u64 v[26:27], v[26:27], 2, v[18:19]
	v_ashrrev_i32_e32 v29, 31, v28
	v_ashrrev_i32_e32 v31, 31, v30
	v_ashrrev_i32_e32 v33, 31, v32
	v_ashrrev_i32_e32 v35, 31, v34
	v_ashrrev_i32_e32 v41, 31, v40
	v_lshl_add_u64 v[28:29], v[28:29], 2, v[18:19]
	v_lshl_add_u64 v[30:31], v[30:31], 2, v[18:19]
	v_lshl_add_u64 v[32:33], v[32:33], 2, v[18:19]
	v_lshl_add_u64 v[34:35], v[34:35], 2, v[18:19]
	v_lshl_add_u64 v[36:37], v[36:37], 2, v[18:19]
	v_lshl_add_u64 v[38:39], v[38:39], 2, v[18:19]
	v_lshl_add_u64 v[40:41], v[40:41], 2, v[18:19]
	global_load_dword v52, v[26:27], off
	global_load_dword v53, v[28:29], off
	global_load_dword v54, v[30:31], off
	global_load_dword v55, v[32:33], off
	global_load_dword v56, v[34:35], off
	global_load_dword v57, v[36:37], off
	global_load_dword v68, v[38:39], off
	global_load_dword v69, v[40:41], off
	v_add_u32_e32 v26, s96, v98
	v_ashrrev_i32_e32 v27, 31, v26
	v_add_u32_e32 v28, s97, v98
	v_add_u32_e32 v30, s98, v98
	v_add_u32_e32 v32, s99, v98
	v_add_u32_e32 v34, s38, v98
	v_add_u32_e32 v36, s39, v98
	v_add_u32_e32 v38, s54, v98
	v_add_u32_e32 v40, s5, v98
	v_lshl_add_u64 v[26:27], v[26:27], 2, v[18:19]
	v_ashrrev_i32_e32 v29, 31, v28
	v_ashrrev_i32_e32 v31, 31, v30
	v_ashrrev_i32_e32 v33, 31, v32
	v_ashrrev_i32_e32 v35, 31, v34
	v_ashrrev_i32_e32 v37, 31, v36
	v_ashrrev_i32_e32 v39, 31, v38
	v_ashrrev_i32_e32 v41, 31, v40
	v_lshl_add_u64 v[28:29], v[28:29], 2, v[18:19]
	v_lshl_add_u64 v[30:31], v[30:31], 2, v[18:19]
	v_lshl_add_u64 v[32:33], v[32:33], 2, v[18:19]
	v_lshl_add_u64 v[34:35], v[34:35], 2, v[18:19]
	v_lshl_add_u64 v[36:37], v[36:37], 2, v[18:19]
	v_lshl_add_u64 v[38:39], v[38:39], 2, v[18:19]
	v_lshl_add_u64 v[40:41], v[40:41], 2, v[18:19]
	global_load_dword v70, v[26:27], off
	global_load_dword v71, v[28:29], off
	global_load_dword v72, v[30:31], off
	global_load_dword v73, v[32:33], off
	global_load_dword v74, v[34:35], off
	global_load_dword v75, v[36:37], off
	global_load_dword v76, v[38:39], off
	global_load_dword v77, v[40:41], off
	v_add_u32_e32 v26, s51, v98
	v_ashrrev_i32_e32 v27, 31, v26
	v_add_u32_e32 v28, s56, v98
	v_add_u32_e32 v30, s57, v98
	v_add_u32_e32 v32, s46, v98
	v_add_u32_e32 v34, s47, v98
	v_add_u32_e32 v36, s58, v98
	v_add_u32_e32 v38, s59, v98
	v_add_u32_e32 v40, s60, v98
	v_lshl_add_u64 v[26:27], v[26:27], 2, v[18:19]
	v_ashrrev_i32_e32 v29, 31, v28
	v_ashrrev_i32_e32 v31, 31, v30
	;; [unrolled: 32-line block ×3, first 2 shown]
	v_ashrrev_i32_e32 v33, 31, v32
	v_ashrrev_i32_e32 v35, 31, v34
	;; [unrolled: 1-line block ×5, first 2 shown]
	v_lshl_add_u64 v[28:29], v[28:29], 2, v[18:19]
	v_lshl_add_u64 v[30:31], v[30:31], 2, v[18:19]
	v_lshl_add_u64 v[32:33], v[32:33], 2, v[18:19]
	v_lshl_add_u64 v[34:35], v[34:35], 2, v[18:19]
	v_lshl_add_u64 v[36:37], v[36:37], 2, v[18:19]
	v_lshl_add_u64 v[38:39], v[38:39], 2, v[18:19]
	v_lshl_add_u64 v[40:41], v[40:41], 2, v[18:19]
	global_load_dword v86, v[26:27], off
	global_load_dword v87, v[28:29], off
	;; [unrolled: 1-line block ×8, first 2 shown]
	v_add_u32_e32 v26, s48, v98
	v_ashrrev_i32_e32 v27, 31, v26
	v_add_u32_e32 v28, s55, v98
	v_add_u32_e32 v30, s44, v98
	v_add_u32_e32 v32, s4, v98
	v_add_u32_e32 v34, s65, v98
	v_add_u32_e32 v36, s67, v98
	v_lshl_add_u64 v[26:27], v[26:27], 2, v[18:19]
	v_ashrrev_i32_e32 v29, 31, v28
	v_ashrrev_i32_e32 v31, 31, v30
	;; [unrolled: 1-line block ×5, first 2 shown]
	v_lshl_add_u64 v[28:29], v[28:29], 2, v[18:19]
	v_lshl_add_u64 v[30:31], v[30:31], 2, v[18:19]
	;; [unrolled: 1-line block ×5, first 2 shown]
	global_load_dword v103, v[26:27], off
	global_load_dword v104, v[28:29], off
	;; [unrolled: 1-line block ×6, first 2 shown]
	s_waitcnt vmcnt(55)
	ds_write_b32 v100, v59 offset:2176
	s_waitcnt vmcnt(54)
	ds_write_b32 v100, v60 offset:2440
	s_waitcnt vmcnt(53)
	ds_write_b32 v100, v61 offset:2704
	s_waitcnt vmcnt(52)
	ds_write_b32 v100, v62 offset:2968
	s_waitcnt vmcnt(51)
	ds_write_b32 v100, v63 offset:3232
	s_waitcnt vmcnt(50)
	ds_write_b32 v100, v64 offset:3496
	s_waitcnt vmcnt(49)
	ds_write_b32 v100, v65 offset:3760
	s_waitcnt vmcnt(48)
	ds_write_b32 v100, v66 offset:4024
	ds_read_b64 v[42:43], v101 offset:64
	ds_read_b64 v[38:39], v101 offset:96
	ds_read_b64 v[36:37], v101 offset:128
	ds_read_b64 v[34:35], v101 offset:160
	ds_read_b64 v[32:33], v101 offset:192
	ds_read_b64 v[30:31], v101 offset:224
	ds_read_b64 v[28:29], v101 offset:256
	ds_read_b64 v[26:27], v101 offset:288
	s_waitcnt vmcnt(47)
	ds_write_b32 v100, v67 offset:64
	s_waitcnt vmcnt(46)
	ds_write_b32 v100, v44 offset:328
	s_waitcnt vmcnt(45)
	ds_write_b32 v100, v22 offset:592
	s_waitcnt vmcnt(44)
	ds_write_b32 v100, v45 offset:856
	s_waitcnt vmcnt(43)
	ds_write_b32 v100, v46 offset:1120
	s_waitcnt vmcnt(42)
	ds_write_b32 v100, v47 offset:1384
	s_waitcnt vmcnt(41)
	ds_write_b32 v100, v48 offset:1648
	s_waitcnt vmcnt(40)
	ds_write_b32 v100, v49 offset:1912
	s_waitcnt vmcnt(39)
	ds_write_b32 v100, v50 offset:2176
	s_waitcnt vmcnt(38)
	ds_write_b32 v100, v51 offset:2440
	s_waitcnt vmcnt(37)
	ds_write_b32 v100, v52 offset:2704
	s_waitcnt vmcnt(36)
	ds_write_b32 v100, v53 offset:2968
	s_waitcnt vmcnt(35)
	ds_write_b32 v100, v54 offset:3232
	s_waitcnt vmcnt(34)
	ds_write_b32 v100, v55 offset:3496
	s_waitcnt vmcnt(33)
	ds_write_b32 v100, v56 offset:3760
	s_waitcnt vmcnt(32)
	ds_write_b32 v100, v57 offset:4024
	ds_read_b64 v[58:59], v101 offset:64
	ds_read_b64 v[56:57], v101 offset:96
	ds_read_b64 v[52:53], v101 offset:128
	ds_read_b64 v[50:51], v101 offset:160
	ds_read_b64 v[48:49], v101 offset:192
	ds_read_b64 v[46:47], v101 offset:224
	ds_read_b64 v[44:45], v101 offset:256
	ds_read_b64 v[40:41], v101 offset:288
	s_waitcnt vmcnt(31)
	ds_write_b32 v100, v68 offset:64
	s_waitcnt vmcnt(30)
	ds_write_b32 v100, v69 offset:328
	s_waitcnt vmcnt(29)
	ds_write_b32 v100, v70 offset:592
	s_waitcnt vmcnt(28)
	ds_write_b32 v100, v71 offset:856
	s_waitcnt vmcnt(27)
	ds_write_b32 v100, v72 offset:1120
	s_waitcnt vmcnt(26)
	ds_write_b32 v100, v73 offset:1384
	s_waitcnt vmcnt(25)
	ds_write_b32 v100, v74 offset:1648
	s_waitcnt vmcnt(24)
	ds_write_b32 v100, v75 offset:1912
	;; [unrolled: 40-line block ×3, first 2 shown]
	s_waitcnt vmcnt(7)
	ds_write_b32 v100, v92 offset:2176
	s_waitcnt vmcnt(6)
	ds_write_b32 v100, v93 offset:2440
	;; [unrolled: 2-line block ×8, first 2 shown]
	ds_read_b64 v[88:89], v101 offset:64
	ds_read_b64 v[86:87], v101 offset:96
	;; [unrolled: 1-line block ×8, first 2 shown]
	s_andn2_b64 vcc, exec, s[0:1]
	v_mov_b32_e32 v90, 0
	v_mov_b32_e32 v91, 0
	s_cbranch_vccnz .LBB118_36
; %bb.34:                               ;   in Loop: Header=BB118_33 Depth=1
	ds_read_b32 v22, v99
	v_mov_b32_e32 v91, 0
	v_mov_b32_e32 v90, 0
	s_waitcnt lgkmcnt(0)
	v_cmp_gt_i32_e32 vcc, 0, v22
	s_cbranch_vccnz .LBB118_36
; %bb.35:                               ;   in Loop: Header=BB118_33 Depth=1
	v_mul_lo_u32 v22, v22, s49
	v_add_u32_e32 v90, v102, v22
	v_ashrrev_i32_e32 v91, 31, v90
	v_lshl_add_u64 v[90:91], v[90:91], 2, v[20:21]
	global_load_dwordx2 v[90:91], v[90:91], off
.LBB118_36:                             ;   in Loop: Header=BB118_33 Depth=1
	s_waitcnt vmcnt(0)
	v_cvt_f16_f32_e32 v22, v90
	v_cvt_f16_f32_e32 v90, v91
	s_andn2_b64 vcc, exec, s[6:7]
	v_mov_b32_e32 v92, 0
	v_mov_b32_e32 v93, 0
	v_pack_b32_f16 v22, v22, v90
	v_mov_b32_e32 v90, 0
	ds_write_b32 v100, v22 offset:64
	s_cbranch_vccnz .LBB118_39
; %bb.37:                               ;   in Loop: Header=BB118_33 Depth=1
	ds_read_b32 v22, v99 offset:4
	v_mov_b32_e32 v93, 0
	v_mov_b32_e32 v92, 0
	s_waitcnt lgkmcnt(0)
	v_cmp_gt_i32_e32 vcc, 0, v22
	s_cbranch_vccnz .LBB118_39
; %bb.38:                               ;   in Loop: Header=BB118_33 Depth=1
	v_mul_lo_u32 v22, v22, s49
	v_readlane_b32 vcc_lo, v109, 25
	s_nop 1
	v_add_u32_e32 v22, vcc_lo, v22
	v_add_u32_e32 v92, v22, v102
	v_ashrrev_i32_e32 v93, 31, v92
	v_lshl_add_u64 v[92:93], v[92:93], 2, v[20:21]
	global_load_dwordx2 v[92:93], v[92:93], off
.LBB118_39:                             ;   in Loop: Header=BB118_33 Depth=1
	s_waitcnt vmcnt(0)
	v_cvt_f16_f32_e32 v22, v92
	v_cvt_f16_f32_e32 v91, v93
	s_andn2_b64 vcc, exec, s[8:9]
	v_pack_b32_f16 v22, v22, v91
	v_mov_b32_e32 v91, 0
	ds_write_b32 v100, v22 offset:328
	s_cbranch_vccnz .LBB118_42
; %bb.40:                               ;   in Loop: Header=BB118_33 Depth=1
	ds_read_b32 v22, v99 offset:8
	v_mov_b32_e32 v91, 0
	v_mov_b32_e32 v90, 0
	s_waitcnt lgkmcnt(0)
	v_cmp_gt_i32_e32 vcc, 0, v22
	s_cbranch_vccnz .LBB118_42
; %bb.41:                               ;   in Loop: Header=BB118_33 Depth=1
	v_mul_lo_u32 v22, v22, s49
	v_add_u32_e32 v22, s41, v22
	v_add_u32_e32 v90, v22, v102
	v_ashrrev_i32_e32 v91, 31, v90
	v_lshl_add_u64 v[90:91], v[90:91], 2, v[20:21]
	global_load_dwordx2 v[90:91], v[90:91], off
.LBB118_42:                             ;   in Loop: Header=BB118_33 Depth=1
	s_waitcnt vmcnt(0)
	v_cvt_f16_f32_e32 v22, v90
	v_cvt_f16_f32_e32 v90, v91
	s_andn2_b64 vcc, exec, s[10:11]
	v_mov_b32_e32 v92, 0
	v_mov_b32_e32 v93, 0
	v_pack_b32_f16 v22, v22, v90
	v_mov_b32_e32 v90, 0
	ds_write_b32 v100, v22 offset:592
	s_cbranch_vccnz .LBB118_45
; %bb.43:                               ;   in Loop: Header=BB118_33 Depth=1
	ds_read_b32 v22, v99 offset:12
	v_mov_b32_e32 v93, 0
	v_mov_b32_e32 v92, 0
	s_waitcnt lgkmcnt(0)
	v_cmp_gt_i32_e32 vcc, 0, v22
	s_cbranch_vccnz .LBB118_45
; %bb.44:                               ;   in Loop: Header=BB118_33 Depth=1
	v_mul_lo_u32 v22, v22, s49
	v_readlane_b32 vcc_lo, v109, 15
	s_nop 1
	v_add_u32_e32 v22, vcc_lo, v22
	v_add_u32_e32 v92, v22, v102
	v_ashrrev_i32_e32 v93, 31, v92
	v_lshl_add_u64 v[92:93], v[92:93], 2, v[20:21]
	global_load_dwordx2 v[92:93], v[92:93], off
.LBB118_45:                             ;   in Loop: Header=BB118_33 Depth=1
	s_waitcnt vmcnt(0)
	v_cvt_f16_f32_e32 v22, v92
	v_cvt_f16_f32_e32 v91, v93
	s_andn2_b64 vcc, exec, s[12:13]
	v_pack_b32_f16 v22, v22, v91
	v_mov_b32_e32 v91, 0
	ds_write_b32 v100, v22 offset:856
	s_cbranch_vccnz .LBB118_48
; %bb.46:                               ;   in Loop: Header=BB118_33 Depth=1
	ds_read_b32 v22, v99 offset:16
	v_mov_b32_e32 v91, 0
	v_mov_b32_e32 v90, 0
	s_waitcnt lgkmcnt(0)
	v_cmp_gt_i32_e32 vcc, 0, v22
	s_cbranch_vccnz .LBB118_48
; %bb.47:                               ;   in Loop: Header=BB118_33 Depth=1
	v_mul_lo_u32 v22, v22, s49
	v_readlane_b32 vcc_lo, v109, 14
	s_nop 1
	v_add_u32_e32 v22, vcc_lo, v22
	v_add_u32_e32 v90, v22, v102
	v_ashrrev_i32_e32 v91, 31, v90
	v_lshl_add_u64 v[90:91], v[90:91], 2, v[20:21]
	global_load_dwordx2 v[90:91], v[90:91], off
.LBB118_48:                             ;   in Loop: Header=BB118_33 Depth=1
	s_waitcnt vmcnt(0)
	v_cvt_f16_f32_e32 v22, v90
	v_cvt_f16_f32_e32 v90, v91
	s_andn2_b64 vcc, exec, s[14:15]
	v_mov_b32_e32 v92, 0
	v_mov_b32_e32 v93, 0
	v_pack_b32_f16 v22, v22, v90
	v_mov_b32_e32 v90, 0
	ds_write_b32 v100, v22 offset:1120
	s_cbranch_vccnz .LBB118_51
; %bb.49:                               ;   in Loop: Header=BB118_33 Depth=1
	ds_read_b32 v22, v99 offset:20
	v_mov_b32_e32 v93, 0
	v_mov_b32_e32 v92, 0
	s_waitcnt lgkmcnt(0)
	v_cmp_gt_i32_e32 vcc, 0, v22
	s_cbranch_vccnz .LBB118_51
; %bb.50:                               ;   in Loop: Header=BB118_33 Depth=1
	v_mul_lo_u32 v22, v22, s49
	v_readlane_b32 vcc_lo, v109, 17
	s_nop 1
	v_add_u32_e32 v22, vcc_lo, v22
	v_add_u32_e32 v92, v22, v102
	v_ashrrev_i32_e32 v93, 31, v92
	v_lshl_add_u64 v[92:93], v[92:93], 2, v[20:21]
	global_load_dwordx2 v[92:93], v[92:93], off
.LBB118_51:                             ;   in Loop: Header=BB118_33 Depth=1
	s_waitcnt vmcnt(0)
	v_cvt_f16_f32_e32 v22, v92
	v_cvt_f16_f32_e32 v91, v93
	s_andn2_b64 vcc, exec, s[16:17]
	v_pack_b32_f16 v22, v22, v91
	v_mov_b32_e32 v91, 0
	ds_write_b32 v100, v22 offset:1384
	s_cbranch_vccnz .LBB118_54
; %bb.52:                               ;   in Loop: Header=BB118_33 Depth=1
	ds_read_b32 v22, v99 offset:24
	v_mov_b32_e32 v91, 0
	v_mov_b32_e32 v90, 0
	s_waitcnt lgkmcnt(0)
	v_cmp_gt_i32_e32 vcc, 0, v22
	s_cbranch_vccnz .LBB118_54
; %bb.53:                               ;   in Loop: Header=BB118_33 Depth=1
	v_mul_lo_u32 v22, v22, s49
	v_readlane_b32 vcc_lo, v109, 18
	s_nop 1
	v_add_u32_e32 v22, vcc_lo, v22
	v_add_u32_e32 v90, v22, v102
	v_ashrrev_i32_e32 v91, 31, v90
	v_lshl_add_u64 v[90:91], v[90:91], 2, v[20:21]
	global_load_dwordx2 v[90:91], v[90:91], off
.LBB118_54:                             ;   in Loop: Header=BB118_33 Depth=1
	s_waitcnt vmcnt(0)
	v_cvt_f16_f32_e32 v22, v90
	v_cvt_f16_f32_e32 v90, v91
	s_andn2_b64 vcc, exec, s[18:19]
	v_mov_b32_e32 v92, 0
	v_mov_b32_e32 v93, 0
	v_pack_b32_f16 v22, v22, v90
	v_mov_b32_e32 v90, 0
	ds_write_b32 v100, v22 offset:1648
	s_cbranch_vccnz .LBB118_57
; %bb.55:                               ;   in Loop: Header=BB118_33 Depth=1
	ds_read_b32 v22, v99 offset:28
	v_mov_b32_e32 v93, 0
	v_mov_b32_e32 v92, 0
	s_waitcnt lgkmcnt(0)
	v_cmp_gt_i32_e32 vcc, 0, v22
	s_cbranch_vccnz .LBB118_57
; %bb.56:                               ;   in Loop: Header=BB118_33 Depth=1
	v_mul_lo_u32 v22, v22, s49
	v_readlane_b32 vcc_lo, v109, 24
	s_nop 1
	v_add_u32_e32 v22, vcc_lo, v22
	v_add_u32_e32 v92, v22, v102
	v_ashrrev_i32_e32 v93, 31, v92
	v_lshl_add_u64 v[92:93], v[92:93], 2, v[20:21]
	global_load_dwordx2 v[92:93], v[92:93], off
.LBB118_57:                             ;   in Loop: Header=BB118_33 Depth=1
	s_waitcnt vmcnt(0)
	v_cvt_f16_f32_e32 v22, v92
	v_cvt_f16_f32_e32 v91, v93
	s_andn2_b64 vcc, exec, s[20:21]
	v_pack_b32_f16 v22, v22, v91
	v_mov_b32_e32 v91, 0
	ds_write_b32 v100, v22 offset:1912
	s_cbranch_vccnz .LBB118_60
; %bb.58:                               ;   in Loop: Header=BB118_33 Depth=1
	ds_read_b32 v22, v99 offset:32
	v_mov_b32_e32 v91, 0
	v_mov_b32_e32 v90, 0
	s_waitcnt lgkmcnt(0)
	v_cmp_gt_i32_e32 vcc, 0, v22
	s_cbranch_vccnz .LBB118_60
; %bb.59:                               ;   in Loop: Header=BB118_33 Depth=1
	v_mul_lo_u32 v22, v22, s49
	v_readlane_b32 vcc_lo, v109, 16
	s_nop 1
	v_add_u32_e32 v22, vcc_lo, v22
	v_add_u32_e32 v90, v22, v102
	v_ashrrev_i32_e32 v91, 31, v90
	v_lshl_add_u64 v[90:91], v[90:91], 2, v[20:21]
	global_load_dwordx2 v[90:91], v[90:91], off
.LBB118_60:                             ;   in Loop: Header=BB118_33 Depth=1
	s_waitcnt vmcnt(0)
	v_cvt_f16_f32_e32 v22, v90
	v_cvt_f16_f32_e32 v90, v91
	s_andn2_b64 vcc, exec, s[22:23]
	v_mov_b32_e32 v92, 0
	v_mov_b32_e32 v93, 0
	v_pack_b32_f16 v22, v22, v90
	v_mov_b32_e32 v90, 0
	ds_write_b32 v100, v22 offset:2176
	s_cbranch_vccnz .LBB118_63
; %bb.61:                               ;   in Loop: Header=BB118_33 Depth=1
	ds_read_b32 v22, v99 offset:36
	v_mov_b32_e32 v93, 0
	v_mov_b32_e32 v92, 0
	s_waitcnt lgkmcnt(0)
	v_cmp_gt_i32_e32 vcc, 0, v22
	s_cbranch_vccnz .LBB118_63
; %bb.62:                               ;   in Loop: Header=BB118_33 Depth=1
	v_mul_lo_u32 v22, v22, s49
	v_readlane_b32 vcc_lo, v109, 23
	s_nop 1
	v_add_u32_e32 v22, vcc_lo, v22
	v_add_u32_e32 v92, v22, v102
	v_ashrrev_i32_e32 v93, 31, v92
	v_lshl_add_u64 v[92:93], v[92:93], 2, v[20:21]
	global_load_dwordx2 v[92:93], v[92:93], off
.LBB118_63:                             ;   in Loop: Header=BB118_33 Depth=1
	s_waitcnt vmcnt(0)
	v_cvt_f16_f32_e32 v22, v92
	v_cvt_f16_f32_e32 v91, v93
	s_andn2_b64 vcc, exec, s[24:25]
	v_pack_b32_f16 v22, v22, v91
	v_mov_b32_e32 v91, 0
	ds_write_b32 v100, v22 offset:2440
	s_cbranch_vccnz .LBB118_66
; %bb.64:                               ;   in Loop: Header=BB118_33 Depth=1
	ds_read_b32 v22, v99 offset:40
	v_mov_b32_e32 v91, 0
	v_mov_b32_e32 v90, 0
	s_waitcnt lgkmcnt(0)
	v_cmp_gt_i32_e32 vcc, 0, v22
	s_cbranch_vccnz .LBB118_66
; %bb.65:                               ;   in Loop: Header=BB118_33 Depth=1
	v_mul_lo_u32 v22, v22, s49
	v_readlane_b32 vcc_lo, v109, 22
	s_nop 1
	v_add_u32_e32 v22, vcc_lo, v22
	v_add_u32_e32 v90, v22, v102
	v_ashrrev_i32_e32 v91, 31, v90
	v_lshl_add_u64 v[90:91], v[90:91], 2, v[20:21]
	global_load_dwordx2 v[90:91], v[90:91], off
.LBB118_66:                             ;   in Loop: Header=BB118_33 Depth=1
	s_waitcnt vmcnt(0)
	v_cvt_f16_f32_e32 v22, v90
	v_cvt_f16_f32_e32 v90, v91
	s_andn2_b64 vcc, exec, s[26:27]
	v_mov_b32_e32 v92, 0
	v_mov_b32_e32 v93, 0
	v_pack_b32_f16 v22, v22, v90
	v_mov_b32_e32 v90, 0
	ds_write_b32 v100, v22 offset:2704
	s_cbranch_vccnz .LBB118_69
; %bb.67:                               ;   in Loop: Header=BB118_33 Depth=1
	ds_read_b32 v22, v99 offset:44
	v_mov_b32_e32 v93, 0
	v_mov_b32_e32 v92, 0
	s_waitcnt lgkmcnt(0)
	v_cmp_gt_i32_e32 vcc, 0, v22
	s_cbranch_vccnz .LBB118_69
; %bb.68:                               ;   in Loop: Header=BB118_33 Depth=1
	v_mul_lo_u32 v22, v22, s49
	v_readlane_b32 vcc_lo, v109, 21
	s_nop 1
	v_add_u32_e32 v22, vcc_lo, v22
	v_add_u32_e32 v92, v22, v102
	v_ashrrev_i32_e32 v93, 31, v92
	v_lshl_add_u64 v[92:93], v[92:93], 2, v[20:21]
	global_load_dwordx2 v[92:93], v[92:93], off
.LBB118_69:                             ;   in Loop: Header=BB118_33 Depth=1
	s_waitcnt vmcnt(0)
	v_cvt_f16_f32_e32 v22, v92
	v_cvt_f16_f32_e32 v91, v93
	s_andn2_b64 vcc, exec, s[28:29]
	v_pack_b32_f16 v22, v22, v91
	v_mov_b32_e32 v91, 0
	ds_write_b32 v100, v22 offset:2968
	s_cbranch_vccnz .LBB118_72
; %bb.70:                               ;   in Loop: Header=BB118_33 Depth=1
	ds_read_b32 v22, v99 offset:48
	v_mov_b32_e32 v91, 0
	v_mov_b32_e32 v90, 0
	s_waitcnt lgkmcnt(0)
	v_cmp_gt_i32_e32 vcc, 0, v22
	s_cbranch_vccnz .LBB118_72
; %bb.71:                               ;   in Loop: Header=BB118_33 Depth=1
	v_mul_lo_u32 v22, v22, s49
	v_readlane_b32 vcc_lo, v109, 20
	s_nop 1
	v_add_u32_e32 v22, vcc_lo, v22
	v_add_u32_e32 v90, v22, v102
	v_ashrrev_i32_e32 v91, 31, v90
	v_lshl_add_u64 v[90:91], v[90:91], 2, v[20:21]
	global_load_dwordx2 v[90:91], v[90:91], off
.LBB118_72:                             ;   in Loop: Header=BB118_33 Depth=1
	s_waitcnt vmcnt(0)
	v_cvt_f16_f32_e32 v22, v90
	v_cvt_f16_f32_e32 v90, v91
	s_andn2_b64 vcc, exec, s[30:31]
	v_mov_b32_e32 v91, 0
	v_pack_b32_f16 v22, v22, v90
	v_mov_b32_e32 v90, 0
	ds_write_b32 v100, v22 offset:3232
	s_cbranch_vccnz .LBB118_32
; %bb.73:                               ;   in Loop: Header=BB118_33 Depth=1
	ds_read_b32 v22, v99 offset:52
	v_mov_b32_e32 v91, 0
	v_mov_b32_e32 v90, 0
	s_waitcnt lgkmcnt(0)
	v_cmp_gt_i32_e32 vcc, 0, v22
	s_cbranch_vccnz .LBB118_32
; %bb.74:                               ;   in Loop: Header=BB118_33 Depth=1
	v_mul_lo_u32 v22, v22, s49
	v_readlane_b32 vcc_lo, v109, 19
	s_nop 1
	v_add_u32_e32 v22, vcc_lo, v22
	v_add_u32_e32 v90, v22, v102
	v_ashrrev_i32_e32 v91, 31, v90
	v_lshl_add_u64 v[90:91], v[90:91], 2, v[20:21]
	global_load_dwordx2 v[90:91], v[90:91], off
	s_branch .LBB118_32
.LBB118_75:
	s_or_b64 exec, exec, s[42:43]
	v_readlane_b32 s24, v109, 6
	v_readlane_b32 s28, v109, 10
	;; [unrolled: 1-line block ×8, first 2 shown]
.LBB118_76:
	s_waitcnt lgkmcnt(0)
	v_readlane_b32 s0, v109, 4
	v_readlane_b32 s1, v109, 5
	s_or_b64 exec, exec, s[0:1]
	v_mul_u32_u24_e32 v18, 0x708, v97
	s_movk_i32 s1, 0x100
	v_lshlrev_b32_e32 v19, 2, v96
	v_add3_u32 v18, s1, v18, v19
	v_and_b32_e32 v20, 0x3f0, v16
	v_add_u32_e32 v21, v18, v20
	s_barrier
	v_add_u32_e32 v19, 64, v18
	ds_write2_b32 v21, v8, v9 offset0:16 offset1:17
	v_or_b32_e32 v9, 12, v16
	v_add_u32_e32 v8, v19, v20
	v_and_b32_e32 v9, 0x3fc, v9
	ds_write_b32 v8, v10 offset:8
	v_add_u32_e32 v10, v18, v9
	ds_write_b32 v10, v11 offset:64
	ds_write2_b32 v8, v4, v5 offset0:16 offset1:17
	ds_write_b32 v8, v6 offset:72
	v_add_u32_e32 v4, v19, v9
	ds_write_b32 v4, v7 offset:64
	ds_write2_b32 v8, v0, v1 offset0:32 offset1:33
	ds_write_b32 v8, v2 offset:136
	ds_write_b32 v4, v3 offset:128
	ds_write2_b32 v8, v12, v13 offset0:48 offset1:49
	ds_write_b32 v8, v14 offset:200
	ds_write_b32 v4, v15 offset:192
	v_mov_b32_e32 v0, 0x100
	s_movk_i32 s0, 0x708
	v_lshl_add_u32 v9, v16, 2, v0
	v_mad_u32_u24 v1, v17, s0, v9
	v_add_u32_e32 v4, 64, v1
	s_waitcnt lgkmcnt(0)
	s_barrier
	ds_read2_b32 v[6:7], v1 offset0:16 offset1:80
	ds_read2_b32 v[2:3], v1 offset0:144 offset1:208
	ds_read2st64_b32 v[4:5], v4 offset0:4 offset1:5
	ds_read_b32 v10, v1 offset:1600
	v_cmp_gt_u32_e32 vcc, 14, v17
	v_mov_b32_e32 v11, -1
	s_and_saveexec_b64 s[0:1], vcc
	s_cbranch_execz .LBB118_78
; %bb.77:
	v_lshl_add_u32 v0, v17, 2, v0
	ds_read_b32 v11, v0
.LBB118_78:
	s_or_b64 exec, exec, s[0:1]
	s_mul_hi_i32 s1, s30, s4
	s_mul_i32 s0, s30, s4
	s_lshl_b64 s[0:1], s[0:1], 2
	v_readlane_b32 s2, v109, 2
	v_mul_hi_i32 v1, v94, s45
	v_mul_lo_u32 v0, v94, s45
	v_readlane_b32 s3, v109, 3
	s_add_u32 s0, s2, s0
	s_addc_u32 s1, s3, s1
	v_lshlrev_b64 v[0:1], 2, v[0:1]
	s_waitcnt lgkmcnt(0)
	v_cmp_lt_i32_e32 vcc, -1, v11
	v_mul_u32_u24_e32 v12, 0x708, v17
	v_add_u32_e32 v8, s6, v16
	v_lshl_add_u64 v[0:1], s[0:1], 0, v[0:1]
	s_and_b64 s[2:3], vcc, s[24:25]
	s_and_saveexec_b64 s[0:1], s[2:3]
	s_cbranch_execz .LBB118_80
; %bb.79:
	v_add_f32_e32 v6, 0, v6
	v_add_f32_e32 v6, v6, v7
	;; [unrolled: 1-line block ×7, first 2 shown]
	v_mul_lo_u32 v2, v11, s50
	v_mul_lo_u32 v3, v17, s45
	v_add3_u32 v2, v8, v3, v2
	v_mov_b32_e32 v3, 0
	v_lshl_add_u64 v[2:3], v[2:3], 2, v[0:1]
	global_store_dword v[2:3], v4, off
.LBB118_80:
	s_or_b64 exec, exec, s[0:1]
	v_add_u32_e32 v9, v12, v9
	v_add_u32_e32 v2, 0x78, v9
	ds_read2st64_b32 v[6:7], v2 offset0:49 offset1:50
	ds_read2st64_b32 v[4:5], v2 offset0:51 offset1:52
	;; [unrolled: 1-line block ×3, first 2 shown]
	ds_read_b32 v9, v9 offset:14200
	v_cmp_gt_u32_e32 vcc, 7, v17
	v_mov_b32_e32 v10, -1
	s_and_saveexec_b64 s[0:1], vcc
	s_cbranch_execz .LBB118_82
; %bb.81:
	v_mov_b32_e32 v10, 0x100
	v_lshl_add_u32 v10, v17, 2, v10
	ds_read_b32 v10, v10 offset:28
.LBB118_82:
	s_or_b64 exec, exec, s[0:1]
	v_readlane_b32 s0, v109, 0
	s_waitcnt lgkmcnt(0)
	v_cmp_lt_i32_e32 vcc, -1, v10
	v_readlane_b32 s1, v109, 1
	s_and_b64 s[0:1], vcc, s[0:1]
	s_and_saveexec_b64 s[2:3], s[0:1]
	s_cbranch_execz .LBB118_84
; %bb.83:
	v_add_f32_e32 v6, 0, v6
	v_add_f32_e32 v6, v6, v7
	;; [unrolled: 1-line block ×7, first 2 shown]
	v_mul_lo_u32 v2, v10, s50
	v_mul_lo_u32 v3, v95, s45
	v_add3_u32 v2, v8, v3, v2
	v_mov_b32_e32 v3, 0
	v_lshl_add_u64 v[0:1], v[2:3], 2, v[0:1]
	global_store_dword v[0:1], v4, off
.LBB118_84:
	s_endpgm
	.section	.rodata,"a",@progbits
	.p2align	6, 0x0
	.amdhsa_kernel _ZL9mul_mat_fI7__half2Li64ELi14ELi7ELb1EEvPKT_PKfPKiPfiiiiiiiiiiiiiiii
		.amdhsa_group_segment_fixed_size 256
		.amdhsa_private_segment_fixed_size 0
		.amdhsa_kernarg_size 352
		.amdhsa_user_sgpr_count 2
		.amdhsa_user_sgpr_dispatch_ptr 0
		.amdhsa_user_sgpr_queue_ptr 0
		.amdhsa_user_sgpr_kernarg_segment_ptr 1
		.amdhsa_user_sgpr_dispatch_id 0
		.amdhsa_user_sgpr_kernarg_preload_length 0
		.amdhsa_user_sgpr_kernarg_preload_offset 0
		.amdhsa_user_sgpr_private_segment_size 0
		.amdhsa_uses_dynamic_stack 0
		.amdhsa_enable_private_segment 0
		.amdhsa_system_sgpr_workgroup_id_x 1
		.amdhsa_system_sgpr_workgroup_id_y 1
		.amdhsa_system_sgpr_workgroup_id_z 1
		.amdhsa_system_sgpr_workgroup_info 0
		.amdhsa_system_vgpr_workitem_id 2
		.amdhsa_next_free_vgpr 110
		.amdhsa_next_free_sgpr 100
		.amdhsa_accum_offset 112
		.amdhsa_reserve_vcc 1
		.amdhsa_float_round_mode_32 0
		.amdhsa_float_round_mode_16_64 0
		.amdhsa_float_denorm_mode_32 3
		.amdhsa_float_denorm_mode_16_64 3
		.amdhsa_dx10_clamp 1
		.amdhsa_ieee_mode 1
		.amdhsa_fp16_overflow 0
		.amdhsa_tg_split 0
		.amdhsa_exception_fp_ieee_invalid_op 0
		.amdhsa_exception_fp_denorm_src 0
		.amdhsa_exception_fp_ieee_div_zero 0
		.amdhsa_exception_fp_ieee_overflow 0
		.amdhsa_exception_fp_ieee_underflow 0
		.amdhsa_exception_fp_ieee_inexact 0
		.amdhsa_exception_int_div_zero 0
	.end_amdhsa_kernel
	.section	.text._ZL9mul_mat_fI7__half2Li64ELi14ELi7ELb1EEvPKT_PKfPKiPfiiiiiiiiiiiiiiii,"axG",@progbits,_ZL9mul_mat_fI7__half2Li64ELi14ELi7ELb1EEvPKT_PKfPKiPfiiiiiiiiiiiiiiii,comdat
.Lfunc_end118:
	.size	_ZL9mul_mat_fI7__half2Li64ELi14ELi7ELb1EEvPKT_PKfPKiPfiiiiiiiiiiiiiiii, .Lfunc_end118-_ZL9mul_mat_fI7__half2Li64ELi14ELi7ELb1EEvPKT_PKfPKiPfiiiiiiiiiiiiiiii
                                        ; -- End function
	.section	.AMDGPU.csdata,"",@progbits
; Kernel info:
; codeLenInByte = 7892
; NumSgprs: 106
; NumVgprs: 110
; NumAgprs: 0
; TotalNumVgprs: 110
; ScratchSize: 0
; MemoryBound: 0
; FloatMode: 240
; IeeeMode: 1
; LDSByteSize: 256 bytes/workgroup (compile time only)
; SGPRBlocks: 13
; VGPRBlocks: 13
; NumSGPRsForWavesPerEU: 106
; NumVGPRsForWavesPerEU: 110
; AccumOffset: 112
; Occupancy: 4
; WaveLimiterHint : 0
; COMPUTE_PGM_RSRC2:SCRATCH_EN: 0
; COMPUTE_PGM_RSRC2:USER_SGPR: 2
; COMPUTE_PGM_RSRC2:TRAP_HANDLER: 0
; COMPUTE_PGM_RSRC2:TGID_X_EN: 1
; COMPUTE_PGM_RSRC2:TGID_Y_EN: 1
; COMPUTE_PGM_RSRC2:TGID_Z_EN: 1
; COMPUTE_PGM_RSRC2:TIDIG_COMP_CNT: 2
; COMPUTE_PGM_RSRC3_GFX90A:ACCUM_OFFSET: 27
; COMPUTE_PGM_RSRC3_GFX90A:TG_SPLIT: 0
	.section	.text._ZL9mul_mat_fI7__half2Li64ELi14ELi7ELb0EEvPKT_PKfPKiPfiiiiiiiiiiiiiiii,"axG",@progbits,_ZL9mul_mat_fI7__half2Li64ELi14ELi7ELb0EEvPKT_PKfPKiPfiiiiiiiiiiiiiiii,comdat
	.globl	_ZL9mul_mat_fI7__half2Li64ELi14ELi7ELb0EEvPKT_PKfPKiPfiiiiiiiiiiiiiiii ; -- Begin function _ZL9mul_mat_fI7__half2Li64ELi14ELi7ELb0EEvPKT_PKfPKiPfiiiiiiiiiiiiiiii
	.p2align	8
	.type	_ZL9mul_mat_fI7__half2Li64ELi14ELi7ELb0EEvPKT_PKfPKiPfiiiiiiiiiiiiiiii,@function
_ZL9mul_mat_fI7__half2Li64ELi14ELi7ELb0EEvPKT_PKfPKiPfiiiiiiiiiiiiiiii: ; @_ZL9mul_mat_fI7__half2Li64ELi14ELi7ELb0EEvPKT_PKfPKiPfiiiiiiiiiiiiiiii
; %bb.0:
	s_load_dword s5, s[0:1], 0x20
	s_load_dwordx4 s[16:19], s[0:1], 0x2c
	v_bfe_u32 v26, v0, 10, 10
	v_lshlrev_b32_e32 v28, 6, v26
	v_and_b32_e32 v27, 0x3ff, v0
	v_add_u32_e32 v30, v28, v27
	s_mov_b32 s20, 0
	s_waitcnt lgkmcnt(0)
	s_ashr_i32 s19, s4, 31
	v_cmp_le_i32_e32 vcc, s5, v30
	v_and_b32_e32 v29, 15, v27
	s_and_saveexec_b64 s[6:7], vcc
	s_xor_b64 s[6:7], exec, s[6:7]
; %bb.1:
	v_and_b32_e32 v29, 15, v27
                                        ; implicit-def: $vgpr30
; %bb.2:
	s_or_saveexec_b64 s[24:25], s[6:7]
	s_load_dwordx8 s[8:15], s[0:1], 0x40
	s_load_dwordx2 s[6:7], s[0:1], 0x18
	s_lshl_b32 s2, s2, 6
	v_mov_b32_e32 v15, s20
	v_lshlrev_b32_e32 v16, 2, v27
	v_mov_b32_e32 v14, s20
	v_mov_b32_e32 v13, s20
	;; [unrolled: 1-line block ×15, first 2 shown]
	s_xor_b64 exec, exec, s[24:25]
	s_cbranch_execz .LBB119_6
; %bb.3:
	s_waitcnt lgkmcnt(0)
	s_abs_i32 s26, s8
	v_cvt_f32_u32_e32 v0, s26
	s_abs_i32 s27, s12
	v_cvt_f32_u32_e32 v1, s27
	s_sub_i32 s20, 0, s26
	v_rcp_iflag_f32_e32 v0, v0
	s_abs_i32 s28, s3
	v_rcp_iflag_f32_e32 v1, v1
	s_sub_i32 s21, 0, s27
	v_mul_f32_e32 v0, 0x4f7ffffe, v0
	v_cvt_u32_f32_e32 v0, v0
	v_mul_f32_e32 v1, 0x4f7ffffe, v1
	v_cvt_u32_f32_e32 v1, v1
	s_abs_i32 s29, s4
	v_mul_lo_u32 v2, s20, v0
	v_mul_hi_u32 v2, v0, v2
	v_add_u32_e32 v0, v0, v2
	v_mul_hi_u32 v0, s28, v0
	v_mul_lo_u32 v3, s21, v1
	v_mul_lo_u32 v2, v0, s26
	v_mul_hi_u32 v3, v1, v3
	v_sub_u32_e32 v2, s28, v2
	v_add_u32_e32 v1, v1, v3
	v_add_u32_e32 v3, 1, v0
	v_subrev_u32_e32 v4, s26, v2
	v_cmp_le_u32_e32 vcc, s26, v2
	s_load_dwordx4 s[20:23], s[0:1], 0x0
	s_ashr_i32 s0, s3, 31
	v_cndmask_b32_e32 v0, v0, v3, vcc
	v_cndmask_b32_e32 v2, v2, v4, vcc
	s_ashr_i32 s1, s8, 31
	v_add_u32_e32 v3, 1, v0
	v_cmp_le_u32_e32 vcc, s26, v2
	s_xor_b32 s0, s0, s1
	v_mul_hi_u32 v1, s29, v1
	v_cndmask_b32_e32 v0, v0, v3, vcc
	v_xor_b32_e32 v0, s0, v0
	v_subrev_u32_e32 v2, s0, v0
	v_mul_lo_u32 v0, v1, s27
	v_sub_u32_e32 v0, s29, v0
	v_add_u32_e32 v3, 1, v1
	v_subrev_u32_e32 v4, s27, v0
	v_cmp_le_u32_e32 vcc, s27, v0
	s_ashr_i32 s8, s12, 31
	s_xor_b32 s0, s19, s8
	v_cndmask_b32_e32 v1, v1, v3, vcc
	v_cndmask_b32_e32 v0, v0, v4, vcc
	v_add_u32_e32 v3, 1, v1
	v_cmp_le_u32_e32 vcc, s27, v0
	v_mul_lo_u32 v2, v2, s9
	s_mul_i32 s12, s3, s10
	v_cndmask_b32_e32 v0, v1, v3, vcc
	v_xor_b32_e32 v0, s0, v0
	v_subrev_u32_e32 v0, s0, v0
	s_mul_i32 s0, s2, s16
	v_ashrrev_i32_e32 v3, 31, v2
	s_ashr_i32 s1, s0, 31
	v_mul_hi_i32 v1, v0, s13
	v_mul_lo_u32 v0, v0, s13
	s_lshl_b64 s[0:1], s[0:1], 2
	v_lshlrev_b64 v[2:3], 2, v[2:3]
	v_lshlrev_b64 v[0:1], 2, v[0:1]
	s_mul_hi_i32 s9, s14, s4
	s_mul_i32 s8, s14, s4
	v_lshl_add_u64 v[2:3], v[2:3], 0, s[0:1]
	s_ashr_i32 s13, s12, 31
	s_waitcnt lgkmcnt(0)
	v_lshl_add_u64 v[4:5], s[20:21], 0, v[0:1]
	s_lshl_b64 s[26:27], s[8:9], 2
	s_lshl_b64 s[0:1], s[12:13], 2
	v_mov_b32_e32 v21, 0
	v_lshlrev_b32_e32 v20, 8, v26
	v_lshl_add_u64 v[0:1], v[2:3], 0, v[0:1]
	s_add_u32 s22, s22, s0
	v_lshl_add_u64 v[0:1], v[0:1], 0, v[20:21]
	v_mov_b32_e32 v17, v21
	s_addc_u32 s23, s23, s1
	v_lshl_add_u64 v[0:1], v[0:1], 0, v[16:17]
	v_lshlrev_b32_e32 v20, 9, v26
	s_add_u32 s0, s22, s26
	s_movk_i32 s8, 0x1080
	v_lshrrev_b32_e32 v6, 1, v27
	v_lshl_add_u64 v[22:23], s[20:21], 0, v[0:1]
	v_lshl_add_u64 v[0:1], s[26:27], 0, v[20:21]
	v_lshlrev_b32_e32 v20, 3, v27
	v_lshl_add_u64 v[18:19], v[2:3], 0, v[4:5]
	s_addc_u32 s1, s23, s27
	v_mad_u32_u24 v4, v26, s8, 0
	v_mul_u32_u24_e32 v5, 0x108, v29
	v_and_b32_e32 v6, 0x1f8, v6
	s_ashr_i32 s9, s16, 31
	s_mov_b32 s8, s16
	s_ashr_i32 s13, s17, 31
	s_mov_b32 s12, s17
	v_lshl_add_u64 v[0:1], v[0:1], 0, v[20:21]
	v_add_u32_e32 v31, v4, v16
	v_add3_u32 v32, v4, v5, v6
	s_lshl_b64 s[8:9], s[8:9], 2
	s_lshl_b64 s[12:13], s[12:13], 3
	v_lshl_add_u64 v[24:25], s[22:23], 0, v[0:1]
	s_mul_i32 s10, s16, 63
	s_lshl_b32 s14, s17, 1
	s_mul_i32 s19, s17, 3
	s_lshl_b32 s26, s17, 2
	s_mul_i32 s27, s17, 5
	s_mul_i32 s28, s17, 6
	;; [unrolled: 1-line block ×3, first 2 shown]
	s_lshl_b32 s30, s17, 3
	s_mul_i32 s31, s17, 9
	s_mul_i32 s33, s17, 10
	;; [unrolled: 1-line block ×5, first 2 shown]
	s_lshl_b32 s37, s16, 1
	s_mul_i32 s38, s16, 3
	s_lshl_b32 s39, s16, 2
	s_mul_i32 s40, s16, 5
	s_mul_i32 s41, s16, 6
	s_mul_i32 s42, s16, 7
	s_lshl_b32 s43, s16, 3
	s_mul_i32 s44, s16, 9
	s_mul_i32 s45, s16, 10
	;; [unrolled: 1-line block ×7, first 2 shown]
	s_lshl_b32 s51, s16, 4
	s_mul_i32 s52, s16, 17
	s_mul_i32 s53, s16, 18
	;; [unrolled: 1-line block ×15, first 2 shown]
	s_lshl_b32 s67, s16, 5
	s_mul_i32 s68, s16, 33
	s_mul_i32 s69, s16, 34
	;; [unrolled: 1-line block ×27, first 2 shown]
	v_mov_b32_e32 v0, 0
	v_mov_b32_e32 v1, v21
	;; [unrolled: 1-line block ×16, first 2 shown]
	s_mul_i32 s95, s16, 60
	s_mul_i32 s96, s16, 61
	;; [unrolled: 1-line block ×3, first 2 shown]
	s_mov_b64 s[16:17], 0
	s_mov_b64 s[20:21], 0x700
	;; [unrolled: 1-line block ×3, first 2 shown]
.LBB119_4:                              ; =>This Inner Loop Header: Depth=1
	v_add_u32_e32 v36, s37, v30
	v_add_u32_e32 v38, s38, v30
	v_lshl_add_u64 v[34:35], v[22:23], 0, s[8:9]
	v_add_u32_e32 v40, s39, v30
	v_add_u32_e32 v42, s40, v30
	v_ashrrev_i32_e32 v37, 31, v36
	v_ashrrev_i32_e32 v39, 31, v38
	v_add_u32_e32 v44, s41, v30
	v_add_u32_e32 v46, s42, v30
	global_load_dword v55, v[34:35], off
	v_lshl_add_u64 v[34:35], v[36:37], 2, v[18:19]
	v_lshl_add_u64 v[36:37], v[38:39], 2, v[18:19]
	v_ashrrev_i32_e32 v41, 31, v40
	v_ashrrev_i32_e32 v43, 31, v42
	v_add_u32_e32 v48, s43, v30
	v_add_u32_e32 v50, s44, v30
	global_load_dword v53, v[34:35], off
	global_load_dword v54, v[36:37], off
	v_lshl_add_u64 v[34:35], v[40:41], 2, v[18:19]
	v_lshl_add_u64 v[36:37], v[42:43], 2, v[18:19]
	v_ashrrev_i32_e32 v45, 31, v44
	v_ashrrev_i32_e32 v47, 31, v46
	v_add_u32_e32 v56, s45, v30
	v_add_u32_e32 v62, s46, v30
	global_load_dword v58, v[34:35], off
	;; [unrolled: 8-line block ×6, first 2 shown]
	global_load_dword v71, v[36:37], off
	v_lshl_add_u64 v[34:35], v[74:75], 2, v[18:19]
	v_lshl_add_u64 v[36:37], v[76:77], 2, v[18:19]
	v_ashrrev_i32_e32 v79, 31, v78
	v_ashrrev_i32_e32 v81, 31, v80
	v_add_u32_e32 v86, s55, v30
	v_add_u32_e32 v38, s57, v30
	;; [unrolled: 1-line block ×3, first 2 shown]
	global_load_dword v74, v[34:35], off
	global_load_dword v75, v[36:37], off
	v_lshl_add_u64 v[34:35], v[78:79], 2, v[18:19]
	v_lshl_add_u64 v[36:37], v[80:81], 2, v[18:19]
	v_ashrrev_i32_e32 v83, 31, v82
	v_ashrrev_i32_e32 v85, 31, v84
	v_add_u32_e32 v88, s56, v30
	v_add_u32_e32 v42, s59, v30
	;; [unrolled: 1-line block ×3, first 2 shown]
	global_load_dword v17, v[34:35], off
	global_load_dword v20, v[36:37], off
	v_lshl_add_u64 v[34:35], v[82:83], 2, v[18:19]
	v_lshl_add_u64 v[36:37], v[84:85], 2, v[18:19]
	v_ashrrev_i32_e32 v87, 31, v86
	v_ashrrev_i32_e32 v39, 31, v38
	;; [unrolled: 1-line block ×3, first 2 shown]
	v_add_u32_e32 v46, s61, v30
	v_add_u32_e32 v48, s62, v30
	global_load_dword v33, v[34:35], off
	s_nop 0
	global_load_dword v34, v[36:37], off
	v_ashrrev_i32_e32 v89, 31, v88
	v_lshl_add_u64 v[36:37], v[86:87], 2, v[18:19]
	v_lshl_add_u64 v[38:39], v[38:39], 2, v[18:19]
	;; [unrolled: 1-line block ×3, first 2 shown]
	v_ashrrev_i32_e32 v43, 31, v42
	v_ashrrev_i32_e32 v45, 31, v44
	v_add_u32_e32 v50, s63, v30
	v_add_u32_e32 v56, s64, v30
	v_lshl_add_u64 v[72:73], v[88:89], 2, v[18:19]
	global_load_dword v35, v[36:37], off
	s_nop 0
	global_load_dword v36, v[72:73], off
	global_load_dword v37, v[38:39], off
	s_nop 0
	global_load_dword v38, v[40:41], off
	v_lshl_add_u64 v[40:41], v[42:43], 2, v[18:19]
	v_lshl_add_u64 v[42:43], v[44:45], 2, v[18:19]
	v_ashrrev_i32_e32 v47, 31, v46
	v_ashrrev_i32_e32 v49, 31, v48
	v_add_u32_e32 v62, s65, v30
	v_add_u32_e32 v72, s66, v30
	global_load_dword v39, v[40:41], off
	s_nop 0
	global_load_dword v40, v[42:43], off
	v_lshl_add_u64 v[42:43], v[46:47], 2, v[18:19]
	v_lshl_add_u64 v[44:45], v[48:49], 2, v[18:19]
	v_ashrrev_i32_e32 v51, 31, v50
	v_ashrrev_i32_e32 v57, 31, v56
	v_add_u32_e32 v76, s67, v30
	v_add_u32_e32 v78, s68, v30
	global_load_dword v41, v[42:43], off
	s_nop 0
	global_load_dword v42, v[44:45], off
	v_lshl_add_u64 v[44:45], v[50:51], 2, v[18:19]
	v_lshl_add_u64 v[46:47], v[56:57], 2, v[18:19]
	v_ashrrev_i32_e32 v63, 31, v62
	v_ashrrev_i32_e32 v73, 31, v72
	global_load_dword v43, v[44:45], off
	s_nop 0
	global_load_dword v44, v[46:47], off
	v_lshl_add_u64 v[46:47], v[62:63], 2, v[18:19]
	v_lshl_add_u64 v[48:49], v[72:73], 2, v[18:19]
	v_ashrrev_i32_e32 v77, 31, v76
	v_ashrrev_i32_e32 v79, 31, v78
	v_add_u32_e32 v80, s69, v30
	v_add_u32_e32 v50, s70, v30
	global_load_dword v45, v[46:47], off
	s_nop 0
	global_load_dword v46, v[48:49], off
	v_add_u32_e32 v56, s71, v30
	v_lshl_add_u64 v[48:49], v[76:77], 2, v[18:19]
	v_lshl_add_u64 v[62:63], v[78:79], 2, v[18:19]
	global_load_dword v47, v[48:49], off
	s_nop 0
	global_load_dword v48, v[62:63], off
	v_add_u32_e32 v62, s72, v30
	v_ashrrev_i32_e32 v81, 31, v80
	v_ashrrev_i32_e32 v51, 31, v50
	;; [unrolled: 1-line block ×3, first 2 shown]
	v_lshl_add_u64 v[72:73], v[80:81], 2, v[18:19]
	v_lshl_add_u64 v[50:51], v[50:51], 2, v[18:19]
	v_ashrrev_i32_e32 v63, 31, v62
	v_lshl_add_u64 v[56:57], v[56:57], 2, v[18:19]
	global_load_dword v49, v[72:73], off
	s_nop 0
	global_load_dword v50, v[50:51], off
	v_add_u32_e32 v72, s73, v30
	v_lshl_add_u64 v[62:63], v[62:63], 2, v[18:19]
	global_load_dword v51, v[56:57], off
	global_load_dword v52, v[62:63], off
	v_add_u32_e32 v56, s74, v30
	v_ashrrev_i32_e32 v73, 31, v72
	v_ashrrev_i32_e32 v57, 31, v56
	v_lshl_add_u64 v[62:63], v[72:73], 2, v[18:19]
	v_lshl_add_u64 v[72:73], v[56:57], 2, v[18:19]
	global_load_dword v56, v[62:63], off
	global_load_dword v57, v[72:73], off
	v_add_u32_e32 v62, s75, v30
	v_add_u32_e32 v72, s76, v30
	v_ashrrev_i32_e32 v63, 31, v62
	v_ashrrev_i32_e32 v73, 31, v72
	v_lshl_add_u64 v[62:63], v[62:63], 2, v[18:19]
	v_lshl_add_u64 v[72:73], v[72:73], 2, v[18:19]
	global_load_dword v62, v[62:63], off
	v_add_u32_e32 v76, s80, v30
	global_load_dword v63, v[72:73], off
	v_add_u32_e32 v72, s77, v30
	v_ashrrev_i32_e32 v73, 31, v72
	v_lshl_add_u64 v[72:73], v[72:73], 2, v[18:19]
	global_load_dword v66, v[72:73], off
	v_add_u32_e32 v72, s78, v30
	v_ashrrev_i32_e32 v73, 31, v72
	v_lshl_add_u64 v[72:73], v[72:73], 2, v[18:19]
	global_load_dword v69, v[72:73], off
	v_add_u32_e32 v72, s79, v30
	v_ashrrev_i32_e32 v73, 31, v72
	v_ashrrev_i32_e32 v77, 31, v76
	v_lshl_add_u64 v[72:73], v[72:73], 2, v[18:19]
	v_lshl_add_u64 v[76:77], v[76:77], 2, v[18:19]
	global_load_dword v72, v[72:73], off
	v_add_u32_e32 v78, s82, v30
	global_load_dword v73, v[76:77], off
	v_add_u32_e32 v76, s81, v30
	v_ashrrev_i32_e32 v77, 31, v76
	v_ashrrev_i32_e32 v79, 31, v78
	v_lshl_add_u64 v[76:77], v[76:77], 2, v[18:19]
	v_lshl_add_u64 v[78:79], v[78:79], 2, v[18:19]
	global_load_dword v76, v[76:77], off
	v_add_u32_e32 v80, s84, v30
	global_load_dword v77, v[78:79], off
	v_add_u32_e32 v78, s83, v30
	v_ashrrev_i32_e32 v79, 31, v78
	v_ashrrev_i32_e32 v81, 31, v80
	v_lshl_add_u64 v[78:79], v[78:79], 2, v[18:19]
	v_lshl_add_u64 v[80:81], v[80:81], 2, v[18:19]
	global_load_dword v78, v[78:79], off
	v_add_u32_e32 v82, s86, v30
	global_load_dword v79, v[80:81], off
	v_add_u32_e32 v80, s85, v30
	v_ashrrev_i32_e32 v81, 31, v80
	v_ashrrev_i32_e32 v83, 31, v82
	v_lshl_add_u64 v[80:81], v[80:81], 2, v[18:19]
	v_lshl_add_u64 v[82:83], v[82:83], 2, v[18:19]
	global_load_dword v80, v[80:81], off
	v_add_u32_e32 v84, s88, v30
	global_load_dword v81, v[82:83], off
	v_add_u32_e32 v82, s87, v30
	v_ashrrev_i32_e32 v83, 31, v82
	v_ashrrev_i32_e32 v85, 31, v84
	v_lshl_add_u64 v[82:83], v[82:83], 2, v[18:19]
	v_lshl_add_u64 v[84:85], v[84:85], 2, v[18:19]
	global_load_dword v82, v[82:83], off
	v_add_u32_e32 v86, s90, v30
	global_load_dword v83, v[84:85], off
	v_add_u32_e32 v84, s89, v30
	v_ashrrev_i32_e32 v85, 31, v84
	v_ashrrev_i32_e32 v87, 31, v86
	v_lshl_add_u64 v[84:85], v[84:85], 2, v[18:19]
	v_lshl_add_u64 v[86:87], v[86:87], 2, v[18:19]
	global_load_dword v84, v[84:85], off
	v_add_u32_e32 v88, s92, v30
	global_load_dword v85, v[86:87], off
	v_add_u32_e32 v86, s91, v30
	v_ashrrev_i32_e32 v87, 31, v86
	v_ashrrev_i32_e32 v89, 31, v88
	v_lshl_add_u64 v[86:87], v[86:87], 2, v[18:19]
	v_lshl_add_u64 v[88:89], v[88:89], 2, v[18:19]
	global_load_dword v86, v[86:87], off
	v_add_u32_e32 v90, s94, v30
	global_load_dword v87, v[88:89], off
	v_add_u32_e32 v88, s93, v30
	v_ashrrev_i32_e32 v89, 31, v88
	v_ashrrev_i32_e32 v91, 31, v90
	v_lshl_add_u64 v[88:89], v[88:89], 2, v[18:19]
	v_lshl_add_u64 v[90:91], v[90:91], 2, v[18:19]
	global_load_dword v88, v[88:89], off
	v_add_u32_e32 v92, s96, v30
	global_load_dword v89, v[90:91], off
	v_add_u32_e32 v90, s95, v30
	v_ashrrev_i32_e32 v91, 31, v90
	v_ashrrev_i32_e32 v93, 31, v92
	v_lshl_add_u64 v[90:91], v[90:91], 2, v[18:19]
	v_lshl_add_u64 v[92:93], v[92:93], 2, v[18:19]
	global_load_dword v90, v[90:91], off
	v_add_u32_e32 v94, s10, v30
	global_load_dword v91, v[92:93], off
	v_add_u32_e32 v92, s97, v30
	v_ashrrev_i32_e32 v93, 31, v92
	v_ashrrev_i32_e32 v95, 31, v94
	v_lshl_add_u64 v[92:93], v[92:93], 2, v[18:19]
	v_lshl_add_u64 v[94:95], v[94:95], 2, v[18:19]
	global_load_dword v92, v[92:93], off
	s_nop 0
	global_load_dword v93, v[94:95], off
	s_nop 0
	global_load_dword v94, v[22:23], off
	s_waitcnt vmcnt(62)
	ds_write_b32 v31, v55 offset:264
	v_lshl_add_u64 v[22:23], v[22:23], 0, s[20:21]
	s_waitcnt vmcnt(0)
	ds_write_b32 v31, v94
	global_load_dwordx2 v[94:95], v[24:25], off
	s_waitcnt vmcnt(0)
	v_cvt_f16_f32_e32 v98, v94
	v_cvt_f16_f32_e32 v99, v95
	v_lshl_add_u64 v[94:95], v[24:25], 0, s[12:13]
	global_load_dwordx2 v[94:95], v[94:95], off
	ds_write_b32 v31, v53 offset:528
	ds_write_b32 v31, v54 offset:792
	;; [unrolled: 1-line block ×14, first 2 shown]
	v_add_u32_e32 v54, s14, v30
	v_add_u32_e32 v58, s19, v30
	;; [unrolled: 1-line block ×4, first 2 shown]
	v_ashrrev_i32_e32 v55, 31, v54
	v_ashrrev_i32_e32 v59, 31, v58
	;; [unrolled: 1-line block ×4, first 2 shown]
	v_lshl_add_u64 v[54:55], v[54:55], 3, s[0:1]
	v_lshl_add_u64 v[58:59], v[58:59], 3, s[0:1]
	;; [unrolled: 1-line block ×4, first 2 shown]
	global_load_dwordx2 v[54:55], v[54:55], off
	s_nop 0
	global_load_dwordx2 v[58:59], v[58:59], off
	s_nop 0
	;; [unrolled: 2-line block ×3, first 2 shown]
	global_load_dwordx2 v[64:65], v[64:65], off
	v_lshl_add_u64 v[24:25], v[24:25], 0, s[22:23]
	s_waitcnt vmcnt(4)
	v_cvt_f16_f32_e32 v102, v94
	v_cvt_f16_f32_e32 v103, v95
	s_waitcnt vmcnt(3)
	v_cvt_f16_f32_e32 v104, v54
	s_waitcnt vmcnt(2)
	;; [unrolled: 2-line block ×4, first 2 shown]
	v_cvt_f16_f32_e32 v110, v64
	v_add_u32_e32 v54, s28, v30
	v_add_u32_e32 v58, s29, v30
	;; [unrolled: 1-line block ×4, first 2 shown]
	v_cvt_f16_f32_e32 v105, v55
	v_cvt_f16_f32_e32 v107, v59
	;; [unrolled: 1-line block ×4, first 2 shown]
	v_ashrrev_i32_e32 v55, 31, v54
	v_ashrrev_i32_e32 v59, 31, v58
	;; [unrolled: 1-line block ×4, first 2 shown]
	v_lshl_add_u64 v[54:55], v[54:55], 3, s[0:1]
	v_lshl_add_u64 v[58:59], v[58:59], 3, s[0:1]
	;; [unrolled: 1-line block ×4, first 2 shown]
	global_load_dwordx2 v[54:55], v[54:55], off
	s_nop 0
	global_load_dwordx2 v[58:59], v[58:59], off
	s_nop 0
	;; [unrolled: 2-line block ×3, first 2 shown]
	global_load_dwordx2 v[64:65], v[64:65], off
	s_waitcnt vmcnt(3)
	v_cvt_f16_f32_e32 v112, v54
	s_waitcnt vmcnt(2)
	v_cvt_f16_f32_e32 v114, v58
	;; [unrolled: 2-line block ×4, first 2 shown]
	v_add_u32_e32 v54, s33, v30
	v_add_u32_e32 v58, s34, v30
	;; [unrolled: 1-line block ×4, first 2 shown]
	v_cvt_f16_f32_e32 v113, v55
	v_cvt_f16_f32_e32 v115, v59
	;; [unrolled: 1-line block ×4, first 2 shown]
	v_ashrrev_i32_e32 v55, 31, v54
	v_ashrrev_i32_e32 v59, 31, v58
	;; [unrolled: 1-line block ×4, first 2 shown]
	v_lshl_add_u64 v[54:55], v[54:55], 3, s[0:1]
	v_lshl_add_u64 v[58:59], v[58:59], 3, s[0:1]
	;; [unrolled: 1-line block ×4, first 2 shown]
	global_load_dwordx2 v[54:55], v[54:55], off
	s_nop 0
	global_load_dwordx2 v[58:59], v[58:59], off
	s_nop 0
	;; [unrolled: 2-line block ×3, first 2 shown]
	global_load_dwordx2 v[64:65], v[64:65], off
	v_add_u32_e32 v30, 0x1c0, v30
	v_cmp_le_i32_e32 vcc, s5, v30
	s_or_b64 s[16:17], vcc, s[16:17]
	s_waitcnt vmcnt(3)
	v_cvt_f16_f32_e32 v120, v54
	v_cvt_f16_f32_e32 v121, v55
	s_waitcnt vmcnt(2)
	v_cvt_f16_f32_e32 v122, v58
	v_cvt_f16_f32_e32 v123, v59
	;; [unrolled: 3-line block ×4, first 2 shown]
	ds_read_b64 v[54:55], v32
	ds_read_b64 v[58:59], v32 offset:32
	ds_read_b64 v[60:61], v32 offset:64
	;; [unrolled: 1-line block ×7, first 2 shown]
	ds_write_b32 v31, v17
	ds_write_b32 v31, v20 offset:264
	ds_write_b32 v31, v33 offset:528
	;; [unrolled: 1-line block ×15, first 2 shown]
	v_pack_b32_f16 v17, v98, v99
	ds_read_b64 v[34:35], v32
	ds_read_b64 v[36:37], v32 offset:32
	ds_read_b64 v[38:39], v32 offset:64
	;; [unrolled: 1-line block ×7, first 2 shown]
	ds_write_b32 v31, v47
	ds_write_b32 v31, v48 offset:264
	ds_write_b32 v31, v49 offset:528
	;; [unrolled: 1-line block ×15, first 2 shown]
	ds_read_b64 v[46:47], v32
	ds_read_b64 v[48:49], v32 offset:32
	ds_read_b64 v[50:51], v32 offset:64
	ds_read_b64 v[52:53], v32 offset:96
	ds_read_b64 v[56:57], v32 offset:128
	ds_read_b64 v[62:63], v32 offset:160
	ds_read_b64 v[66:67], v32 offset:192
	ds_read_b64 v[68:69], v32 offset:224
	ds_write_b32 v31, v78
	ds_write_b32 v31, v79 offset:264
	ds_write_b32 v31, v80 offset:528
	;; [unrolled: 1-line block ×15, first 2 shown]
	v_pack_b32_f16 v20, v102, v103
	ds_read_b64 v[72:73], v32
	ds_read_b64 v[76:77], v32 offset:32
	ds_read_b64 v[78:79], v32 offset:64
	;; [unrolled: 1-line block ×7, first 2 shown]
	ds_write_b32 v31, v17
	ds_write_b32 v31, v20 offset:264
	v_pack_b32_f16 v17, v104, v105
	v_pack_b32_f16 v20, v106, v107
	;; [unrolled: 1-line block ×12, first 2 shown]
	ds_write_b32 v31, v17 offset:528
	ds_write_b32 v31, v20 offset:792
	;; [unrolled: 1-line block ×14, first 2 shown]
	ds_read_b64 v[90:91], v32
	ds_read_b64 v[92:93], v32 offset:32
	ds_read_b64 v[102:103], v32 offset:64
	;; [unrolled: 1-line block ×3, first 2 shown]
	s_waitcnt lgkmcnt(3)
	v_mfma_f32_16x16x16_f16 v[12:15], v[54:55], v[90:91], v[12:15]
	v_mfma_f32_16x16x16_f16 v[8:11], v[34:35], v[90:91], v[8:11]
	ds_read_b64 v[34:35], v32 offset:128
	v_mfma_f32_16x16x16_f16 v[4:7], v[46:47], v[90:91], v[4:7]
	v_mfma_f32_16x16x16_f16 v[0:3], v[72:73], v[90:91], v[0:3]
	s_waitcnt lgkmcnt(3)
	v_mfma_f32_16x16x16_f16 v[12:15], v[58:59], v[92:93], v[12:15]
	v_mfma_f32_16x16x16_f16 v[8:11], v[36:37], v[92:93], v[8:11]
	v_mfma_f32_16x16x16_f16 v[4:7], v[48:49], v[92:93], v[4:7]
	v_mfma_f32_16x16x16_f16 v[0:3], v[76:77], v[92:93], v[0:3]
	s_waitcnt lgkmcnt(2)
	v_mfma_f32_16x16x16_f16 v[12:15], v[60:61], v[102:103], v[12:15]
	v_mfma_f32_16x16x16_f16 v[8:11], v[38:39], v[102:103], v[8:11]
	;; [unrolled: 5-line block ×3, first 2 shown]
	ds_read_b64 v[36:37], v32 offset:160
	ds_read_b64 v[38:39], v32 offset:192
	;; [unrolled: 1-line block ×3, first 2 shown]
	v_mfma_f32_16x16x16_f16 v[4:7], v[52:53], v[104:105], v[4:7]
	v_mfma_f32_16x16x16_f16 v[0:3], v[80:81], v[104:105], v[0:3]
	s_waitcnt lgkmcnt(3)
	v_mfma_f32_16x16x16_f16 v[12:15], v[70:71], v[34:35], v[12:15]
	v_mfma_f32_16x16x16_f16 v[8:11], v[42:43], v[34:35], v[8:11]
	v_mfma_f32_16x16x16_f16 v[4:7], v[56:57], v[34:35], v[4:7]
	v_mfma_f32_16x16x16_f16 v[0:3], v[82:83], v[34:35], v[0:3]
	s_waitcnt lgkmcnt(2)
	v_mfma_f32_16x16x16_f16 v[12:15], v[74:75], v[36:37], v[12:15]
	v_mfma_f32_16x16x16_f16 v[8:11], v[44:45], v[36:37], v[8:11]
	;; [unrolled: 5-line block ×4, first 2 shown]
	v_mfma_f32_16x16x16_f16 v[4:7], v[68:69], v[40:41], v[4:7]
	v_mfma_f32_16x16x16_f16 v[0:3], v[88:89], v[40:41], v[0:3]
	s_andn2_b64 exec, exec, s[16:17]
	s_cbranch_execnz .LBB119_4
; %bb.5:
	s_or_b64 exec, exec, s[16:17]
.LBB119_6:
	s_or_b64 exec, exec, s[24:25]
	v_mul_u32_u24_e32 v17, 0x708, v29
	v_lshlrev_b32_e32 v18, 2, v28
	v_add3_u32 v17, 0, v17, v18
	v_and_b32_e32 v18, 0x3f0, v27
	v_add_u32_e32 v18, v17, v18
	s_waitcnt lgkmcnt(0)
	s_barrier
	ds_write2_b32 v18, v12, v13 offset1:1
	ds_write_b32 v18, v14 offset:8
	v_or_b32_e32 v12, 12, v27
	v_and_b32_e32 v12, 0x3fc, v12
	v_add_u32_e32 v12, v17, v12
	ds_write_b32 v12, v15
	ds_write2_b32 v18, v8, v9 offset0:16 offset1:17
	ds_write_b32 v18, v10 offset:72
	ds_write_b32 v12, v11 offset:64
	ds_write2_b32 v18, v4, v5 offset0:32 offset1:33
	ds_write_b32 v18, v6 offset:136
	ds_write_b32 v12, v7 offset:128
	;; [unrolled: 3-line block ×3, first 2 shown]
	v_mul_u32_u24_e32 v0, 0x708, v26
	v_add3_u32 v8, 0, v16, v0
	s_waitcnt lgkmcnt(0)
	s_barrier
	ds_read2st64_b32 v[0:1], v8 offset1:1
	ds_read2st64_b32 v[2:3], v8 offset0:2 offset1:3
	ds_read2st64_b32 v[4:5], v8 offset0:4 offset1:5
	ds_read_b32 v6, v8 offset:1536
	s_mul_hi_i32 s1, s15, s4
	s_mul_i32 s0, s15, s4
	s_lshl_b64 s[0:1], s[0:1], 2
	s_waitcnt lgkmcnt(3)
	v_add_f32_e32 v0, 0, v0
	v_add_f32_e32 v0, v0, v1
	s_waitcnt lgkmcnt(2)
	v_add_f32_e32 v0, v0, v2
	s_add_u32 s4, s6, s0
	s_mul_i32 s0, s3, s11
	v_add_f32_e32 v0, v0, v3
	s_addc_u32 s5, s7, s1
	s_ashr_i32 s1, s0, 31
	s_waitcnt lgkmcnt(1)
	v_add_f32_e32 v0, v0, v4
	s_lshl_b64 s[0:1], s[0:1], 2
	v_add_f32_e32 v0, v0, v5
	s_add_u32 s0, s4, s0
	s_waitcnt lgkmcnt(0)
	v_add_f32_e32 v6, v0, v6
	v_mul_lo_u32 v0, v26, s18
	v_add_u32_e32 v7, 56, v8
	s_addc_u32 s1, s5, s1
	v_add3_u32 v0, s2, v27, v0
	v_mov_b32_e32 v1, 0
	ds_read2st64_b32 v[2:3], v7 offset0:49 offset1:50
	v_lshl_add_u64 v[4:5], v[0:1], 2, s[0:1]
	global_store_dword v[4:5], v6, off
	ds_read2st64_b32 v[4:5], v7 offset0:51 offset1:52
	ds_read2st64_b32 v[6:7], v7 offset0:53 offset1:54
	s_waitcnt lgkmcnt(2)
	v_add_f32_e32 v2, 0, v2
	v_add_f32_e32 v2, v2, v3
	ds_read_b32 v3, v8 offset:14136
	s_waitcnt lgkmcnt(2)
	v_add_f32_e32 v2, v2, v4
	v_add_f32_e32 v2, v2, v5
	s_waitcnt lgkmcnt(1)
	v_add_f32_e32 v2, v2, v6
	v_add_f32_e32 v2, v2, v7
	s_waitcnt lgkmcnt(0)
	v_add_f32_e32 v4, v2, v3
	v_mad_u64_u32 v[2:3], s[2:3], s18, 7, v[0:1]
	v_mov_b32_e32 v3, v1
	v_lshl_add_u64 v[0:1], v[2:3], 2, s[0:1]
	global_store_dword v[0:1], v4, off
	s_endpgm
	.section	.rodata,"a",@progbits
	.p2align	6, 0x0
	.amdhsa_kernel _ZL9mul_mat_fI7__half2Li64ELi14ELi7ELb0EEvPKT_PKfPKiPfiiiiiiiiiiiiiiii
		.amdhsa_group_segment_fixed_size 0
		.amdhsa_private_segment_fixed_size 0
		.amdhsa_kernarg_size 96
		.amdhsa_user_sgpr_count 2
		.amdhsa_user_sgpr_dispatch_ptr 0
		.amdhsa_user_sgpr_queue_ptr 0
		.amdhsa_user_sgpr_kernarg_segment_ptr 1
		.amdhsa_user_sgpr_dispatch_id 0
		.amdhsa_user_sgpr_kernarg_preload_length 0
		.amdhsa_user_sgpr_kernarg_preload_offset 0
		.amdhsa_user_sgpr_private_segment_size 0
		.amdhsa_uses_dynamic_stack 0
		.amdhsa_enable_private_segment 0
		.amdhsa_system_sgpr_workgroup_id_x 1
		.amdhsa_system_sgpr_workgroup_id_y 1
		.amdhsa_system_sgpr_workgroup_id_z 1
		.amdhsa_system_sgpr_workgroup_info 0
		.amdhsa_system_vgpr_workitem_id 1
		.amdhsa_next_free_vgpr 128
		.amdhsa_next_free_sgpr 98
		.amdhsa_accum_offset 128
		.amdhsa_reserve_vcc 1
		.amdhsa_float_round_mode_32 0
		.amdhsa_float_round_mode_16_64 0
		.amdhsa_float_denorm_mode_32 3
		.amdhsa_float_denorm_mode_16_64 3
		.amdhsa_dx10_clamp 1
		.amdhsa_ieee_mode 1
		.amdhsa_fp16_overflow 0
		.amdhsa_tg_split 0
		.amdhsa_exception_fp_ieee_invalid_op 0
		.amdhsa_exception_fp_denorm_src 0
		.amdhsa_exception_fp_ieee_div_zero 0
		.amdhsa_exception_fp_ieee_overflow 0
		.amdhsa_exception_fp_ieee_underflow 0
		.amdhsa_exception_fp_ieee_inexact 0
		.amdhsa_exception_int_div_zero 0
	.end_amdhsa_kernel
	.section	.text._ZL9mul_mat_fI7__half2Li64ELi14ELi7ELb0EEvPKT_PKfPKiPfiiiiiiiiiiiiiiii,"axG",@progbits,_ZL9mul_mat_fI7__half2Li64ELi14ELi7ELb0EEvPKT_PKfPKiPfiiiiiiiiiiiiiiii,comdat
.Lfunc_end119:
	.size	_ZL9mul_mat_fI7__half2Li64ELi14ELi7ELb0EEvPKT_PKfPKiPfiiiiiiiiiiiiiiii, .Lfunc_end119-_ZL9mul_mat_fI7__half2Li64ELi14ELi7ELb0EEvPKT_PKfPKiPfiiiiiiiiiiiiiiii
                                        ; -- End function
	.section	.AMDGPU.csdata,"",@progbits
; Kernel info:
; codeLenInByte = 5004
; NumSgprs: 104
; NumVgprs: 128
; NumAgprs: 0
; TotalNumVgprs: 128
; ScratchSize: 0
; MemoryBound: 0
; FloatMode: 240
; IeeeMode: 1
; LDSByteSize: 0 bytes/workgroup (compile time only)
; SGPRBlocks: 12
; VGPRBlocks: 15
; NumSGPRsForWavesPerEU: 104
; NumVGPRsForWavesPerEU: 128
; AccumOffset: 128
; Occupancy: 4
; WaveLimiterHint : 0
; COMPUTE_PGM_RSRC2:SCRATCH_EN: 0
; COMPUTE_PGM_RSRC2:USER_SGPR: 2
; COMPUTE_PGM_RSRC2:TRAP_HANDLER: 0
; COMPUTE_PGM_RSRC2:TGID_X_EN: 1
; COMPUTE_PGM_RSRC2:TGID_Y_EN: 1
; COMPUTE_PGM_RSRC2:TGID_Z_EN: 1
; COMPUTE_PGM_RSRC2:TIDIG_COMP_CNT: 1
; COMPUTE_PGM_RSRC3_GFX90A:ACCUM_OFFSET: 31
; COMPUTE_PGM_RSRC3_GFX90A:TG_SPLIT: 0
	.section	.text._ZL13mul_mat_f_idsI7__half2Li64ELi14ELi8EEvPKT_PKfPKiS7_S7_Pfiiiiiiiiiiiiii15HIP_vector_typeIjLj3EESA_,"axG",@progbits,_ZL13mul_mat_f_idsI7__half2Li64ELi14ELi8EEvPKT_PKfPKiS7_S7_Pfiiiiiiiiiiiiii15HIP_vector_typeIjLj3EESA_,comdat
	.globl	_ZL13mul_mat_f_idsI7__half2Li64ELi14ELi8EEvPKT_PKfPKiS7_S7_Pfiiiiiiiiiiiiii15HIP_vector_typeIjLj3EESA_ ; -- Begin function _ZL13mul_mat_f_idsI7__half2Li64ELi14ELi8EEvPKT_PKfPKiS7_S7_Pfiiiiiiiiiiiiii15HIP_vector_typeIjLj3EESA_
	.p2align	8
	.type	_ZL13mul_mat_f_idsI7__half2Li64ELi14ELi8EEvPKT_PKfPKiS7_S7_Pfiiiiiiiiiiiiii15HIP_vector_typeIjLj3EESA_,@function
_ZL13mul_mat_f_idsI7__half2Li64ELi14ELi8EEvPKT_PKfPKiS7_S7_Pfiiiiiiiiiiiiii15HIP_vector_typeIjLj3EESA_: ; @_ZL13mul_mat_f_idsI7__half2Li64ELi14ELi8EEvPKT_PKfPKiS7_S7_Pfiiiiiiiiiiiiii15HIP_vector_typeIjLj3EESA_
; %bb.0:
	s_load_dwordx2 s[6:7], s[0:1], 0x20
	s_mov_b32 s34, s3
	s_ashr_i32 s35, s3, 31
	s_lshl_b64 s[8:9], s[34:35], 2
	s_waitcnt lgkmcnt(0)
	s_add_u32 s6, s6, s8
	s_addc_u32 s7, s7, s9
	s_load_dwordx2 s[26:27], s[6:7], 0x0
	s_waitcnt lgkmcnt(0)
	s_sub_i32 s33, s27, s26
	s_add_i32 s3, s33, 13
	s_mul_hi_i32 s5, s3, 0x92492493
	s_add_i32 s5, s5, s3
	s_lshr_b32 s3, s5, 31
	s_ashr_i32 s5, s5, 3
	s_add_i32 s5, s5, s3
	s_cmp_ge_i32 s4, s5
	s_cbranch_scc1 .LBB120_56
; %bb.1:
	v_bfe_u32 v16, v0, 10, 10
	v_lshlrev_b32_e32 v114, 6, v16
	v_and_b32_e32 v17, 0x3ff, v0
	s_load_dwordx4 s[12:15], s[0:1], 0x30
	s_load_dwordx2 s[20:21], s[0:1], 0x40
	s_load_dwordx4 s[8:11], s[0:1], 0x4c
	s_load_dwordx4 s[16:19], s[0:1], 0x68
	s_load_dwordx2 s[24:25], s[0:1], 0x78
	v_add_u32_e32 v116, v114, v17
	s_ashr_i32 s27, s26, 31
	s_waitcnt lgkmcnt(0)
	v_cmp_le_i32_e32 vcc, s12, v116
	v_and_b32_e32 v115, 15, v17
                                        ; implicit-def: $sgpr3
	s_and_saveexec_b64 s[6:7], vcc
	s_xor_b64 s[6:7], exec, s[6:7]
; %bb.2:
	v_and_b32_e32 v115, 15, v17
	s_mov_b32 s3, 0
                                        ; implicit-def: $vgpr116
; %bb.3:
	s_or_saveexec_b64 s[28:29], s[6:7]
	s_load_dwordx2 s[22:23], s[0:1], 0x18
	s_load_dwordx2 s[6:7], s[0:1], 0x28
                                        ; implicit-def: $vgpr119 : SGPR spill to VGPR lane
	s_lshl_b32 s11, s2, 6
	s_mul_i32 s2, s4, 14
	v_mov_b32_e32 v15, s3
	v_mov_b32_e32 v14, s3
	s_waitcnt lgkmcnt(0)
	v_writelane_b32 v119, s6, 0
	v_mov_b32_e32 v13, s3
	v_mov_b32_e32 v12, s3
	;; [unrolled: 1-line block ×14, first 2 shown]
	v_writelane_b32 v119, s7, 1
	s_xor_b64 exec, exec, s[28:29]
	s_cbranch_execz .LBB120_49
; %bb.4:
	v_writelane_b32 v119, s28, 2
	s_movk_i32 s3, 0x1080
	v_mad_u32_u24 v1, v16, s3, 0
	v_writelane_b32 v119, s29, 3
	v_writelane_b32 v119, s22, 4
	v_lshrrev_b32_e32 v3, 1, v17
	v_mov_b32_e32 v19, 0
	v_writelane_b32 v119, s23, 5
	v_writelane_b32 v119, s24, 6
	s_load_dwordx4 s[4:7], s[0:1], 0x0
	s_load_dwordx2 s[22:23], s[0:1], 0x10
	v_writelane_b32 v119, s25, 7
	s_mul_i32 s0, s34, s8
	s_mul_i32 s24, s11, s15
	s_ashr_i32 s1, s0, 31
	s_ashr_i32 s25, s24, 31
	s_lshl_b64 s[24:25], s[24:25], 2
	s_lshl_b64 s[0:1], s[0:1], 2
	s_add_u32 s24, s0, s24
	v_writelane_b32 v119, s11, 8
	s_addc_u32 s25, s1, s25
	s_waitcnt lgkmcnt(0)
	s_add_u32 s0, s24, s4
	v_writelane_b32 v119, s26, 9
	s_addc_u32 s1, s25, s5
	v_lshlrev_b32_e32 v0, 2, v17
	v_writelane_b32 v119, s27, 10
	s_lshl_b64 s[26:27], s[26:27], 2
	s_add_u32 s8, s22, s26
	s_addc_u32 s11, s23, s27
	s_cmp_lt_i32 s2, s33
	s_cselect_b64 s[34:35], -1, 0
	s_ashr_i32 s3, s2, 31
	s_lshl_b64 s[22:23], s[2:3], 2
	s_add_u32 s36, s8, s22
	s_addc_u32 s37, s11, s23
	s_or_b32 s3, s2, 1
	s_cmp_lt_i32 s3, s33
	s_cselect_b64 s[38:39], -1, 0
	s_add_i32 s3, s2, 2
	s_cmp_lt_i32 s3, s33
	s_cselect_b64 s[40:41], -1, 0
	s_add_i32 s3, s2, 3
	s_cmp_lt_i32 s3, s33
	s_cselect_b64 s[42:43], -1, 0
	s_add_i32 s3, s2, 4
	v_mul_u32_u24_e32 v2, 0x108, v115
	v_and_b32_e32 v3, 0x1f8, v3
	s_cmp_lt_i32 s3, s33
	v_lshlrev_b32_e32 v18, 8, v16
	v_add_u32_e32 v117, v1, v0
	v_add3_u32 v118, v1, v2, v3
	s_cselect_b64 s[44:45], -1, 0
	s_add_i32 s3, s2, 5
	v_lshl_add_u64 v[2:3], s[24:25], 0, v[18:19]
	v_mov_b32_e32 v1, v19
	s_cmp_lt_i32 s3, s33
	v_lshl_add_u64 v[0:1], v[2:3], 0, v[0:1]
	s_cselect_b64 s[46:47], -1, 0
	s_add_i32 s3, s2, 6
	v_lshl_add_u64 v[20:21], s[4:5], 0, v[0:1]
	s_mul_i32 s4, s15, 3
	s_cmp_lt_i32 s3, s33
	v_writelane_b32 v119, s4, 11
	s_mul_i32 s4, s15, 5
	s_cselect_b64 s[48:49], -1, 0
	s_add_i32 s3, s2, 7
	v_writelane_b32 v119, s4, 12
	s_mul_i32 s4, s15, 6
	s_cmp_lt_i32 s3, s33
	v_writelane_b32 v119, s4, 13
	s_mul_i32 s4, s15, 7
	s_cselect_b64 s[50:51], -1, 0
	s_add_i32 s3, s2, 8
	v_writelane_b32 v119, s4, 14
	;; [unrolled: 7-line block ×7, first 2 shown]
	s_mul_i32 s4, s15, 20
	s_cmp_lt_i32 s3, s33
	v_writelane_b32 v119, s4, 25
	s_mul_i32 s4, s15, 21
	s_cselect_b64 s[62:63], -1, 0
	s_ashr_i32 s23, s15, 31
	s_mov_b32 s22, s15
	v_writelane_b32 v119, s4, 26
	s_mul_i32 s4, s15, 22
	s_lshl_b64 s[64:65], s[22:23], 2
	s_lshl_b32 s3, s15, 1
	s_lshl_b32 s68, s15, 2
	;; [unrolled: 1-line block ×4, first 2 shown]
	v_writelane_b32 v119, s4, 27
	s_mul_i32 s87, s15, 23
	s_mul_i32 s88, s15, 24
	;; [unrolled: 1-line block ×5, first 2 shown]
	v_mov_b32_e32 v8, 0
	v_mov_b32_e32 v9, v19
	;; [unrolled: 1-line block ×16, first 2 shown]
	s_mul_i32 s92, s15, 28
	s_mul_i32 s93, s15, 29
	;; [unrolled: 1-line block ×4, first 2 shown]
	s_lshl_b32 s96, s15, 5
	s_mul_i32 s97, s15, 33
	s_mul_i32 s98, s15, 34
	;; [unrolled: 1-line block ×31, first 2 shown]
	s_mov_b64 s[4:5], 0
	s_mov_b64 s[66:67], 0x800
	s_branch .LBB120_6
.LBB120_5:                              ;   in Loop: Header=BB120_6 Depth=1
	s_waitcnt vmcnt(0)
	v_cvt_f16_f32_e32 v18, v86
	v_cvt_f16_f32_e32 v86, v87
	;; [unrolled: 1-line block ×6, first 2 shown]
	v_pack_b32_f16 v18, v18, v86
	v_pack_b32_f16 v86, v87, v90
	ds_write2_b32 v117, v18, v86 offset1:66
	v_cvt_f16_f32_e32 v86, v94
	v_cvt_f16_f32_e32 v87, v95
	v_pack_b32_f16 v18, v88, v89
	v_cvt_f16_f32_e32 v88, v92
	v_cvt_f16_f32_e32 v89, v93
	;; [unrolled: 1-line block ×4, first 2 shown]
	v_pack_b32_f16 v86, v86, v87
	ds_write2_b32 v117, v18, v86 offset0:132 offset1:198
	v_pack_b32_f16 v18, v88, v89
	v_cvt_f16_f32_e32 v87, v96
	v_cvt_f16_f32_e32 v88, v97
	v_pack_b32_f16 v86, v90, v91
	v_cvt_f16_f32_e32 v89, v102
	v_cvt_f16_f32_e32 v90, v103
	v_add_u32_e32 v91, 0x400, v117
	ds_write2_b32 v91, v18, v86 offset0:8 offset1:74
	v_pack_b32_f16 v18, v87, v88
	v_cvt_f16_f32_e32 v87, v100
	v_cvt_f16_f32_e32 v88, v101
	v_pack_b32_f16 v86, v89, v90
	ds_write2_b32 v91, v18, v86 offset0:140 offset1:206
	v_cvt_f16_f32_e32 v18, v106
	v_cvt_f16_f32_e32 v86, v107
	v_pack_b32_f16 v87, v87, v88
	v_cvt_f16_f32_e32 v88, v104
	v_cvt_f16_f32_e32 v89, v105
	v_pack_b32_f16 v18, v18, v86
	v_add_u32_e32 v86, 0x800, v117
	ds_write2_b32 v86, v87, v18 offset0:16 offset1:82
	v_pack_b32_f16 v18, v88, v89
	v_cvt_f16_f32_e32 v87, v110
	v_cvt_f16_f32_e32 v88, v111
	;; [unrolled: 1-line block ×6, first 2 shown]
	v_pack_b32_f16 v87, v87, v88
	ds_write2_b32 v86, v18, v87 offset0:148 offset1:214
	v_pack_b32_f16 v18, v89, v90
	v_pack_b32_f16 v86, v91, v92
	v_add_u32_e32 v87, 0xc00, v117
	ds_write2_b32 v87, v18, v86 offset0:24 offset1:90
	ds_write2_b32 v87, v19, v19 offset0:156 offset1:222
	ds_read2_b64 v[86:89], v118 offset1:4
	s_waitcnt lgkmcnt(0)
	v_mfma_f32_16x16x16_f16 v[0:3], v[70:71], v[86:87], v[0:3]
	v_add_u32_e32 v116, 0x200, v116
	v_cmp_le_i32_e32 vcc, s12, v116
	v_lshl_add_u64 v[20:21], v[20:21], 0, s[66:67]
	v_mfma_f32_16x16x16_f16 v[8:11], v[38:39], v[86:87], v[8:11]
	s_or_b64 s[4:5], vcc, s[4:5]
	v_mfma_f32_16x16x16_f16 v[4:7], v[54:55], v[86:87], v[4:7]
	v_mfma_f32_16x16x16_f16 v[12:15], v[84:85], v[86:87], v[12:15]
	v_mfma_f32_16x16x16_f16 v[0:3], v[68:69], v[88:89], v[0:3]
	ds_read2_b64 v[68:71], v118 offset0:8 offset1:12
	v_mfma_f32_16x16x16_f16 v[8:11], v[34:35], v[88:89], v[8:11]
	v_mfma_f32_16x16x16_f16 v[4:7], v[50:51], v[88:89], v[4:7]
	v_mfma_f32_16x16x16_f16 v[12:15], v[82:83], v[88:89], v[12:15]
	s_waitcnt lgkmcnt(0)
	v_mfma_f32_16x16x16_f16 v[8:11], v[32:33], v[68:69], v[8:11]
	v_mfma_f32_16x16x16_f16 v[4:7], v[48:49], v[68:69], v[4:7]
	v_mfma_f32_16x16x16_f16 v[0:3], v[66:67], v[68:69], v[0:3]
	v_mfma_f32_16x16x16_f16 v[12:15], v[78:79], v[68:69], v[12:15]
	v_mfma_f32_16x16x16_f16 v[8:11], v[30:31], v[70:71], v[8:11]
	ds_read2_b64 v[30:33], v118 offset0:16 offset1:20
	v_mfma_f32_16x16x16_f16 v[4:7], v[46:47], v[70:71], v[4:7]
	v_mfma_f32_16x16x16_f16 v[0:3], v[64:65], v[70:71], v[0:3]
	v_mfma_f32_16x16x16_f16 v[12:15], v[74:75], v[70:71], v[12:15]
	s_waitcnt lgkmcnt(0)
	v_mfma_f32_16x16x16_f16 v[8:11], v[28:29], v[30:31], v[8:11]
	v_mfma_f32_16x16x16_f16 v[4:7], v[44:45], v[30:31], v[4:7]
	;; [unrolled: 10-line block ×3, first 2 shown]
	v_mfma_f32_16x16x16_f16 v[0:3], v[56:57], v[26:27], v[0:3]
	v_mfma_f32_16x16x16_f16 v[12:15], v[72:73], v[26:27], v[12:15]
	;; [unrolled: 1-line block ×6, first 2 shown]
	s_andn2_b64 exec, exec, s[4:5]
	s_cbranch_execz .LBB120_48
.LBB120_6:                              ; =>This Inner Loop Header: Depth=1
	v_readlane_b32 s86, v119, 11
	v_lshl_add_u64 v[22:23], v[20:21], 0, s[64:65]
	global_load_dword v18, v[20:21], off
	global_load_dword v48, v[22:23], off
	v_add_u32_e32 v24, s86, v116
	v_readlane_b32 s86, v119, 12
	v_add_u32_e32 v22, s3, v116
	v_ashrrev_i32_e32 v23, 31, v22
	v_add_u32_e32 v28, s86, v116
	v_readlane_b32 s86, v119, 13
	v_add_u32_e32 v26, s68, v116
	v_lshl_add_u64 v[22:23], v[22:23], 2, s[0:1]
	v_add_u32_e32 v30, s86, v116
	v_readlane_b32 s86, v119, 14
	v_ashrrev_i32_e32 v25, 31, v24
	v_ashrrev_i32_e32 v27, 31, v26
	v_add_u32_e32 v32, s86, v116
	v_ashrrev_i32_e32 v29, 31, v28
	v_ashrrev_i32_e32 v31, 31, v30
	v_ashrrev_i32_e32 v33, 31, v32
	v_lshl_add_u64 v[24:25], v[24:25], 2, s[0:1]
	v_lshl_add_u64 v[26:27], v[26:27], 2, s[0:1]
	;; [unrolled: 1-line block ×5, first 2 shown]
	global_load_dword v49, v[22:23], off
	global_load_dword v50, v[24:25], off
	;; [unrolled: 1-line block ×6, first 2 shown]
	v_readlane_b32 s86, v119, 15
	v_add_u32_e32 v22, s72, v116
	v_add_u32_e32 v38, s80, v116
	;; [unrolled: 1-line block ×3, first 2 shown]
	v_readlane_b32 s86, v119, 16
	v_ashrrev_i32_e32 v23, 31, v22
	v_ashrrev_i32_e32 v25, 31, v24
	v_add_u32_e32 v26, s86, v116
	v_readlane_b32 s86, v119, 17
	v_ashrrev_i32_e32 v27, 31, v26
	v_ashrrev_i32_e32 v39, 31, v38
	v_add_u32_e32 v28, s86, v116
	v_readlane_b32 s86, v119, 18
	v_ashrrev_i32_e32 v29, 31, v28
	v_lshl_add_u64 v[22:23], v[22:23], 2, s[0:1]
	v_add_u32_e32 v30, s86, v116
	v_readlane_b32 s86, v119, 19
	v_ashrrev_i32_e32 v31, 31, v30
	v_lshl_add_u64 v[24:25], v[24:25], 2, s[0:1]
	v_add_u32_e32 v32, s86, v116
	v_readlane_b32 s86, v119, 20
	v_ashrrev_i32_e32 v33, 31, v32
	v_lshl_add_u64 v[26:27], v[26:27], 2, s[0:1]
	v_add_u32_e32 v34, s86, v116
	v_readlane_b32 s86, v119, 21
	v_ashrrev_i32_e32 v35, 31, v34
	v_lshl_add_u64 v[28:29], v[28:29], 2, s[0:1]
	v_add_u32_e32 v36, s86, v116
	v_readlane_b32 s86, v119, 22
	v_ashrrev_i32_e32 v37, 31, v36
	v_lshl_add_u64 v[30:31], v[30:31], 2, s[0:1]
	v_add_u32_e32 v40, s86, v116
	v_readlane_b32 s86, v119, 23
	v_ashrrev_i32_e32 v41, 31, v40
	v_lshl_add_u64 v[40:41], v[40:41], 2, s[0:1]
	v_add_u32_e32 v42, s86, v116
	v_readlane_b32 s86, v119, 24
	v_lshl_add_u64 v[32:33], v[32:33], 2, s[0:1]
	v_lshl_add_u64 v[34:35], v[34:35], 2, s[0:1]
	v_add_u32_e32 v44, s86, v116
	v_readlane_b32 s86, v119, 25
	v_lshl_add_u64 v[36:37], v[36:37], 2, s[0:1]
	v_lshl_add_u64 v[38:39], v[38:39], 2, s[0:1]
	v_add_u32_e32 v46, s86, v116
	v_readlane_b32 s86, v119, 26
	global_load_dword v55, v[22:23], off
	global_load_dword v56, v[24:25], off
	;; [unrolled: 1-line block ×9, first 2 shown]
	s_nop 0
	global_load_dword v40, v[40:41], off
	v_add_u32_e32 v22, s86, v116
	v_readlane_b32 s86, v119, 27
	v_ashrrev_i32_e32 v43, 31, v42
	v_ashrrev_i32_e32 v45, 31, v44
	;; [unrolled: 1-line block ×4, first 2 shown]
	v_add_u32_e32 v24, s86, v116
	v_add_u32_e32 v26, s87, v116
	;; [unrolled: 1-line block ×4, first 2 shown]
	v_lshl_add_u64 v[42:43], v[42:43], 2, s[0:1]
	v_lshl_add_u64 v[44:45], v[44:45], 2, s[0:1]
	;; [unrolled: 1-line block ×4, first 2 shown]
	s_waitcnt vmcnt(17)
	ds_write_b32 v117, v18
	s_waitcnt vmcnt(16)
	ds_write_b32 v117, v48 offset:264
	s_waitcnt vmcnt(15)
	ds_write_b32 v117, v49 offset:528
	;; [unrolled: 2-line block ×7, first 2 shown]
	v_ashrrev_i32_e32 v25, 31, v24
	v_ashrrev_i32_e32 v27, 31, v26
	;; [unrolled: 1-line block ×4, first 2 shown]
	v_lshl_add_u64 v[24:25], v[24:25], 2, s[0:1]
	v_lshl_add_u64 v[26:27], v[26:27], 2, s[0:1]
	;; [unrolled: 1-line block ×4, first 2 shown]
	global_load_dword v18, v[42:43], off
	global_load_dword v41, v[44:45], off
	s_nop 0
	global_load_dword v42, v[46:47], off
	global_load_dword v43, v[22:23], off
	;; [unrolled: 1-line block ×4, first 2 shown]
	s_nop 0
	global_load_dword v46, v[28:29], off
	global_load_dword v47, v[30:31], off
	v_add_u32_e32 v22, s90, v116
	v_ashrrev_i32_e32 v23, 31, v22
	v_add_u32_e32 v24, s91, v116
	v_add_u32_e32 v26, s92, v116
	v_add_u32_e32 v28, s93, v116
	v_add_u32_e32 v30, s94, v116
	v_add_u32_e32 v32, s95, v116
	v_add_u32_e32 v34, s96, v116
	v_add_u32_e32 v36, s97, v116
	v_lshl_add_u64 v[22:23], v[22:23], 2, s[0:1]
	v_ashrrev_i32_e32 v25, 31, v24
	v_ashrrev_i32_e32 v27, 31, v26
	v_ashrrev_i32_e32 v29, 31, v28
	v_ashrrev_i32_e32 v31, 31, v30
	v_ashrrev_i32_e32 v33, 31, v32
	v_ashrrev_i32_e32 v35, 31, v34
	v_ashrrev_i32_e32 v37, 31, v36
	v_lshl_add_u64 v[24:25], v[24:25], 2, s[0:1]
	v_lshl_add_u64 v[26:27], v[26:27], 2, s[0:1]
	v_lshl_add_u64 v[28:29], v[28:29], 2, s[0:1]
	v_lshl_add_u64 v[30:31], v[30:31], 2, s[0:1]
	v_lshl_add_u64 v[32:33], v[32:33], 2, s[0:1]
	v_lshl_add_u64 v[34:35], v[34:35], 2, s[0:1]
	v_lshl_add_u64 v[36:37], v[36:37], 2, s[0:1]
	global_load_dword v48, v[22:23], off
	global_load_dword v49, v[24:25], off
	global_load_dword v50, v[26:27], off
	global_load_dword v51, v[28:29], off
	global_load_dword v52, v[30:31], off
	global_load_dword v53, v[32:33], off
	global_load_dword v64, v[34:35], off
	global_load_dword v65, v[36:37], off
	v_add_u32_e32 v22, s98, v116
	v_ashrrev_i32_e32 v23, 31, v22
	v_add_u32_e32 v24, s99, v116
	v_add_u32_e32 v26, s24, v116
	v_add_u32_e32 v28, s25, v116
	v_add_u32_e32 v30, s22, v116
	v_add_u32_e32 v32, s23, v116
	v_add_u32_e32 v34, s28, v116
	v_add_u32_e32 v36, s29, v116
	v_lshl_add_u64 v[22:23], v[22:23], 2, s[0:1]
	v_ashrrev_i32_e32 v25, 31, v24
	v_ashrrev_i32_e32 v27, 31, v26
	v_ashrrev_i32_e32 v29, 31, v28
	v_ashrrev_i32_e32 v31, 31, v30
	v_ashrrev_i32_e32 v33, 31, v32
	v_ashrrev_i32_e32 v35, 31, v34
	v_ashrrev_i32_e32 v37, 31, v36
	v_lshl_add_u64 v[24:25], v[24:25], 2, s[0:1]
	v_lshl_add_u64 v[26:27], v[26:27], 2, s[0:1]
	v_lshl_add_u64 v[28:29], v[28:29], 2, s[0:1]
	v_lshl_add_u64 v[30:31], v[30:31], 2, s[0:1]
	v_lshl_add_u64 v[32:33], v[32:33], 2, s[0:1]
	v_lshl_add_u64 v[34:35], v[34:35], 2, s[0:1]
	v_lshl_add_u64 v[36:37], v[36:37], 2, s[0:1]
	global_load_dword v66, v[22:23], off
	global_load_dword v67, v[24:25], off
	global_load_dword v68, v[26:27], off
	global_load_dword v69, v[28:29], off
	global_load_dword v70, v[30:31], off
	global_load_dword v71, v[32:33], off
	;; [unrolled: 32-line block ×4, first 2 shown]
	global_load_dword v88, v[34:35], off
	global_load_dword v89, v[36:37], off
	v_add_u32_e32 v22, s81, v116
	v_ashrrev_i32_e32 v23, 31, v22
	v_add_u32_e32 v24, s82, v116
	v_add_u32_e32 v26, s83, v116
	;; [unrolled: 1-line block ×5, first 2 shown]
	v_lshl_add_u64 v[22:23], v[22:23], 2, s[0:1]
	v_ashrrev_i32_e32 v25, 31, v24
	v_ashrrev_i32_e32 v27, 31, v26
	;; [unrolled: 1-line block ×5, first 2 shown]
	v_lshl_add_u64 v[24:25], v[24:25], 2, s[0:1]
	v_lshl_add_u64 v[26:27], v[26:27], 2, s[0:1]
	;; [unrolled: 1-line block ×5, first 2 shown]
	global_load_dword v90, v[22:23], off
	global_load_dword v91, v[24:25], off
	;; [unrolled: 1-line block ×6, first 2 shown]
	s_waitcnt vmcnt(55)
	ds_write_b32 v117, v55 offset:2112
	s_waitcnt vmcnt(54)
	ds_write_b32 v117, v56 offset:2376
	s_waitcnt vmcnt(53)
	ds_write_b32 v117, v57 offset:2640
	s_waitcnt vmcnt(52)
	ds_write_b32 v117, v58 offset:2904
	s_waitcnt vmcnt(51)
	ds_write_b32 v117, v59 offset:3168
	s_waitcnt vmcnt(50)
	ds_write_b32 v117, v60 offset:3432
	s_waitcnt vmcnt(49)
	ds_write_b32 v117, v61 offset:3696
	s_waitcnt vmcnt(48)
	ds_write_b32 v117, v62 offset:3960
	ds_read_b64 v[38:39], v118
	ds_read_b64 v[34:35], v118 offset:32
	ds_read_b64 v[32:33], v118 offset:64
	ds_read_b64 v[30:31], v118 offset:96
	ds_read_b64 v[28:29], v118 offset:128
	ds_read_b64 v[26:27], v118 offset:160
	ds_read_b64 v[24:25], v118 offset:192
	ds_read_b64 v[22:23], v118 offset:224
	s_waitcnt vmcnt(47)
	ds_write_b32 v117, v63
	s_waitcnt vmcnt(46)
	ds_write_b32 v117, v40 offset:264
	s_waitcnt vmcnt(45)
	ds_write_b32 v117, v18 offset:528
	s_waitcnt vmcnt(44)
	ds_write_b32 v117, v41 offset:792
	s_waitcnt vmcnt(43)
	ds_write_b32 v117, v42 offset:1056
	s_waitcnt vmcnt(42)
	ds_write_b32 v117, v43 offset:1320
	s_waitcnt vmcnt(41)
	ds_write_b32 v117, v44 offset:1584
	s_waitcnt vmcnt(40)
	ds_write_b32 v117, v45 offset:1848
	s_waitcnt vmcnt(39)
	ds_write_b32 v117, v46 offset:2112
	s_waitcnt vmcnt(38)
	ds_write_b32 v117, v47 offset:2376
	s_waitcnt vmcnt(37)
	ds_write_b32 v117, v48 offset:2640
	s_waitcnt vmcnt(36)
	ds_write_b32 v117, v49 offset:2904
	s_waitcnt vmcnt(35)
	ds_write_b32 v117, v50 offset:3168
	s_waitcnt vmcnt(34)
	ds_write_b32 v117, v51 offset:3432
	s_waitcnt vmcnt(33)
	ds_write_b32 v117, v52 offset:3696
	s_waitcnt vmcnt(32)
	ds_write_b32 v117, v53 offset:3960
	ds_read_b64 v[54:55], v118
	ds_read_b64 v[50:51], v118 offset:32
	ds_read_b64 v[48:49], v118 offset:64
	ds_read_b64 v[46:47], v118 offset:96
	ds_read_b64 v[44:45], v118 offset:128
	ds_read_b64 v[42:43], v118 offset:160
	ds_read_b64 v[40:41], v118 offset:192
	ds_read_b64 v[36:37], v118 offset:224
	s_waitcnt vmcnt(31)
	ds_write_b32 v117, v64
	s_waitcnt vmcnt(30)
	ds_write_b32 v117, v65 offset:264
	s_waitcnt vmcnt(29)
	ds_write_b32 v117, v66 offset:528
	s_waitcnt vmcnt(28)
	ds_write_b32 v117, v67 offset:792
	s_waitcnt vmcnt(27)
	ds_write_b32 v117, v68 offset:1056
	s_waitcnt vmcnt(26)
	ds_write_b32 v117, v69 offset:1320
	s_waitcnt vmcnt(25)
	ds_write_b32 v117, v70 offset:1584
	s_waitcnt vmcnt(24)
	ds_write_b32 v117, v71 offset:1848
	;; [unrolled: 40-line block ×3, first 2 shown]
	s_waitcnt vmcnt(7)
	ds_write_b32 v117, v88 offset:2112
	s_waitcnt vmcnt(6)
	ds_write_b32 v117, v89 offset:2376
	;; [unrolled: 2-line block ×8, first 2 shown]
	ds_read_b64 v[84:85], v118
	ds_read_b64 v[82:83], v118 offset:32
	ds_read_b64 v[78:79], v118 offset:64
	;; [unrolled: 1-line block ×7, first 2 shown]
	s_andn2_b64 vcc, exec, s[34:35]
	v_mov_b32_e32 v86, 0
	v_mov_b32_e32 v87, 0
	s_cbranch_vccnz .LBB120_9
; %bb.7:                                ;   in Loop: Header=BB120_6 Depth=1
	s_load_dword vcc_lo, s[36:37], 0x0
	v_mov_b32_e32 v87, 0
	v_mov_b32_e32 v86, 0
	s_waitcnt lgkmcnt(0)
	s_mul_hi_u32 vcc_hi, vcc_lo, s16
	s_add_i32 vcc_hi, vcc_lo, vcc_hi
	s_lshr_b32 s86, vcc_hi, s17
	s_cmp_ge_i32 s86, s13
	s_cbranch_scc1 .LBB120_9
; %bb.8:                                ;   in Loop: Header=BB120_6 Depth=1
	s_mul_i32 vcc_hi, s86, s18
	s_sub_i32 vcc_lo, vcc_lo, vcc_hi
	s_mul_i32 s86, s86, s20
	s_mul_i32 vcc_lo, vcc_lo, s9
	v_add_u32_e32 v18, s86, v116
	v_lshl_add_u32 v86, v18, 1, vcc_lo
	v_ashrrev_i32_e32 v87, 31, v86
	v_lshl_add_u64 v[86:87], v[86:87], 2, s[6:7]
	global_load_dwordx2 v[86:87], v[86:87], off
.LBB120_9:                              ;   in Loop: Header=BB120_6 Depth=1
	s_andn2_b64 vcc, exec, s[38:39]
	v_mov_b32_e32 v88, 0
	v_mov_b32_e32 v90, 0
	v_mov_b32_e32 v91, 0
	s_cbranch_vccnz .LBB120_12
; %bb.10:                               ;   in Loop: Header=BB120_6 Depth=1
	s_load_dword vcc_lo, s[36:37], 0x4
	v_mov_b32_e32 v91, 0
	v_mov_b32_e32 v90, 0
	s_waitcnt lgkmcnt(0)
	s_mul_hi_u32 s86, vcc_lo, s16
	s_add_i32 s86, vcc_lo, s86
	s_lshr_b32 vcc_hi, s86, s17
	s_cmp_ge_i32 vcc_hi, s13
	s_cbranch_scc1 .LBB120_12
; %bb.11:                               ;   in Loop: Header=BB120_6 Depth=1
	s_mul_i32 s86, vcc_hi, s18
	s_sub_i32 s86, vcc_lo, s86
	s_mul_i32 vcc_hi, vcc_hi, s20
	s_mul_i32 s86, s86, s9
	v_add_u32_e32 v18, vcc_hi, v116
	v_lshl_add_u32 v90, v18, 1, s86
	v_ashrrev_i32_e32 v91, 31, v90
	v_lshl_add_u64 v[90:91], v[90:91], 2, s[6:7]
	global_load_dwordx2 v[90:91], v[90:91], off
.LBB120_12:                             ;   in Loop: Header=BB120_6 Depth=1
	s_andn2_b64 vcc, exec, s[40:41]
	v_mov_b32_e32 v89, 0
	s_cbranch_vccnz .LBB120_15
; %bb.13:                               ;   in Loop: Header=BB120_6 Depth=1
	s_load_dword vcc_lo, s[36:37], 0x8
	v_mov_b32_e32 v89, 0
	v_mov_b32_e32 v88, 0
	s_waitcnt lgkmcnt(0)
	s_mul_hi_u32 s86, vcc_lo, s16
	s_add_i32 s86, vcc_lo, s86
	s_lshr_b32 vcc_hi, s86, s17
	s_cmp_ge_i32 vcc_hi, s13
	s_cbranch_scc1 .LBB120_15
; %bb.14:                               ;   in Loop: Header=BB120_6 Depth=1
	s_mul_i32 s86, vcc_hi, s18
	s_sub_i32 s86, vcc_lo, s86
	s_mul_i32 vcc_hi, vcc_hi, s20
	s_mul_i32 s86, s86, s9
	v_add_u32_e32 v18, vcc_hi, v116
	v_lshl_add_u32 v88, v18, 1, s86
	v_ashrrev_i32_e32 v89, 31, v88
	v_lshl_add_u64 v[88:89], v[88:89], 2, s[6:7]
	global_load_dwordx2 v[88:89], v[88:89], off
.LBB120_15:                             ;   in Loop: Header=BB120_6 Depth=1
	s_andn2_b64 vcc, exec, s[42:43]
	v_mov_b32_e32 v92, 0
	v_mov_b32_e32 v94, 0
	v_mov_b32_e32 v95, 0
	s_cbranch_vccnz .LBB120_18
; %bb.16:                               ;   in Loop: Header=BB120_6 Depth=1
	s_load_dword vcc_lo, s[36:37], 0xc
	v_mov_b32_e32 v95, 0
	v_mov_b32_e32 v94, 0
	s_waitcnt lgkmcnt(0)
	s_mul_hi_u32 s86, vcc_lo, s16
	s_add_i32 s86, vcc_lo, s86
	s_lshr_b32 vcc_hi, s86, s17
	s_cmp_ge_i32 vcc_hi, s13
	s_cbranch_scc1 .LBB120_18
; %bb.17:                               ;   in Loop: Header=BB120_6 Depth=1
	s_mul_i32 s86, vcc_hi, s18
	s_sub_i32 s86, vcc_lo, s86
	s_mul_i32 vcc_hi, vcc_hi, s20
	s_mul_i32 s86, s86, s9
	v_add_u32_e32 v18, vcc_hi, v116
	v_lshl_add_u32 v94, v18, 1, s86
	v_ashrrev_i32_e32 v95, 31, v94
	v_lshl_add_u64 v[94:95], v[94:95], 2, s[6:7]
	global_load_dwordx2 v[94:95], v[94:95], off
.LBB120_18:                             ;   in Loop: Header=BB120_6 Depth=1
	s_andn2_b64 vcc, exec, s[44:45]
	v_mov_b32_e32 v93, 0
	s_cbranch_vccnz .LBB120_21
; %bb.19:                               ;   in Loop: Header=BB120_6 Depth=1
	s_load_dword vcc_lo, s[36:37], 0x10
	v_mov_b32_e32 v93, 0
	v_mov_b32_e32 v92, 0
	s_waitcnt lgkmcnt(0)
	s_mul_hi_u32 s86, vcc_lo, s16
	s_add_i32 s86, vcc_lo, s86
	s_lshr_b32 vcc_hi, s86, s17
	s_cmp_ge_i32 vcc_hi, s13
	s_cbranch_scc1 .LBB120_21
; %bb.20:                               ;   in Loop: Header=BB120_6 Depth=1
	s_mul_i32 s86, vcc_hi, s18
	s_sub_i32 s86, vcc_lo, s86
	s_mul_i32 vcc_hi, vcc_hi, s20
	s_mul_i32 s86, s86, s9
	v_add_u32_e32 v18, vcc_hi, v116
	v_lshl_add_u32 v92, v18, 1, s86
	v_ashrrev_i32_e32 v93, 31, v92
	v_lshl_add_u64 v[92:93], v[92:93], 2, s[6:7]
	global_load_dwordx2 v[92:93], v[92:93], off
.LBB120_21:                             ;   in Loop: Header=BB120_6 Depth=1
	;; [unrolled: 50-line block ×6, first 2 shown]
	s_andn2_b64 vcc, exec, s[62:63]
	v_mov_b32_e32 v112, 0
	v_mov_b32_e32 v113, 0
	s_cbranch_vccnz .LBB120_5
; %bb.46:                               ;   in Loop: Header=BB120_6 Depth=1
	s_load_dword vcc_lo, s[36:37], 0x34
	v_mov_b32_e32 v113, 0
	v_mov_b32_e32 v112, 0
	s_waitcnt lgkmcnt(0)
	s_mul_hi_u32 s86, vcc_lo, s16
	s_add_i32 s86, vcc_lo, s86
	s_lshr_b32 vcc_hi, s86, s17
	s_cmp_ge_i32 vcc_hi, s13
	s_cbranch_scc1 .LBB120_5
; %bb.47:                               ;   in Loop: Header=BB120_6 Depth=1
	s_mul_i32 s86, vcc_hi, s18
	s_sub_i32 s86, vcc_lo, s86
	s_mul_i32 vcc_hi, vcc_hi, s20
	s_mul_i32 s86, s86, s9
	v_add_u32_e32 v18, vcc_hi, v116
	v_lshl_add_u32 v112, v18, 1, s86
	v_ashrrev_i32_e32 v113, 31, v112
	v_lshl_add_u64 v[112:113], v[112:113], 2, s[6:7]
	global_load_dwordx2 v[112:113], v[112:113], off
	s_branch .LBB120_5
.LBB120_48:
	s_or_b64 exec, exec, s[4:5]
	v_readlane_b32 s24, v119, 6
	v_readlane_b32 s26, v119, 9
	;; [unrolled: 1-line block ×9, first 2 shown]
.LBB120_49:
	s_or_b64 exec, exec, s[28:29]
	v_mul_u32_u24_e32 v18, 0x808, v115
	v_lshlrev_b32_e32 v19, 2, v114
	v_add3_u32 v18, 0, v18, v19
	v_and_b32_e32 v19, 0x3f0, v17
	v_add_u32_e32 v19, v18, v19
	s_lshl_b64 s[0:1], s[26:27], 2
	s_barrier
	ds_write2_b32 v19, v8, v9 offset1:1
	ds_write_b32 v19, v10 offset:8
	v_or_b32_e32 v8, 12, v17
	s_add_u32 s4, s22, s0
	v_and_b32_e32 v8, 0x3fc, v8
	s_addc_u32 s5, s23, s1
	v_add_u32_e32 v8, v18, v8
	ds_write_b32 v8, v11
	ds_write2_b32 v19, v4, v5 offset0:16 offset1:17
	ds_write_b32 v19, v6 offset:72
	ds_write_b32 v8, v7 offset:64
	ds_write2_b32 v19, v0, v1 offset0:32 offset1:33
	ds_write_b32 v19, v2 offset:136
	ds_write_b32 v8, v3 offset:128
	;; [unrolled: 3-line block ×3, first 2 shown]
	s_cmp_gt_i32 s14, 0
	v_add_u32_e32 v0, s2, v16
	s_cselect_b64 s[6:7], -1, 0
	v_cmp_gt_i32_e64 s[0:1], s33, v0
	v_cmp_gt_u32_e32 vcc, 14, v16
	s_and_b64 s[0:1], s[6:7], s[0:1]
	v_lshl_add_u32 v3, v17, 2, 0
	v_add_u32_e32 v2, s11, v17
	s_and_b64 s[8:9], vcc, s[0:1]
	s_waitcnt lgkmcnt(0)
	s_barrier
	s_and_saveexec_b64 s[0:1], s[8:9]
	s_cbranch_execz .LBB120_52
; %bb.50:
	v_ashrrev_i32_e32 v1, 31, v0
	v_lshl_add_u64 v[0:1], v[0:1], 2, s[4:5]
	global_load_dword v0, v[0:1], off
	s_waitcnt vmcnt(0)
	v_mul_hi_u32 v1, v0, s19
	v_add_u32_e32 v1, v0, v1
	v_lshrrev_b32_e32 v1, s24, v1
	v_cmp_gt_i32_e32 vcc, s13, v1
	s_and_b64 exec, exec, vcc
	s_cbranch_execz .LBB120_52
; %bb.51:
	s_movk_i32 s3, 0x808
	v_mad_u32_u24 v10, v16, s3, v3
	ds_read2st64_b32 v[4:5], v10 offset1:1
	ds_read2st64_b32 v[6:7], v10 offset0:2 offset1:3
	ds_read2st64_b32 v[8:9], v10 offset0:4 offset1:5
	;; [unrolled: 1-line block ×3, first 2 shown]
	v_mul_lo_u32 v12, v1, s25
	v_sub_u32_e32 v0, v0, v12
	v_mul_lo_u32 v0, v0, s10
	s_waitcnt lgkmcnt(3)
	v_add_f32_e32 v4, 0, v4
	v_add_f32_e32 v4, v4, v5
	s_waitcnt lgkmcnt(2)
	v_add_f32_e32 v4, v4, v6
	v_add_f32_e32 v4, v4, v7
	;; [unrolled: 3-line block ×3, first 2 shown]
	v_mul_lo_u32 v1, v1, s21
	v_readlane_b32 s8, v119, 0
	s_waitcnt lgkmcnt(0)
	v_add_f32_e32 v4, v4, v10
	v_add3_u32 v0, v2, v1, v0
	v_mov_b32_e32 v1, 0
	v_readlane_b32 s9, v119, 1
	v_add_f32_e32 v4, v4, v11
	s_nop 0
	v_lshl_add_u64 v[0:1], v[0:1], 2, s[8:9]
	global_store_dword v[0:1], v4, off
.LBB120_52:
	s_or_b64 exec, exec, s[0:1]
	v_cmp_gt_u32_e32 vcc, 6, v16
	s_and_saveexec_b64 s[0:1], vcc
	s_cbranch_execz .LBB120_56
; %bb.53:
	v_or_b32_e32 v4, 8, v16
	v_add_u32_e32 v0, s2, v4
	v_cmp_gt_i32_e32 vcc, s33, v0
	s_and_b64 s[0:1], s[6:7], vcc
	s_and_b64 exec, exec, s[0:1]
	s_cbranch_execz .LBB120_56
; %bb.54:
	s_ashr_i32 s3, s2, 31
	v_mov_b32_e32 v17, 0
	v_lshl_add_u64 v[0:1], v[16:17], 0, s[2:3]
	v_lshl_add_u64 v[0:1], v[0:1], 2, s[4:5]
	global_load_dword v0, v[0:1], off offset:32
	s_waitcnt vmcnt(0)
	v_mul_hi_u32 v1, v0, s19
	v_add_u32_e32 v1, v0, v1
	v_lshrrev_b32_e32 v1, s24, v1
	v_cmp_gt_i32_e32 vcc, s13, v1
	s_and_b64 exec, exec, vcc
	s_cbranch_execz .LBB120_56
; %bb.55:
	s_movk_i32 s0, 0x808
	v_mad_u32_u24 v3, v4, s0, v3
	ds_read2st64_b32 v[4:5], v3 offset1:1
	ds_read2st64_b32 v[6:7], v3 offset0:2 offset1:3
	ds_read2st64_b32 v[8:9], v3 offset0:4 offset1:5
	;; [unrolled: 1-line block ×3, first 2 shown]
	v_mul_lo_u32 v12, v1, s25
	v_sub_u32_e32 v0, v0, v12
	v_mul_lo_u32 v0, v0, s10
	s_waitcnt lgkmcnt(3)
	v_add_f32_e32 v3, 0, v4
	v_add_f32_e32 v3, v3, v5
	s_waitcnt lgkmcnt(2)
	v_add_f32_e32 v3, v3, v6
	v_add_f32_e32 v3, v3, v7
	;; [unrolled: 3-line block ×3, first 2 shown]
	v_mul_lo_u32 v1, v1, s21
	v_readlane_b32 s0, v119, 0
	s_waitcnt lgkmcnt(0)
	v_add_f32_e32 v3, v3, v10
	v_add3_u32 v16, v2, v1, v0
	v_readlane_b32 s1, v119, 1
	v_add_f32_e32 v3, v3, v11
	s_nop 0
	v_lshl_add_u64 v[0:1], v[16:17], 2, s[0:1]
	global_store_dword v[0:1], v3, off
.LBB120_56:
	s_endpgm
	.section	.rodata,"a",@progbits
	.p2align	6, 0x0
	.amdhsa_kernel _ZL13mul_mat_f_idsI7__half2Li64ELi14ELi8EEvPKT_PKfPKiS7_S7_Pfiiiiiiiiiiiiii15HIP_vector_typeIjLj3EESA_
		.amdhsa_group_segment_fixed_size 0
		.amdhsa_private_segment_fixed_size 0
		.amdhsa_kernarg_size 128
		.amdhsa_user_sgpr_count 2
		.amdhsa_user_sgpr_dispatch_ptr 0
		.amdhsa_user_sgpr_queue_ptr 0
		.amdhsa_user_sgpr_kernarg_segment_ptr 1
		.amdhsa_user_sgpr_dispatch_id 0
		.amdhsa_user_sgpr_kernarg_preload_length 0
		.amdhsa_user_sgpr_kernarg_preload_offset 0
		.amdhsa_user_sgpr_private_segment_size 0
		.amdhsa_uses_dynamic_stack 0
		.amdhsa_enable_private_segment 0
		.amdhsa_system_sgpr_workgroup_id_x 1
		.amdhsa_system_sgpr_workgroup_id_y 1
		.amdhsa_system_sgpr_workgroup_id_z 1
		.amdhsa_system_sgpr_workgroup_info 0
		.amdhsa_system_vgpr_workitem_id 1
		.amdhsa_next_free_vgpr 120
		.amdhsa_next_free_sgpr 100
		.amdhsa_accum_offset 120
		.amdhsa_reserve_vcc 1
		.amdhsa_float_round_mode_32 0
		.amdhsa_float_round_mode_16_64 0
		.amdhsa_float_denorm_mode_32 3
		.amdhsa_float_denorm_mode_16_64 3
		.amdhsa_dx10_clamp 1
		.amdhsa_ieee_mode 1
		.amdhsa_fp16_overflow 0
		.amdhsa_tg_split 0
		.amdhsa_exception_fp_ieee_invalid_op 0
		.amdhsa_exception_fp_denorm_src 0
		.amdhsa_exception_fp_ieee_div_zero 0
		.amdhsa_exception_fp_ieee_overflow 0
		.amdhsa_exception_fp_ieee_underflow 0
		.amdhsa_exception_fp_ieee_inexact 0
		.amdhsa_exception_int_div_zero 0
	.end_amdhsa_kernel
	.section	.text._ZL13mul_mat_f_idsI7__half2Li64ELi14ELi8EEvPKT_PKfPKiS7_S7_Pfiiiiiiiiiiiiii15HIP_vector_typeIjLj3EESA_,"axG",@progbits,_ZL13mul_mat_f_idsI7__half2Li64ELi14ELi8EEvPKT_PKfPKiS7_S7_Pfiiiiiiiiiiiiii15HIP_vector_typeIjLj3EESA_,comdat
.Lfunc_end120:
	.size	_ZL13mul_mat_f_idsI7__half2Li64ELi14ELi8EEvPKT_PKfPKiS7_S7_Pfiiiiiiiiiiiiii15HIP_vector_typeIjLj3EESA_, .Lfunc_end120-_ZL13mul_mat_f_idsI7__half2Li64ELi14ELi8EEvPKT_PKfPKiS7_S7_Pfiiiiiiiiiiiiii15HIP_vector_typeIjLj3EESA_
                                        ; -- End function
	.section	.AMDGPU.csdata,"",@progbits
; Kernel info:
; codeLenInByte = 6772
; NumSgprs: 106
; NumVgprs: 120
; NumAgprs: 0
; TotalNumVgprs: 120
; ScratchSize: 0
; MemoryBound: 0
; FloatMode: 240
; IeeeMode: 1
; LDSByteSize: 0 bytes/workgroup (compile time only)
; SGPRBlocks: 13
; VGPRBlocks: 14
; NumSGPRsForWavesPerEU: 106
; NumVGPRsForWavesPerEU: 120
; AccumOffset: 120
; Occupancy: 4
; WaveLimiterHint : 1
; COMPUTE_PGM_RSRC2:SCRATCH_EN: 0
; COMPUTE_PGM_RSRC2:USER_SGPR: 2
; COMPUTE_PGM_RSRC2:TRAP_HANDLER: 0
; COMPUTE_PGM_RSRC2:TGID_X_EN: 1
; COMPUTE_PGM_RSRC2:TGID_Y_EN: 1
; COMPUTE_PGM_RSRC2:TGID_Z_EN: 1
; COMPUTE_PGM_RSRC2:TIDIG_COMP_CNT: 1
; COMPUTE_PGM_RSRC3_GFX90A:ACCUM_OFFSET: 29
; COMPUTE_PGM_RSRC3_GFX90A:TG_SPLIT: 0
	.section	.text._ZL9mul_mat_fI7__half2Li64ELi14ELi8ELb1EEvPKT_PKfPKiPfiiiiiiiiiiiiiiii,"axG",@progbits,_ZL9mul_mat_fI7__half2Li64ELi14ELi8ELb1EEvPKT_PKfPKiPfiiiiiiiiiiiiiiii,comdat
	.globl	_ZL9mul_mat_fI7__half2Li64ELi14ELi8ELb1EEvPKT_PKfPKiPfiiiiiiiiiiiiiiii ; -- Begin function _ZL9mul_mat_fI7__half2Li64ELi14ELi8ELb1EEvPKT_PKfPKiPfiiiiiiiiiiiiiiii
	.p2align	8
	.type	_ZL9mul_mat_fI7__half2Li64ELi14ELi8ELb1EEvPKT_PKfPKiPfiiiiiiiiiiiiiiii,@function
_ZL9mul_mat_fI7__half2Li64ELi14ELi8ELb1EEvPKT_PKfPKiPfiiiiiiiiiiiiiiii: ; @_ZL9mul_mat_fI7__half2Li64ELi14ELi8ELb1EEvPKT_PKfPKiPfiiiiiiiiiiiiiiii
; %bb.0:
	s_load_dwordx8 s[40:47], s[0:1], 0x20
	s_load_dwordx4 s[48:51], s[0:1], 0x44
	s_load_dword s7, s[0:1], 0x64
	s_load_dwordx2 s[8:9], s[0:1], 0x10
	v_and_b32_e32 v16, 0x3ff, v0
	v_bfe_u32 v17, v0, 10, 10
	s_waitcnt lgkmcnt(0)
	s_add_i32 s6, s41, 13
	s_mul_hi_i32 s5, s6, 0x92492493
	s_add_i32 s5, s5, s6
	s_lshr_b32 s6, s5, 31
	s_ashr_i32 s5, s5, 3
	s_add_i32 s5, s5, s6
	v_cvt_f32_u32_e32 v1, s5
	s_add_u32 s12, s0, 0x60
	s_addc_u32 s13, s1, 0
	s_sub_i32 s6, 0, s5
	v_rcp_iflag_f32_e32 v1, v1
	s_abs_i32 s22, s51
	v_mul_f32_e32 v1, 0x4f7ffffe, v1
	v_cvt_u32_f32_e32 v1, v1
	v_mul_lo_u32 v2, s6, v1
	v_mul_hi_u32 v2, v1, v2
	v_add_u32_e32 v1, v1, v2
	v_mul_hi_u32 v1, s7, v1
	v_mul_lo_u32 v2, v1, s5
	v_sub_u32_e32 v2, s7, v2
	v_add_u32_e32 v3, 1, v1
	v_subrev_u32_e32 v4, s5, v2
	v_cmp_le_u32_e32 vcc, s5, v2
	s_nop 1
	v_cndmask_b32_e32 v1, v1, v3, vcc
	v_cndmask_b32_e32 v2, v2, v4, vcc
	v_add_u32_e32 v3, 1, v1
	v_cmp_le_u32_e32 vcc, s5, v2
	s_sub_i32 s5, 0, s22
	s_nop 0
	v_cndmask_b32_e32 v1, v1, v3, vcc
	v_cvt_f32_u32_e32 v2, v1
	v_cvt_f32_u32_e32 v3, s22
	v_cmp_eq_u32_e32 vcc, 0, v16
	v_rcp_iflag_f32_e32 v2, v2
	v_rcp_iflag_f32_e32 v3, v3
	v_mul_f32_e32 v2, 0x4f7ffffe, v2
	v_cvt_u32_f32_e32 v2, v2
	v_mul_f32_e32 v3, 0x4f7ffffe, v3
	v_cvt_u32_f32_e32 v8, v3
	v_sub_u32_e32 v3, 0, v1
	v_mul_lo_u32 v3, v3, v2
	v_mul_hi_u32 v3, v2, v3
	v_add_u32_e32 v2, v2, v3
	v_mul_hi_u32 v2, s3, v2
	s_and_saveexec_b64 s[6:7], vcc
	s_cbranch_execz .LBB121_2
; %bb.1:
	v_mov_b32_e32 v3, 0x100
	v_lshl_add_u32 v3, v17, 2, v3
	v_mov_b32_e32 v4, -1
	ds_write_b32 v3, v4
.LBB121_2:
	s_or_b64 exec, exec, s[6:7]
	v_mul_lo_u32 v3, v2, v1
	v_sub_u32_e32 v3, s3, v3
	v_add_u32_e32 v4, 1, v2
	v_sub_u32_e32 v5, v3, v1
	v_cmp_ge_u32_e64 s[6:7], v3, v1
	v_mul_lo_u32 v9, s5, v8
	s_nop 0
	v_cndmask_b32_e64 v2, v2, v4, s[6:7]
	v_cndmask_b32_e64 v3, v3, v5, s[6:7]
	v_add_u32_e32 v4, 1, v2
	v_cmp_ge_u32_e64 s[6:7], v3, v1
	s_nop 1
	v_cndmask_b32_e64 v2, v2, v4, s[6:7]
	v_mul_lo_u32 v94, v2, 14
	v_mul_lo_u32 v1, v2, v1
	v_mul_hi_i32 v3, v94, s47
	v_mul_lo_u32 v2, v94, s47
	v_sub_u32_e32 v18, s3, v1
	v_lshlrev_b64 v[2:3], 2, v[2:3]
	v_add_u32_e32 v1, v17, v94
	v_lshl_add_u64 v[2:3], s[8:9], 0, v[2:3]
	v_cmp_gt_i32_e64 s[6:7], s42, v16
	v_cmp_gt_i32_e64 s[24:25], s41, v1
	v_mov_b32_e32 v1, 0
	s_and_saveexec_b64 s[14:15], s[24:25]
	s_cbranch_execz .LBB121_10
; %bb.3:
	v_mov_b32_e32 v1, 0
	s_and_saveexec_b64 s[16:17], s[6:7]
	s_cbranch_execz .LBB121_9
; %bb.4:
	v_mul_lo_u32 v4, v17, s47
	v_ashrrev_i32_e32 v5, 31, v4
	v_mov_b32_e32 v1, 0x100
	v_lshl_add_u64 v[4:5], v[4:5], 2, v[2:3]
	v_lshl_add_u32 v10, v17, 2, v1
	v_mul_lo_u32 v6, v16, s46
	s_lshl_b32 s3, s46, 6
	s_mov_b64 s[18:19], 0
	v_mov_b32_e32 v1, 0
	v_mov_b32_e32 v11, v16
	s_branch .LBB121_6
.LBB121_5:                              ;   in Loop: Header=BB121_6 Depth=1
	s_or_b64 exec, exec, s[20:21]
	v_add_u32_e32 v11, 64, v11
	v_cmp_le_i32_e64 s[10:11], s42, v11
	s_xor_b64 s[8:9], s[8:9], -1
	s_or_b64 s[8:9], s[8:9], s[10:11]
	s_and_b64 s[8:9], exec, s[8:9]
	s_or_b64 s[18:19], s[8:9], s[18:19]
	v_add_u32_e32 v6, s3, v6
	s_andn2_b64 exec, exec, s[18:19]
	s_cbranch_execz .LBB121_8
.LBB121_6:                              ; =>This Inner Loop Header: Depth=1
	v_ashrrev_i32_e32 v7, 31, v6
	v_lshl_add_u64 v[12:13], v[6:7], 2, v[4:5]
	global_load_dword v7, v[12:13], off
	s_waitcnt vmcnt(0)
	v_cmp_ne_u32_e64 s[8:9], v7, v18
	v_cmp_eq_u32_e64 s[10:11], v7, v18
	s_and_saveexec_b64 s[20:21], s[10:11]
	s_cbranch_execz .LBB121_5
; %bb.7:                                ;   in Loop: Header=BB121_6 Depth=1
	v_mov_b32_e32 v1, 1
	ds_write_b32 v10, v11
	s_branch .LBB121_5
.LBB121_8:
	s_or_b64 exec, exec, s[18:19]
.LBB121_9:
	s_or_b64 exec, exec, s[16:17]
.LBB121_10:
	s_or_b64 exec, exec, s[14:15]
	v_mul_hi_u32 v4, v8, v9
	s_and_saveexec_b64 s[8:9], vcc
	s_cbranch_execz .LBB121_12
; %bb.11:
	v_mov_b32_e32 v5, 0x100
	v_lshl_add_u32 v5, v17, 2, v5
	v_mov_b32_e32 v6, -1
	ds_write_b32 v5, v6 offset:32
.LBB121_12:
	s_or_b64 exec, exec, s[8:9]
	s_load_dwordx4 s[28:31], s[0:1], 0x54
	v_add_u32_e32 v95, 8, v17
	s_abs_i32 s3, s4
	v_add_u32_e32 v6, v8, v4
	v_add_u32_e32 v4, v95, v94
	v_cmp_gt_i32_e64 s[10:11], s41, v4
	s_mov_b64 s[8:9], exec
                                        ; implicit-def: $vgpr109 : SGPR spill to VGPR lane
	s_nop 0
	v_writelane_b32 v109, s10, 0
	s_nop 1
	v_writelane_b32 v109, s11, 1
	s_and_b64 s[10:11], s[8:9], s[10:11]
	s_mov_b64 exec, s[10:11]
	s_cbranch_execz .LBB121_20
; %bb.13:
	s_and_saveexec_b64 s[10:11], s[6:7]
	s_cbranch_execz .LBB121_19
; %bb.14:
	v_mul_lo_u32 v4, v95, s47
	v_ashrrev_i32_e32 v5, 31, v4
	v_lshl_add_u64 v[2:3], v[4:5], 2, v[2:3]
	v_mov_b32_e32 v4, 0x100
	v_lshl_add_u32 v7, v17, 2, v4
	v_mul_lo_u32 v4, v16, s46
	s_lshl_b32 s5, s46, 6
	s_mov_b64 s[14:15], 0
	v_mov_b32_e32 v8, v16
	s_branch .LBB121_16
.LBB121_15:                             ;   in Loop: Header=BB121_16 Depth=1
	s_or_b64 exec, exec, s[16:17]
	v_add_u32_e32 v8, 64, v8
	v_cmp_le_i32_e64 s[6:7], s42, v8
	s_xor_b64 s[16:17], vcc, -1
	s_or_b64 s[6:7], s[16:17], s[6:7]
	s_and_b64 s[6:7], exec, s[6:7]
	s_or_b64 s[14:15], s[6:7], s[14:15]
	v_add_u32_e32 v4, s5, v4
	s_andn2_b64 exec, exec, s[14:15]
	s_cbranch_execz .LBB121_18
.LBB121_16:                             ; =>This Inner Loop Header: Depth=1
	v_ashrrev_i32_e32 v5, 31, v4
	v_lshl_add_u64 v[10:11], v[4:5], 2, v[2:3]
	global_load_dword v5, v[10:11], off
	s_waitcnt vmcnt(0)
	v_cmp_ne_u32_e32 vcc, v5, v18
	v_cmp_eq_u32_e64 s[6:7], v5, v18
	s_and_saveexec_b64 s[16:17], s[6:7]
	s_cbranch_execz .LBB121_15
; %bb.17:                               ;   in Loop: Header=BB121_16 Depth=1
	v_mov_b32_e32 v1, 1
	ds_write_b32 v7, v8 offset:32
	s_branch .LBB121_15
.LBB121_18:
	s_or_b64 exec, exec, s[14:15]
.LBB121_19:
	s_or_b64 exec, exec, s[10:11]
.LBB121_20:
	s_or_b64 exec, exec, s[8:9]
	s_load_dwordx2 s[6:7], s[12:13], 0xc
	s_load_dwordx2 s[8:9], s[0:1], 0x8
	;; [unrolled: 1-line block ×3, first 2 shown]
	v_cmp_ne_u32_e32 vcc, 0, v1
	v_mul_hi_u32 v19, s3, v6
	s_waitcnt lgkmcnt(0)
	s_and_b32 s5, s7, 0xffff
	v_cndmask_b32_e64 v1, 0, 1, vcc
	v_writelane_b32 v109, s10, 2
	s_lshr_b32 s7, s6, 16
	v_or_b32_dpp v1, v1, v1 row_shl:1 row_mask:0xf bank_mask:0xf bound_ctrl:1
	s_and_b32 s6, s6, 0xffff
	v_writelane_b32 v109, s11, 3
	v_or_b32_dpp v1, v1, v1 row_shl:2 row_mask:0xf bank_mask:0xf bound_ctrl:1
	s_mul_i32 s10, s7, s6
	s_bfe_i32 s10, s10, 0x180000
	v_or_b32_dpp v1, v1, v1 row_shl:4 row_mask:0xf bank_mask:0xf bound_ctrl:1
	s_mul_i32 s5, s10, s5
	s_add_i32 s10, s5, 63
	v_or_b32_dpp v1, v1, v1 row_shl:8 row_mask:0xf bank_mask:0xf bound_ctrl:1
	s_bitcmp1_b32 exec_hi, 0
                                        ; kill: killed $sgpr12 killed $sgpr13
	s_nop 0
	v_mov_b32_dpp v2, v1 wave_shl:1 row_mask:0xf bank_mask:0xf bound_ctrl:1
	s_nop 1
	v_or_b32_dpp v1, v2, v1 row_mirror row_mask:0xf bank_mask:0xf bound_ctrl:1
	s_nop 0
	v_readlane_b32 s5, v1, 32
	s_cselect_b32 s5, s5, 0
	v_readlane_b32 s11, v1, 0
	s_or_b32 s5, s5, s11
	s_andn2_b32 s10, s10, 63
	s_cmp_lg_u32 s10, 64
	v_mov_b32_e32 v1, s5
	s_cbranch_scc0 .LBB121_27
; %bb.21:
	v_bfe_u32 v0, v0, 20, 10
	v_mbcnt_lo_u32_b32 v1, -1, 0
	v_mad_u32_u24 v0, v0, s7, v17
	v_mbcnt_hi_u32_b32 v2, -1, v1
	v_mad_u64_u32 v[0:1], s[6:7], v0, s6, v[16:17]
	v_lshrrev_b32_e32 v1, 6, v0
	v_or_b32_e32 v1, v2, v1
	v_cmp_eq_u32_e32 vcc, 0, v1
	s_and_saveexec_b64 s[6:7], vcc
	s_cbranch_execz .LBB121_23
; %bb.22:
	v_mov_b32_e32 v1, 0
	v_mov_b32_e32 v3, s5
	ds_write_b32 v1, v3
.LBB121_23:
	s_or_b64 exec, exec, s[6:7]
	v_cmp_eq_u32_e32 vcc, 0, v2
	v_cmp_lt_u32_e64 s[6:7], 63, v0
	s_and_b64 s[10:11], s[6:7], vcc
	s_waitcnt lgkmcnt(0)
	s_barrier
	s_and_saveexec_b64 s[6:7], s[10:11]
	s_cbranch_execz .LBB121_26
; %bb.24:
	v_mbcnt_lo_u32_b32 v0, exec_lo, 0
	v_mbcnt_hi_u32_b32 v0, exec_hi, v0
	v_cmp_eq_u32_e32 vcc, 0, v0
	s_and_b64 exec, exec, vcc
	s_cbranch_execz .LBB121_26
; %bb.25:
	v_mov_b32_e32 v0, 0
	v_mov_b32_e32 v1, s5
	ds_or_b32 v0, v1
.LBB121_26:
	s_or_b64 exec, exec, s[6:7]
	v_mov_b32_e32 v0, 0
	s_waitcnt lgkmcnt(0)
	s_barrier
	ds_read_b32 v1, v0
	s_waitcnt lgkmcnt(0)
	s_barrier
.LBB121_27:
	s_load_dwordx2 s[0:1], s[0:1], 0x0
	v_cmp_ne_u32_e32 vcc, 0, v1
	s_ashr_i32 s5, s4, 31
	s_ashr_i32 s10, s51, 31
	s_cbranch_vccz .LBB121_83
; %bb.28:
	v_lshlrev_b32_e32 v96, 6, v17
	v_add_u32_e32 v98, v96, v16
	v_cmp_le_i32_e32 vcc, s40, v98
	v_and_b32_e32 v97, 15, v16
                                        ; implicit-def: $sgpr11
	s_and_saveexec_b64 s[6:7], vcc
	s_xor_b64 s[6:7], exec, s[6:7]
; %bb.29:
	v_and_b32_e32 v97, 15, v16
	s_mov_b32 s11, 0
                                        ; implicit-def: $vgpr98
                                        ; implicit-def: $vgpr19
                                        ; implicit-def: $vgpr18
; %bb.30:
	s_or_saveexec_b64 s[12:13], s[6:7]
	s_lshl_b32 s6, s2, 6
	v_mov_b32_e32 v11, s11
	v_mov_b32_e32 v10, s11
	;; [unrolled: 1-line block ×16, first 2 shown]
	v_writelane_b32 v109, s12, 4
	s_nop 1
	v_writelane_b32 v109, s13, 5
	s_xor_b64 exec, exec, s[12:13]
	s_cbranch_execz .LBB121_76
; %bb.31:
	v_mul_lo_u32 v0, v19, s22
	v_sub_u32_e32 v0, s3, v0
	v_add_u32_e32 v1, 1, v19
	v_subrev_u32_e32 v2, s22, v0
	v_cmp_le_u32_e32 vcc, s22, v0
	s_xor_b32 s2, s5, s10
	v_writelane_b32 v109, s24, 6
	v_cndmask_b32_e32 v1, v19, v1, vcc
	v_cndmask_b32_e32 v0, v0, v2, vcc
	v_add_u32_e32 v2, 1, v1
	v_cmp_le_u32_e32 vcc, s22, v0
	v_writelane_b32 v109, s25, 7
	v_writelane_b32 v109, s6, 8
	v_cndmask_b32_e32 v0, v1, v2, vcc
	v_xor_b32_e32 v0, s2, v0
	v_subrev_u32_e32 v0, s2, v0
	s_mul_i32 s2, s6, s43
	v_mul_hi_i32 v1, v0, s28
	v_mul_lo_u32 v0, v0, s28
	v_mul_lo_u32 v2, v18, s48
	s_ashr_i32 s3, s2, 31
	v_ashrrev_i32_e32 v3, 31, v2
	v_lshlrev_b64 v[0:1], 2, v[0:1]
	s_lshl_b64 s[6:7], s[2:3], 2
	s_movk_i32 s2, 0x1080
	v_mov_b32_e32 v99, 0x100
	v_writelane_b32 v109, s4, 9
	s_waitcnt lgkmcnt(0)
	v_lshl_add_u64 v[4:5], s[0:1], 0, v[0:1]
	v_lshlrev_b64 v[2:3], 2, v[2:3]
	v_mad_u32_u24 v6, v17, s2, v99
	s_mul_hi_i32 s3, s29, s4
	v_writelane_b32 v109, s28, 10
	s_mul_i32 s2, s29, s4
	v_lshl_add_u64 v[4:5], v[4:5], 0, v[2:3]
	s_lshl_b64 s[2:3], s[2:3], 2
	v_lshl_add_u64 v[18:19], v[4:5], 0, s[6:7]
	v_writelane_b32 v109, s29, 11
	v_mul_hi_i32 v5, s44, v94
	v_mul_lo_u32 v4, s44, v94
	s_add_u32 s2, s8, s2
	v_writelane_b32 v109, s30, 12
	v_lshlrev_b64 v[4:5], 3, v[4:5]
	s_addc_u32 s3, s9, s3
	v_writelane_b32 v109, s31, 13
	v_lshl_add_u64 v[20:21], s[2:3], 0, v[4:5]
	s_lshl_b32 s2, s44, 3
	v_writelane_b32 v109, s2, 14
	s_mul_i32 s2, s44, 6
	v_writelane_b32 v109, s2, 15
	s_lshl_b32 s2, s44, 4
	v_writelane_b32 v109, s2, 16
	s_mul_i32 s2, s44, 10
	v_lshl_add_u64 v[0:1], v[0:1], 0, s[6:7]
	v_writelane_b32 v109, s2, 17
	s_mul_i32 s2, s44, 12
	v_lshl_add_u64 v[0:1], v[0:1], 0, v[2:3]
	v_writelane_b32 v109, s2, 18
	v_lshl_add_u64 v[0:1], s[0:1], 0, v[0:1]
	s_mul_i32 s0, s44, 26
	v_writelane_b32 v109, s0, 19
	s_mul_i32 s0, s44, 24
	v_writelane_b32 v109, s0, 20
	;; [unrolled: 2-line block ×5, first 2 shown]
	s_mul_i32 s0, s44, 14
	v_lshrrev_b32_e32 v5, 1, v16
	v_writelane_b32 v109, s0, 24
	s_lshl_b32 s0, s44, 1
	v_mul_u32_u24_e32 v4, 0x108, v97
	v_and_b32_e32 v5, 0x1f8, v5
	v_writelane_b32 v109, s0, 25
	s_mul_i32 s0, s43, 3
	v_add3_u32 v101, v6, v4, v5
	v_or_b32_e32 v26, 1, v94
	v_add_u32_e32 v27, 2, v94
	s_lshl_b32 s42, s44, 2
	v_add_u32_e32 v28, 3, v94
	v_add_u32_e32 v29, 4, v94
	;; [unrolled: 1-line block ×11, first 2 shown]
	s_ashr_i32 s3, s43, 31
	s_mov_b32 s2, s43
	v_lshlrev_b32_e32 v4, 1, v16
	v_lshlrev_b32_e32 v22, 2, v98
	v_mov_b32_e32 v23, 0
	v_writelane_b32 v109, s0, 26
	s_mul_i32 s0, s43, 5
	v_lshl_add_u32 v100, v16, 2, v6
	v_lshl_add_u32 v102, v17, 7, v4
	s_lshl_b64 s[2:3], s[2:3], 2
	v_lshl_add_u64 v[24:25], v[0:1], 0, v[22:23]
	s_lshl_b32 s64, s43, 1
	s_lshl_b32 s66, s43, 2
	v_writelane_b32 v109, s0, 27
	s_mul_i32 s68, s43, 6
	s_mul_i32 s69, s43, 7
	s_lshl_b32 s70, s43, 3
	s_mul_i32 s71, s43, 9
	s_mul_i32 s72, s43, 10
	;; [unrolled: 1-line block ×7, first 2 shown]
	s_lshl_b32 s78, s43, 4
	s_mul_i32 s79, s43, 17
	s_mul_i32 s80, s43, 18
	;; [unrolled: 1-line block ×15, first 2 shown]
	s_lshl_b32 s94, s43, 5
	s_mul_i32 s95, s43, 33
	s_mul_i32 s96, s43, 34
	;; [unrolled: 1-line block ×10, first 2 shown]
	v_cmp_gt_i32_e64 s[0:1], s41, v94
	s_mul_i32 s56, s43, 43
	s_mul_i32 s57, s43, 44
	v_mov_b32_e32 v12, 0
	v_mov_b32_e32 v13, v23
	;; [unrolled: 1-line block ×16, first 2 shown]
	s_mul_i32 s46, s43, 45
	s_mul_i32 s47, s43, 46
	s_mul_i32 s58, s43, 47
	s_mul_i32 s59, s43, 48
	s_mul_i32 s60, s43, 49
	s_mul_i32 s61, s43, 50
	s_mul_i32 s62, s43, 51
	s_mul_i32 s63, s43, 52
	s_mul_i32 s36, s43, 53
	s_mul_i32 s37, s43, 54
	s_mul_i32 s34, s43, 55
	s_mul_i32 s35, s43, 56
	s_mul_i32 s33, s43, 57
	s_mul_i32 s48, s43, 58
	s_mul_i32 s55, s43, 59
	s_mul_i32 s44, s43, 60
	s_mul_i32 s4, s43, 61
	s_mul_i32 s65, s43, 62
	s_mul_i32 s67, s43, 63
	v_cmp_gt_i32_e64 s[6:7], s41, v26
	v_cmp_gt_i32_e64 s[8:9], s41, v27
	;; [unrolled: 1-line block ×13, first 2 shown]
	s_mov_b32 s41, s42
	s_mov_b64 s[42:43], 0
	s_mov_b64 s[52:53], 0x800
	s_branch .LBB121_33
.LBB121_32:                             ;   in Loop: Header=BB121_33 Depth=1
	s_waitcnt vmcnt(0)
	v_cvt_f16_f32_e32 v22, v90
	v_cvt_f16_f32_e32 v90, v91
	v_add_u32_e32 v91, 0xc00, v100
	ds_write_b32 v100, v23 offset:4024
	v_add_u32_e32 v98, 0x200, v98
	v_pack_b32_f16 v22, v22, v90
	ds_write2_b32 v91, v22, v23 offset0:106 offset1:172
	ds_read2_b64 v[90:93], v101 offset0:8 offset1:12
	v_cmp_le_i32_e32 vcc, s40, v98
	v_add_u32_e32 v102, 0x400, v102
	v_lshl_add_u64 v[24:25], v[24:25], 0, s[52:53]
	s_waitcnt lgkmcnt(0)
	v_mfma_f32_16x16x16_f16 v[4:7], v[58:59], v[90:91], v[4:7]
	s_or_b64 s[42:43], vcc, s[42:43]
	v_mfma_f32_16x16x16_f16 v[8:11], v[42:43], v[90:91], v[8:11]
	v_mfma_f32_16x16x16_f16 v[0:3], v[74:75], v[90:91], v[0:3]
	v_mfma_f32_16x16x16_f16 v[12:15], v[88:89], v[90:91], v[12:15]
	v_mfma_f32_16x16x16_f16 v[4:7], v[56:57], v[92:93], v[4:7]
	ds_read2_b64 v[56:59], v101 offset0:16 offset1:20
	v_mfma_f32_16x16x16_f16 v[8:11], v[38:39], v[92:93], v[8:11]
	v_mfma_f32_16x16x16_f16 v[0:3], v[72:73], v[92:93], v[0:3]
	v_mfma_f32_16x16x16_f16 v[12:15], v[86:87], v[92:93], v[12:15]
	s_waitcnt lgkmcnt(0)
	v_mfma_f32_16x16x16_f16 v[8:11], v[36:37], v[56:57], v[8:11]
	v_mfma_f32_16x16x16_f16 v[4:7], v[52:53], v[56:57], v[4:7]
	v_mfma_f32_16x16x16_f16 v[0:3], v[70:71], v[56:57], v[0:3]
	v_mfma_f32_16x16x16_f16 v[12:15], v[82:83], v[56:57], v[12:15]
	v_mfma_f32_16x16x16_f16 v[8:11], v[34:35], v[58:59], v[8:11]
	ds_read2_b64 v[34:37], v101 offset0:24 offset1:28
	v_mfma_f32_16x16x16_f16 v[4:7], v[50:51], v[58:59], v[4:7]
	v_mfma_f32_16x16x16_f16 v[0:3], v[68:69], v[58:59], v[0:3]
	v_mfma_f32_16x16x16_f16 v[12:15], v[78:79], v[58:59], v[12:15]
	s_waitcnt lgkmcnt(0)
	v_mfma_f32_16x16x16_f16 v[8:11], v[32:33], v[34:35], v[8:11]
	;; [unrolled: 10-line block ×3, first 2 shown]
	v_mfma_f32_16x16x16_f16 v[4:7], v[44:45], v[30:31], v[4:7]
	v_mfma_f32_16x16x16_f16 v[0:3], v[60:61], v[30:31], v[0:3]
	;; [unrolled: 1-line block ×7, first 2 shown]
	s_andn2_b64 exec, exec, s[42:43]
	s_cbranch_execz .LBB121_75
.LBB121_33:                             ; =>This Inner Loop Header: Depth=1
	v_lshl_add_u64 v[26:27], v[24:25], 0, s[2:3]
	v_readlane_b32 vcc_lo, v109, 26
	global_load_dword v22, v[24:25], off
	global_load_dword v52, v[26:27], off
	v_add_u32_e32 v26, s64, v98
	v_add_u32_e32 v28, vcc_lo, v98
	v_readlane_b32 vcc_lo, v109, 27
	v_ashrrev_i32_e32 v27, 31, v26
	v_add_u32_e32 v30, s66, v98
	v_add_u32_e32 v32, vcc_lo, v98
	v_add_u32_e32 v34, s68, v98
	v_add_u32_e32 v36, s69, v98
	v_lshl_add_u64 v[26:27], v[26:27], 2, v[18:19]
	v_ashrrev_i32_e32 v29, 31, v28
	v_ashrrev_i32_e32 v31, 31, v30
	;; [unrolled: 1-line block ×5, first 2 shown]
	v_lshl_add_u64 v[28:29], v[28:29], 2, v[18:19]
	v_lshl_add_u64 v[30:31], v[30:31], 2, v[18:19]
	;; [unrolled: 1-line block ×5, first 2 shown]
	global_load_dword v53, v[26:27], off
	global_load_dword v54, v[28:29], off
	;; [unrolled: 1-line block ×6, first 2 shown]
	v_add_u32_e32 v26, s70, v98
	v_add_u32_e32 v44, s79, v98
	;; [unrolled: 1-line block ×10, first 2 shown]
	v_ashrrev_i32_e32 v27, 31, v26
	v_ashrrev_i32_e32 v45, 31, v44
	;; [unrolled: 1-line block ×10, first 2 shown]
	v_lshl_add_u64 v[26:27], v[26:27], 2, v[18:19]
	v_lshl_add_u64 v[44:45], v[44:45], 2, v[18:19]
	v_add_u32_e32 v46, s80, v98
	v_add_u32_e32 v48, s81, v98
	;; [unrolled: 1-line block ×3, first 2 shown]
	v_lshl_add_u64 v[28:29], v[28:29], 2, v[18:19]
	v_lshl_add_u64 v[30:31], v[30:31], 2, v[18:19]
	;; [unrolled: 1-line block ×8, first 2 shown]
	global_load_dword v59, v[26:27], off
	global_load_dword v60, v[28:29], off
	;; [unrolled: 1-line block ×9, first 2 shown]
	s_nop 0
	global_load_dword v44, v[44:45], off
	v_add_u32_e32 v26, s83, v98
	v_ashrrev_i32_e32 v47, 31, v46
	v_ashrrev_i32_e32 v49, 31, v48
	;; [unrolled: 1-line block ×4, first 2 shown]
	v_add_u32_e32 v28, s84, v98
	v_add_u32_e32 v30, s85, v98
	v_add_u32_e32 v32, s86, v98
	v_add_u32_e32 v34, s87, v98
	v_lshl_add_u64 v[46:47], v[46:47], 2, v[18:19]
	v_lshl_add_u64 v[48:49], v[48:49], 2, v[18:19]
	;; [unrolled: 1-line block ×4, first 2 shown]
	v_ashrrev_i32_e32 v29, 31, v28
	v_ashrrev_i32_e32 v31, 31, v30
	;; [unrolled: 1-line block ×4, first 2 shown]
	v_lshl_add_u64 v[28:29], v[28:29], 2, v[18:19]
	v_lshl_add_u64 v[30:31], v[30:31], 2, v[18:19]
	;; [unrolled: 1-line block ×4, first 2 shown]
	v_add_u32_e32 v36, s93, v98
	v_add_u32_e32 v38, s94, v98
	;; [unrolled: 1-line block ×3, first 2 shown]
	v_ashrrev_i32_e32 v37, 31, v36
	v_ashrrev_i32_e32 v39, 31, v38
	s_waitcnt vmcnt(17)
	ds_write_b32 v100, v22 offset:64
	s_waitcnt vmcnt(16)
	ds_write_b32 v100, v52 offset:328
	;; [unrolled: 2-line block ×8, first 2 shown]
	global_load_dword v22, v[46:47], off
	global_load_dword v45, v[48:49], off
	s_nop 0
	global_load_dword v46, v[50:51], off
	global_load_dword v47, v[26:27], off
	;; [unrolled: 1-line block ×4, first 2 shown]
	s_nop 0
	global_load_dword v50, v[32:33], off
	global_load_dword v51, v[34:35], off
	v_add_u32_e32 v26, s88, v98
	v_ashrrev_i32_e32 v27, 31, v26
	v_add_u32_e32 v28, s89, v98
	v_add_u32_e32 v30, s90, v98
	v_add_u32_e32 v32, s91, v98
	v_add_u32_e32 v34, s92, v98
	v_lshl_add_u64 v[26:27], v[26:27], 2, v[18:19]
	v_ashrrev_i32_e32 v29, 31, v28
	v_ashrrev_i32_e32 v31, 31, v30
	v_ashrrev_i32_e32 v33, 31, v32
	v_ashrrev_i32_e32 v35, 31, v34
	v_ashrrev_i32_e32 v41, 31, v40
	v_lshl_add_u64 v[28:29], v[28:29], 2, v[18:19]
	v_lshl_add_u64 v[30:31], v[30:31], 2, v[18:19]
	v_lshl_add_u64 v[32:33], v[32:33], 2, v[18:19]
	v_lshl_add_u64 v[34:35], v[34:35], 2, v[18:19]
	v_lshl_add_u64 v[36:37], v[36:37], 2, v[18:19]
	v_lshl_add_u64 v[38:39], v[38:39], 2, v[18:19]
	v_lshl_add_u64 v[40:41], v[40:41], 2, v[18:19]
	global_load_dword v52, v[26:27], off
	global_load_dword v53, v[28:29], off
	global_load_dword v54, v[30:31], off
	global_load_dword v55, v[32:33], off
	global_load_dword v56, v[34:35], off
	global_load_dword v57, v[36:37], off
	global_load_dword v68, v[38:39], off
	global_load_dword v69, v[40:41], off
	v_add_u32_e32 v26, s96, v98
	v_ashrrev_i32_e32 v27, 31, v26
	v_add_u32_e32 v28, s97, v98
	v_add_u32_e32 v30, s98, v98
	v_add_u32_e32 v32, s99, v98
	v_add_u32_e32 v34, s38, v98
	v_add_u32_e32 v36, s39, v98
	v_add_u32_e32 v38, s54, v98
	v_add_u32_e32 v40, s5, v98
	v_lshl_add_u64 v[26:27], v[26:27], 2, v[18:19]
	v_ashrrev_i32_e32 v29, 31, v28
	v_ashrrev_i32_e32 v31, 31, v30
	v_ashrrev_i32_e32 v33, 31, v32
	v_ashrrev_i32_e32 v35, 31, v34
	v_ashrrev_i32_e32 v37, 31, v36
	v_ashrrev_i32_e32 v39, 31, v38
	v_ashrrev_i32_e32 v41, 31, v40
	v_lshl_add_u64 v[28:29], v[28:29], 2, v[18:19]
	v_lshl_add_u64 v[30:31], v[30:31], 2, v[18:19]
	v_lshl_add_u64 v[32:33], v[32:33], 2, v[18:19]
	v_lshl_add_u64 v[34:35], v[34:35], 2, v[18:19]
	v_lshl_add_u64 v[36:37], v[36:37], 2, v[18:19]
	v_lshl_add_u64 v[38:39], v[38:39], 2, v[18:19]
	v_lshl_add_u64 v[40:41], v[40:41], 2, v[18:19]
	global_load_dword v70, v[26:27], off
	global_load_dword v71, v[28:29], off
	global_load_dword v72, v[30:31], off
	global_load_dword v73, v[32:33], off
	global_load_dword v74, v[34:35], off
	global_load_dword v75, v[36:37], off
	global_load_dword v76, v[38:39], off
	global_load_dword v77, v[40:41], off
	v_add_u32_e32 v26, s51, v98
	v_ashrrev_i32_e32 v27, 31, v26
	v_add_u32_e32 v28, s56, v98
	v_add_u32_e32 v30, s57, v98
	v_add_u32_e32 v32, s46, v98
	v_add_u32_e32 v34, s47, v98
	v_add_u32_e32 v36, s58, v98
	v_add_u32_e32 v38, s59, v98
	v_add_u32_e32 v40, s60, v98
	v_lshl_add_u64 v[26:27], v[26:27], 2, v[18:19]
	v_ashrrev_i32_e32 v29, 31, v28
	v_ashrrev_i32_e32 v31, 31, v30
	;; [unrolled: 32-line block ×3, first 2 shown]
	v_ashrrev_i32_e32 v33, 31, v32
	v_ashrrev_i32_e32 v35, 31, v34
	;; [unrolled: 1-line block ×5, first 2 shown]
	v_lshl_add_u64 v[28:29], v[28:29], 2, v[18:19]
	v_lshl_add_u64 v[30:31], v[30:31], 2, v[18:19]
	;; [unrolled: 1-line block ×7, first 2 shown]
	global_load_dword v86, v[26:27], off
	global_load_dword v87, v[28:29], off
	;; [unrolled: 1-line block ×8, first 2 shown]
	v_add_u32_e32 v26, s48, v98
	v_ashrrev_i32_e32 v27, 31, v26
	v_add_u32_e32 v28, s55, v98
	v_add_u32_e32 v30, s44, v98
	v_add_u32_e32 v32, s4, v98
	v_add_u32_e32 v34, s65, v98
	v_add_u32_e32 v36, s67, v98
	v_lshl_add_u64 v[26:27], v[26:27], 2, v[18:19]
	v_ashrrev_i32_e32 v29, 31, v28
	v_ashrrev_i32_e32 v31, 31, v30
	;; [unrolled: 1-line block ×5, first 2 shown]
	v_lshl_add_u64 v[28:29], v[28:29], 2, v[18:19]
	v_lshl_add_u64 v[30:31], v[30:31], 2, v[18:19]
	;; [unrolled: 1-line block ×5, first 2 shown]
	global_load_dword v103, v[26:27], off
	global_load_dword v104, v[28:29], off
	;; [unrolled: 1-line block ×6, first 2 shown]
	s_waitcnt vmcnt(55)
	ds_write_b32 v100, v59 offset:2176
	s_waitcnt vmcnt(54)
	ds_write_b32 v100, v60 offset:2440
	s_waitcnt vmcnt(53)
	ds_write_b32 v100, v61 offset:2704
	s_waitcnt vmcnt(52)
	ds_write_b32 v100, v62 offset:2968
	s_waitcnt vmcnt(51)
	ds_write_b32 v100, v63 offset:3232
	s_waitcnt vmcnt(50)
	ds_write_b32 v100, v64 offset:3496
	s_waitcnt vmcnt(49)
	ds_write_b32 v100, v65 offset:3760
	s_waitcnt vmcnt(48)
	ds_write_b32 v100, v66 offset:4024
	ds_read_b64 v[42:43], v101 offset:64
	ds_read_b64 v[38:39], v101 offset:96
	ds_read_b64 v[36:37], v101 offset:128
	ds_read_b64 v[34:35], v101 offset:160
	ds_read_b64 v[32:33], v101 offset:192
	ds_read_b64 v[30:31], v101 offset:224
	ds_read_b64 v[28:29], v101 offset:256
	ds_read_b64 v[26:27], v101 offset:288
	s_waitcnt vmcnt(47)
	ds_write_b32 v100, v67 offset:64
	s_waitcnt vmcnt(46)
	ds_write_b32 v100, v44 offset:328
	s_waitcnt vmcnt(45)
	ds_write_b32 v100, v22 offset:592
	s_waitcnt vmcnt(44)
	ds_write_b32 v100, v45 offset:856
	s_waitcnt vmcnt(43)
	ds_write_b32 v100, v46 offset:1120
	s_waitcnt vmcnt(42)
	ds_write_b32 v100, v47 offset:1384
	s_waitcnt vmcnt(41)
	ds_write_b32 v100, v48 offset:1648
	s_waitcnt vmcnt(40)
	ds_write_b32 v100, v49 offset:1912
	s_waitcnt vmcnt(39)
	ds_write_b32 v100, v50 offset:2176
	s_waitcnt vmcnt(38)
	ds_write_b32 v100, v51 offset:2440
	s_waitcnt vmcnt(37)
	ds_write_b32 v100, v52 offset:2704
	s_waitcnt vmcnt(36)
	ds_write_b32 v100, v53 offset:2968
	s_waitcnt vmcnt(35)
	ds_write_b32 v100, v54 offset:3232
	s_waitcnt vmcnt(34)
	ds_write_b32 v100, v55 offset:3496
	s_waitcnt vmcnt(33)
	ds_write_b32 v100, v56 offset:3760
	s_waitcnt vmcnt(32)
	ds_write_b32 v100, v57 offset:4024
	ds_read_b64 v[58:59], v101 offset:64
	ds_read_b64 v[56:57], v101 offset:96
	ds_read_b64 v[52:53], v101 offset:128
	ds_read_b64 v[50:51], v101 offset:160
	ds_read_b64 v[48:49], v101 offset:192
	ds_read_b64 v[46:47], v101 offset:224
	ds_read_b64 v[44:45], v101 offset:256
	ds_read_b64 v[40:41], v101 offset:288
	s_waitcnt vmcnt(31)
	ds_write_b32 v100, v68 offset:64
	s_waitcnt vmcnt(30)
	ds_write_b32 v100, v69 offset:328
	s_waitcnt vmcnt(29)
	ds_write_b32 v100, v70 offset:592
	s_waitcnt vmcnt(28)
	ds_write_b32 v100, v71 offset:856
	s_waitcnt vmcnt(27)
	ds_write_b32 v100, v72 offset:1120
	s_waitcnt vmcnt(26)
	ds_write_b32 v100, v73 offset:1384
	s_waitcnt vmcnt(25)
	ds_write_b32 v100, v74 offset:1648
	s_waitcnt vmcnt(24)
	ds_write_b32 v100, v75 offset:1912
	;; [unrolled: 40-line block ×3, first 2 shown]
	s_waitcnt vmcnt(7)
	ds_write_b32 v100, v92 offset:2176
	s_waitcnt vmcnt(6)
	ds_write_b32 v100, v93 offset:2440
	;; [unrolled: 2-line block ×8, first 2 shown]
	ds_read_b64 v[88:89], v101 offset:64
	ds_read_b64 v[86:87], v101 offset:96
	;; [unrolled: 1-line block ×8, first 2 shown]
	s_andn2_b64 vcc, exec, s[0:1]
	v_mov_b32_e32 v90, 0
	v_mov_b32_e32 v91, 0
	s_cbranch_vccnz .LBB121_36
; %bb.34:                               ;   in Loop: Header=BB121_33 Depth=1
	ds_read_b32 v22, v99
	v_mov_b32_e32 v91, 0
	v_mov_b32_e32 v90, 0
	s_waitcnt lgkmcnt(0)
	v_cmp_gt_i32_e32 vcc, 0, v22
	s_cbranch_vccnz .LBB121_36
; %bb.35:                               ;   in Loop: Header=BB121_33 Depth=1
	v_mul_lo_u32 v22, v22, s49
	v_add_u32_e32 v90, v102, v22
	v_ashrrev_i32_e32 v91, 31, v90
	v_lshl_add_u64 v[90:91], v[90:91], 2, v[20:21]
	global_load_dwordx2 v[90:91], v[90:91], off
.LBB121_36:                             ;   in Loop: Header=BB121_33 Depth=1
	s_waitcnt vmcnt(0)
	v_cvt_f16_f32_e32 v22, v90
	v_cvt_f16_f32_e32 v90, v91
	s_andn2_b64 vcc, exec, s[6:7]
	v_mov_b32_e32 v92, 0
	v_mov_b32_e32 v93, 0
	v_pack_b32_f16 v22, v22, v90
	v_mov_b32_e32 v90, 0
	ds_write_b32 v100, v22 offset:64
	s_cbranch_vccnz .LBB121_39
; %bb.37:                               ;   in Loop: Header=BB121_33 Depth=1
	ds_read_b32 v22, v99 offset:4
	v_mov_b32_e32 v93, 0
	v_mov_b32_e32 v92, 0
	s_waitcnt lgkmcnt(0)
	v_cmp_gt_i32_e32 vcc, 0, v22
	s_cbranch_vccnz .LBB121_39
; %bb.38:                               ;   in Loop: Header=BB121_33 Depth=1
	v_mul_lo_u32 v22, v22, s49
	v_readlane_b32 vcc_lo, v109, 25
	s_nop 1
	v_add_u32_e32 v22, vcc_lo, v22
	v_add_u32_e32 v92, v22, v102
	v_ashrrev_i32_e32 v93, 31, v92
	v_lshl_add_u64 v[92:93], v[92:93], 2, v[20:21]
	global_load_dwordx2 v[92:93], v[92:93], off
.LBB121_39:                             ;   in Loop: Header=BB121_33 Depth=1
	s_waitcnt vmcnt(0)
	v_cvt_f16_f32_e32 v22, v92
	v_cvt_f16_f32_e32 v91, v93
	s_andn2_b64 vcc, exec, s[8:9]
	v_pack_b32_f16 v22, v22, v91
	v_mov_b32_e32 v91, 0
	ds_write_b32 v100, v22 offset:328
	s_cbranch_vccnz .LBB121_42
; %bb.40:                               ;   in Loop: Header=BB121_33 Depth=1
	ds_read_b32 v22, v99 offset:8
	v_mov_b32_e32 v91, 0
	v_mov_b32_e32 v90, 0
	s_waitcnt lgkmcnt(0)
	v_cmp_gt_i32_e32 vcc, 0, v22
	s_cbranch_vccnz .LBB121_42
; %bb.41:                               ;   in Loop: Header=BB121_33 Depth=1
	v_mul_lo_u32 v22, v22, s49
	v_add_u32_e32 v22, s41, v22
	v_add_u32_e32 v90, v22, v102
	v_ashrrev_i32_e32 v91, 31, v90
	v_lshl_add_u64 v[90:91], v[90:91], 2, v[20:21]
	global_load_dwordx2 v[90:91], v[90:91], off
.LBB121_42:                             ;   in Loop: Header=BB121_33 Depth=1
	s_waitcnt vmcnt(0)
	v_cvt_f16_f32_e32 v22, v90
	v_cvt_f16_f32_e32 v90, v91
	s_andn2_b64 vcc, exec, s[10:11]
	v_mov_b32_e32 v92, 0
	v_mov_b32_e32 v93, 0
	v_pack_b32_f16 v22, v22, v90
	v_mov_b32_e32 v90, 0
	ds_write_b32 v100, v22 offset:592
	s_cbranch_vccnz .LBB121_45
; %bb.43:                               ;   in Loop: Header=BB121_33 Depth=1
	ds_read_b32 v22, v99 offset:12
	v_mov_b32_e32 v93, 0
	v_mov_b32_e32 v92, 0
	s_waitcnt lgkmcnt(0)
	v_cmp_gt_i32_e32 vcc, 0, v22
	s_cbranch_vccnz .LBB121_45
; %bb.44:                               ;   in Loop: Header=BB121_33 Depth=1
	v_mul_lo_u32 v22, v22, s49
	v_readlane_b32 vcc_lo, v109, 15
	s_nop 1
	v_add_u32_e32 v22, vcc_lo, v22
	v_add_u32_e32 v92, v22, v102
	v_ashrrev_i32_e32 v93, 31, v92
	v_lshl_add_u64 v[92:93], v[92:93], 2, v[20:21]
	global_load_dwordx2 v[92:93], v[92:93], off
.LBB121_45:                             ;   in Loop: Header=BB121_33 Depth=1
	s_waitcnt vmcnt(0)
	v_cvt_f16_f32_e32 v22, v92
	v_cvt_f16_f32_e32 v91, v93
	s_andn2_b64 vcc, exec, s[12:13]
	v_pack_b32_f16 v22, v22, v91
	v_mov_b32_e32 v91, 0
	ds_write_b32 v100, v22 offset:856
	s_cbranch_vccnz .LBB121_48
; %bb.46:                               ;   in Loop: Header=BB121_33 Depth=1
	ds_read_b32 v22, v99 offset:16
	v_mov_b32_e32 v91, 0
	v_mov_b32_e32 v90, 0
	s_waitcnt lgkmcnt(0)
	v_cmp_gt_i32_e32 vcc, 0, v22
	s_cbranch_vccnz .LBB121_48
; %bb.47:                               ;   in Loop: Header=BB121_33 Depth=1
	v_mul_lo_u32 v22, v22, s49
	v_readlane_b32 vcc_lo, v109, 14
	s_nop 1
	v_add_u32_e32 v22, vcc_lo, v22
	v_add_u32_e32 v90, v22, v102
	v_ashrrev_i32_e32 v91, 31, v90
	v_lshl_add_u64 v[90:91], v[90:91], 2, v[20:21]
	global_load_dwordx2 v[90:91], v[90:91], off
.LBB121_48:                             ;   in Loop: Header=BB121_33 Depth=1
	s_waitcnt vmcnt(0)
	v_cvt_f16_f32_e32 v22, v90
	v_cvt_f16_f32_e32 v90, v91
	s_andn2_b64 vcc, exec, s[14:15]
	v_mov_b32_e32 v92, 0
	v_mov_b32_e32 v93, 0
	v_pack_b32_f16 v22, v22, v90
	v_mov_b32_e32 v90, 0
	ds_write_b32 v100, v22 offset:1120
	s_cbranch_vccnz .LBB121_51
; %bb.49:                               ;   in Loop: Header=BB121_33 Depth=1
	ds_read_b32 v22, v99 offset:20
	v_mov_b32_e32 v93, 0
	v_mov_b32_e32 v92, 0
	s_waitcnt lgkmcnt(0)
	v_cmp_gt_i32_e32 vcc, 0, v22
	s_cbranch_vccnz .LBB121_51
; %bb.50:                               ;   in Loop: Header=BB121_33 Depth=1
	v_mul_lo_u32 v22, v22, s49
	v_readlane_b32 vcc_lo, v109, 17
	s_nop 1
	v_add_u32_e32 v22, vcc_lo, v22
	v_add_u32_e32 v92, v22, v102
	v_ashrrev_i32_e32 v93, 31, v92
	v_lshl_add_u64 v[92:93], v[92:93], 2, v[20:21]
	global_load_dwordx2 v[92:93], v[92:93], off
.LBB121_51:                             ;   in Loop: Header=BB121_33 Depth=1
	s_waitcnt vmcnt(0)
	v_cvt_f16_f32_e32 v22, v92
	v_cvt_f16_f32_e32 v91, v93
	s_andn2_b64 vcc, exec, s[16:17]
	v_pack_b32_f16 v22, v22, v91
	v_mov_b32_e32 v91, 0
	ds_write_b32 v100, v22 offset:1384
	s_cbranch_vccnz .LBB121_54
; %bb.52:                               ;   in Loop: Header=BB121_33 Depth=1
	ds_read_b32 v22, v99 offset:24
	v_mov_b32_e32 v91, 0
	v_mov_b32_e32 v90, 0
	s_waitcnt lgkmcnt(0)
	v_cmp_gt_i32_e32 vcc, 0, v22
	s_cbranch_vccnz .LBB121_54
; %bb.53:                               ;   in Loop: Header=BB121_33 Depth=1
	v_mul_lo_u32 v22, v22, s49
	v_readlane_b32 vcc_lo, v109, 18
	s_nop 1
	v_add_u32_e32 v22, vcc_lo, v22
	v_add_u32_e32 v90, v22, v102
	v_ashrrev_i32_e32 v91, 31, v90
	v_lshl_add_u64 v[90:91], v[90:91], 2, v[20:21]
	global_load_dwordx2 v[90:91], v[90:91], off
.LBB121_54:                             ;   in Loop: Header=BB121_33 Depth=1
	;; [unrolled: 52-line block ×5, first 2 shown]
	s_waitcnt vmcnt(0)
	v_cvt_f16_f32_e32 v22, v90
	v_cvt_f16_f32_e32 v90, v91
	s_andn2_b64 vcc, exec, s[30:31]
	v_mov_b32_e32 v91, 0
	v_pack_b32_f16 v22, v22, v90
	v_mov_b32_e32 v90, 0
	ds_write_b32 v100, v22 offset:3232
	s_cbranch_vccnz .LBB121_32
; %bb.73:                               ;   in Loop: Header=BB121_33 Depth=1
	ds_read_b32 v22, v99 offset:52
	v_mov_b32_e32 v91, 0
	v_mov_b32_e32 v90, 0
	s_waitcnt lgkmcnt(0)
	v_cmp_gt_i32_e32 vcc, 0, v22
	s_cbranch_vccnz .LBB121_32
; %bb.74:                               ;   in Loop: Header=BB121_33 Depth=1
	v_mul_lo_u32 v22, v22, s49
	v_readlane_b32 vcc_lo, v109, 19
	s_nop 1
	v_add_u32_e32 v22, vcc_lo, v22
	v_add_u32_e32 v90, v22, v102
	v_ashrrev_i32_e32 v91, 31, v90
	v_lshl_add_u64 v[90:91], v[90:91], 2, v[20:21]
	global_load_dwordx2 v[90:91], v[90:91], off
	s_branch .LBB121_32
.LBB121_75:
	s_or_b64 exec, exec, s[42:43]
	v_readlane_b32 s24, v109, 6
	v_readlane_b32 s28, v109, 10
	;; [unrolled: 1-line block ×8, first 2 shown]
.LBB121_76:
	s_waitcnt lgkmcnt(0)
	v_readlane_b32 s0, v109, 4
	v_readlane_b32 s1, v109, 5
	s_or_b64 exec, exec, s[0:1]
	v_mul_u32_u24_e32 v18, 0x808, v97
	s_movk_i32 s1, 0x100
	v_lshlrev_b32_e32 v19, 2, v96
	v_add3_u32 v18, s1, v18, v19
	v_and_b32_e32 v20, 0x3f0, v16
	v_add_u32_e32 v21, v18, v20
	s_barrier
	v_add_u32_e32 v19, 64, v18
	ds_write2_b32 v21, v8, v9 offset0:16 offset1:17
	v_or_b32_e32 v9, 12, v16
	v_add_u32_e32 v8, v19, v20
	v_and_b32_e32 v9, 0x3fc, v9
	ds_write_b32 v8, v10 offset:8
	v_add_u32_e32 v10, v18, v9
	ds_write_b32 v10, v11 offset:64
	ds_write2_b32 v8, v4, v5 offset0:16 offset1:17
	ds_write_b32 v8, v6 offset:72
	v_add_u32_e32 v4, v19, v9
	ds_write_b32 v4, v7 offset:64
	ds_write2_b32 v8, v0, v1 offset0:32 offset1:33
	ds_write_b32 v8, v2 offset:136
	ds_write_b32 v4, v3 offset:128
	ds_write2_b32 v8, v12, v13 offset0:48 offset1:49
	ds_write_b32 v8, v14 offset:200
	ds_write_b32 v4, v15 offset:192
	v_mov_b32_e32 v0, 0x100
	s_movk_i32 s0, 0x808
	v_lshl_add_u32 v11, v16, 2, v0
	v_mad_u32_u24 v1, v17, s0, v11
	s_waitcnt lgkmcnt(0)
	s_barrier
	ds_read2_b32 v[8:9], v1 offset0:16 offset1:80
	ds_read2_b32 v[4:5], v1 offset0:144 offset1:208
	v_add_u32_e32 v1, 64, v1
	ds_read2st64_b32 v[6:7], v1 offset0:4 offset1:5
	ds_read2st64_b32 v[2:3], v1 offset0:6 offset1:7
	v_cmp_gt_u32_e32 vcc, 14, v17
	v_mov_b32_e32 v12, -1
	s_and_saveexec_b64 s[0:1], vcc
	s_cbranch_execz .LBB121_78
; %bb.77:
	v_lshl_add_u32 v0, v17, 2, v0
	ds_read_b32 v12, v0
.LBB121_78:
	s_or_b64 exec, exec, s[0:1]
	s_mul_hi_i32 s1, s30, s4
	s_mul_i32 s0, s30, s4
	s_lshl_b64 s[0:1], s[0:1], 2
	v_readlane_b32 s2, v109, 2
	v_mul_hi_i32 v1, v94, s45
	v_mul_lo_u32 v0, v94, s45
	v_readlane_b32 s3, v109, 3
	s_add_u32 s0, s2, s0
	s_addc_u32 s1, s3, s1
	v_lshlrev_b64 v[0:1], 2, v[0:1]
	s_waitcnt lgkmcnt(0)
	v_cmp_lt_i32_e32 vcc, -1, v12
	v_add_u32_e32 v10, s6, v16
	v_lshl_add_u64 v[0:1], s[0:1], 0, v[0:1]
	s_and_b64 s[2:3], vcc, s[24:25]
	s_and_saveexec_b64 s[0:1], s[2:3]
	s_cbranch_execz .LBB121_80
; %bb.79:
	v_add_f32_e32 v8, 0, v8
	v_add_f32_e32 v8, v8, v9
	;; [unrolled: 1-line block ×8, first 2 shown]
	v_mul_lo_u32 v2, v12, s50
	v_mul_lo_u32 v3, v17, s45
	v_add3_u32 v2, v10, v3, v2
	v_mov_b32_e32 v3, 0
	v_lshl_add_u64 v[2:3], v[2:3], 2, v[0:1]
	global_store_dword v[2:3], v4, off
.LBB121_80:
	s_or_b64 exec, exec, s[0:1]
	v_cmp_gt_u32_e32 vcc, 6, v17
	s_and_saveexec_b64 s[0:1], vcc
	s_cbranch_execz .LBB121_83
; %bb.81:
	v_mov_b32_e32 v2, 0x100
	v_lshl_add_u32 v2, v17, 2, v2
	ds_read_b32 v2, v2 offset:32
	v_readlane_b32 s0, v109, 0
	v_readlane_b32 s1, v109, 1
	s_waitcnt lgkmcnt(0)
	v_cmp_lt_i32_e32 vcc, -1, v2
	s_and_b64 s[0:1], vcc, s[0:1]
	s_and_b64 exec, exec, s[0:1]
	s_cbranch_execz .LBB121_83
; %bb.82:
	v_mul_u32_u24_e32 v3, 0x808, v17
	v_add_u32_e32 v3, v3, v11
	v_add_u32_e32 v8, 0x80, v3
	ds_read2st64_b32 v[4:5], v8 offset0:64 offset1:65
	v_mul_lo_u32 v11, v2, s50
	ds_read2st64_b32 v[2:3], v8 offset0:66 offset1:67
	ds_read2st64_b32 v[6:7], v8 offset0:68 offset1:69
	;; [unrolled: 1-line block ×3, first 2 shown]
	s_waitcnt lgkmcnt(3)
	v_add_f32_e32 v4, 0, v4
	v_add_f32_e32 v4, v4, v5
	s_waitcnt lgkmcnt(2)
	v_add_f32_e32 v2, v4, v2
	v_add_f32_e32 v2, v2, v3
	;; [unrolled: 3-line block ×4, first 2 shown]
	v_mul_lo_u32 v2, v95, s45
	v_add3_u32 v2, v10, v2, v11
	v_mov_b32_e32 v3, 0
	v_lshl_add_u64 v[0:1], v[2:3], 2, v[0:1]
	global_store_dword v[0:1], v4, off
.LBB121_83:
	s_endpgm
	.section	.rodata,"a",@progbits
	.p2align	6, 0x0
	.amdhsa_kernel _ZL9mul_mat_fI7__half2Li64ELi14ELi8ELb1EEvPKT_PKfPKiPfiiiiiiiiiiiiiiii
		.amdhsa_group_segment_fixed_size 256
		.amdhsa_private_segment_fixed_size 0
		.amdhsa_kernarg_size 352
		.amdhsa_user_sgpr_count 2
		.amdhsa_user_sgpr_dispatch_ptr 0
		.amdhsa_user_sgpr_queue_ptr 0
		.amdhsa_user_sgpr_kernarg_segment_ptr 1
		.amdhsa_user_sgpr_dispatch_id 0
		.amdhsa_user_sgpr_kernarg_preload_length 0
		.amdhsa_user_sgpr_kernarg_preload_offset 0
		.amdhsa_user_sgpr_private_segment_size 0
		.amdhsa_uses_dynamic_stack 0
		.amdhsa_enable_private_segment 0
		.amdhsa_system_sgpr_workgroup_id_x 1
		.amdhsa_system_sgpr_workgroup_id_y 1
		.amdhsa_system_sgpr_workgroup_id_z 1
		.amdhsa_system_sgpr_workgroup_info 0
		.amdhsa_system_vgpr_workitem_id 2
		.amdhsa_next_free_vgpr 110
		.amdhsa_next_free_sgpr 100
		.amdhsa_accum_offset 112
		.amdhsa_reserve_vcc 1
		.amdhsa_float_round_mode_32 0
		.amdhsa_float_round_mode_16_64 0
		.amdhsa_float_denorm_mode_32 3
		.amdhsa_float_denorm_mode_16_64 3
		.amdhsa_dx10_clamp 1
		.amdhsa_ieee_mode 1
		.amdhsa_fp16_overflow 0
		.amdhsa_tg_split 0
		.amdhsa_exception_fp_ieee_invalid_op 0
		.amdhsa_exception_fp_denorm_src 0
		.amdhsa_exception_fp_ieee_div_zero 0
		.amdhsa_exception_fp_ieee_overflow 0
		.amdhsa_exception_fp_ieee_underflow 0
		.amdhsa_exception_fp_ieee_inexact 0
		.amdhsa_exception_int_div_zero 0
	.end_amdhsa_kernel
	.section	.text._ZL9mul_mat_fI7__half2Li64ELi14ELi8ELb1EEvPKT_PKfPKiPfiiiiiiiiiiiiiiii,"axG",@progbits,_ZL9mul_mat_fI7__half2Li64ELi14ELi8ELb1EEvPKT_PKfPKiPfiiiiiiiiiiiiiiii,comdat
.Lfunc_end121:
	.size	_ZL9mul_mat_fI7__half2Li64ELi14ELi8ELb1EEvPKT_PKfPKiPfiiiiiiiiiiiiiiii, .Lfunc_end121-_ZL9mul_mat_fI7__half2Li64ELi14ELi8ELb1EEvPKT_PKfPKiPfiiiiiiiiiiiiiiii
                                        ; -- End function
	.section	.AMDGPU.csdata,"",@progbits
; Kernel info:
; codeLenInByte = 7908
; NumSgprs: 106
; NumVgprs: 110
; NumAgprs: 0
; TotalNumVgprs: 110
; ScratchSize: 0
; MemoryBound: 0
; FloatMode: 240
; IeeeMode: 1
; LDSByteSize: 256 bytes/workgroup (compile time only)
; SGPRBlocks: 13
; VGPRBlocks: 13
; NumSGPRsForWavesPerEU: 106
; NumVGPRsForWavesPerEU: 110
; AccumOffset: 112
; Occupancy: 4
; WaveLimiterHint : 0
; COMPUTE_PGM_RSRC2:SCRATCH_EN: 0
; COMPUTE_PGM_RSRC2:USER_SGPR: 2
; COMPUTE_PGM_RSRC2:TRAP_HANDLER: 0
; COMPUTE_PGM_RSRC2:TGID_X_EN: 1
; COMPUTE_PGM_RSRC2:TGID_Y_EN: 1
; COMPUTE_PGM_RSRC2:TGID_Z_EN: 1
; COMPUTE_PGM_RSRC2:TIDIG_COMP_CNT: 2
; COMPUTE_PGM_RSRC3_GFX90A:ACCUM_OFFSET: 27
; COMPUTE_PGM_RSRC3_GFX90A:TG_SPLIT: 0
	.section	.text._ZL9mul_mat_fI7__half2Li64ELi14ELi8ELb0EEvPKT_PKfPKiPfiiiiiiiiiiiiiiii,"axG",@progbits,_ZL9mul_mat_fI7__half2Li64ELi14ELi8ELb0EEvPKT_PKfPKiPfiiiiiiiiiiiiiiii,comdat
	.globl	_ZL9mul_mat_fI7__half2Li64ELi14ELi8ELb0EEvPKT_PKfPKiPfiiiiiiiiiiiiiiii ; -- Begin function _ZL9mul_mat_fI7__half2Li64ELi14ELi8ELb0EEvPKT_PKfPKiPfiiiiiiiiiiiiiiii
	.p2align	8
	.type	_ZL9mul_mat_fI7__half2Li64ELi14ELi8ELb0EEvPKT_PKfPKiPfiiiiiiiiiiiiiiii,@function
_ZL9mul_mat_fI7__half2Li64ELi14ELi8ELb0EEvPKT_PKfPKiPfiiiiiiiiiiiiiiii: ; @_ZL9mul_mat_fI7__half2Li64ELi14ELi8ELb0EEvPKT_PKfPKiPfiiiiiiiiiiiiiiii
; %bb.0:
	s_load_dword s5, s[0:1], 0x20
	s_load_dwordx4 s[16:19], s[0:1], 0x2c
	v_bfe_u32 v38, v0, 10, 10
	v_lshlrev_b32_e32 v40, 6, v38
	v_and_b32_e32 v39, 0x3ff, v0
	v_add_u32_e32 v42, v40, v39
	s_mov_b32 s20, 0
	s_waitcnt lgkmcnt(0)
	s_ashr_i32 s19, s4, 31
	v_cmp_le_i32_e32 vcc, s5, v42
	v_and_b32_e32 v41, 15, v39
	s_and_saveexec_b64 s[6:7], vcc
	s_xor_b64 s[6:7], exec, s[6:7]
; %bb.1:
	v_and_b32_e32 v41, 15, v39
                                        ; implicit-def: $vgpr42
; %bb.2:
	s_or_saveexec_b64 s[24:25], s[6:7]
	s_load_dwordx8 s[8:15], s[0:1], 0x40
	s_load_dwordx2 s[6:7], s[0:1], 0x18
	s_lshl_b32 s2, s2, 6
	v_mov_b32_e32 v15, s20
	v_mov_b32_e32 v14, s20
	;; [unrolled: 1-line block ×16, first 2 shown]
	s_xor_b64 exec, exec, s[24:25]
	s_cbranch_execz .LBB122_6
; %bb.3:
	s_waitcnt lgkmcnt(0)
	s_abs_i32 s26, s8
	v_cvt_f32_u32_e32 v0, s26
	s_abs_i32 s27, s12
	v_cvt_f32_u32_e32 v1, s27
	s_sub_i32 s20, 0, s26
	v_rcp_iflag_f32_e32 v0, v0
	s_abs_i32 s28, s3
	v_rcp_iflag_f32_e32 v1, v1
	s_sub_i32 s21, 0, s27
	v_mul_f32_e32 v0, 0x4f7ffffe, v0
	v_cvt_u32_f32_e32 v0, v0
	v_mul_f32_e32 v1, 0x4f7ffffe, v1
	v_cvt_u32_f32_e32 v1, v1
	s_abs_i32 s29, s4
	v_mul_lo_u32 v2, s20, v0
	v_mul_hi_u32 v2, v0, v2
	v_add_u32_e32 v0, v0, v2
	v_mul_hi_u32 v0, s28, v0
	v_mul_lo_u32 v3, s21, v1
	v_mul_lo_u32 v2, v0, s26
	v_mul_hi_u32 v3, v1, v3
	v_sub_u32_e32 v2, s28, v2
	v_add_u32_e32 v1, v1, v3
	v_add_u32_e32 v3, 1, v0
	v_subrev_u32_e32 v4, s26, v2
	v_cmp_le_u32_e32 vcc, s26, v2
	s_load_dwordx4 s[20:23], s[0:1], 0x0
	s_ashr_i32 s0, s3, 31
	v_cndmask_b32_e32 v0, v0, v3, vcc
	v_cndmask_b32_e32 v2, v2, v4, vcc
	s_ashr_i32 s1, s8, 31
	v_add_u32_e32 v3, 1, v0
	v_cmp_le_u32_e32 vcc, s26, v2
	s_xor_b32 s0, s0, s1
	v_mul_hi_u32 v1, s29, v1
	v_cndmask_b32_e32 v0, v0, v3, vcc
	v_xor_b32_e32 v0, s0, v0
	v_subrev_u32_e32 v2, s0, v0
	v_mul_lo_u32 v0, v1, s27
	v_sub_u32_e32 v0, s29, v0
	v_add_u32_e32 v3, 1, v1
	v_subrev_u32_e32 v4, s27, v0
	v_cmp_le_u32_e32 vcc, s27, v0
	s_ashr_i32 s8, s12, 31
	s_xor_b32 s0, s19, s8
	v_cndmask_b32_e32 v1, v1, v3, vcc
	v_cndmask_b32_e32 v0, v0, v4, vcc
	v_add_u32_e32 v3, 1, v1
	v_cmp_le_u32_e32 vcc, s27, v0
	v_mul_lo_u32 v2, v2, s9
	s_mul_hi_i32 s9, s14, s4
	v_cndmask_b32_e32 v0, v1, v3, vcc
	v_xor_b32_e32 v0, s0, v0
	v_subrev_u32_e32 v0, s0, v0
	s_mul_i32 s0, s2, s16
	v_mul_hi_i32 v1, v0, s13
	v_mul_lo_u32 v0, v0, s13
	v_ashrrev_i32_e32 v3, 31, v2
	s_ashr_i32 s1, s0, 31
	v_lshlrev_b64 v[0:1], 2, v[0:1]
	s_mul_i32 s8, s14, s4
	s_mul_i32 s12, s3, s10
	s_lshl_b64 s[0:1], s[0:1], 2
	v_lshlrev_b64 v[2:3], 2, v[2:3]
	s_waitcnt lgkmcnt(0)
	v_lshl_add_u64 v[4:5], s[20:21], 0, v[0:1]
	v_lshl_add_u64 v[2:3], v[2:3], 0, s[0:1]
	s_ashr_i32 s13, s12, 31
	s_lshl_b64 s[26:27], s[8:9], 2
	s_movk_i32 s8, 0x1080
	v_lshrrev_b32_e32 v7, 1, v39
	v_lshl_add_u64 v[16:17], v[2:3], 0, v[4:5]
	s_lshl_b64 s[0:1], s[12:13], 2
	v_mad_u32_u24 v5, v38, s8, 0
	v_lshlrev_b32_e32 v4, 2, v39
	v_mul_u32_u24_e32 v6, 0x108, v41
	v_and_b32_e32 v7, 0x1f8, v7
	v_lshlrev_b32_e32 v18, 8, v38
	v_mov_b32_e32 v19, 0
	v_lshl_add_u64 v[0:1], v[2:3], 0, v[0:1]
	s_add_u32 s22, s22, s0
	v_add_u32_e32 v43, v5, v4
	v_add3_u32 v44, v5, v6, v7
	v_lshl_add_u64 v[0:1], v[0:1], 0, v[18:19]
	v_mov_b32_e32 v5, v19
	s_addc_u32 s23, s23, s1
	v_lshl_add_u64 v[0:1], v[0:1], 0, v[4:5]
	v_lshlrev_b32_e32 v18, 9, v38
	s_add_u32 s0, s22, s26
	v_lshl_add_u64 v[20:21], s[20:21], 0, v[0:1]
	v_lshl_add_u64 v[0:1], s[26:27], 0, v[18:19]
	v_lshlrev_b32_e32 v18, 3, v39
	s_addc_u32 s1, s23, s27
	s_ashr_i32 s9, s16, 31
	s_mov_b32 s8, s16
	s_ashr_i32 s13, s17, 31
	s_mov_b32 s12, s17
	v_lshl_add_u64 v[0:1], v[0:1], 0, v[18:19]
	s_lshl_b64 s[8:9], s[8:9], 2
	s_lshl_b64 s[12:13], s[12:13], 3
	v_lshl_add_u64 v[22:23], s[22:23], 0, v[0:1]
	s_mul_i32 s10, s16, 63
	s_lshl_b32 s14, s17, 1
	s_mul_i32 s19, s17, 3
	s_lshl_b32 s26, s17, 2
	s_mul_i32 s27, s17, 5
	s_mul_i32 s28, s17, 6
	;; [unrolled: 1-line block ×3, first 2 shown]
	s_lshl_b32 s30, s17, 3
	s_mul_i32 s31, s17, 9
	s_mul_i32 s33, s17, 10
	;; [unrolled: 1-line block ×5, first 2 shown]
	s_lshl_b32 s37, s16, 1
	s_mul_i32 s38, s16, 3
	s_lshl_b32 s39, s16, 2
	s_mul_i32 s40, s16, 5
	s_mul_i32 s41, s16, 6
	;; [unrolled: 1-line block ×3, first 2 shown]
	s_lshl_b32 s43, s16, 3
	s_mul_i32 s44, s16, 9
	s_mul_i32 s45, s16, 10
	s_mul_i32 s46, s16, 11
	s_mul_i32 s47, s16, 12
	s_mul_i32 s48, s16, 13
	s_mul_i32 s49, s16, 14
	s_mul_i32 s50, s16, 15
	s_lshl_b32 s51, s16, 4
	s_mul_i32 s52, s16, 17
	s_mul_i32 s53, s16, 18
	;; [unrolled: 1-line block ×15, first 2 shown]
	s_lshl_b32 s67, s16, 5
	s_mul_i32 s68, s16, 33
	s_mul_i32 s69, s16, 34
	s_mul_i32 s70, s16, 35
	s_mul_i32 s71, s16, 36
	s_mul_i32 s72, s16, 37
	s_mul_i32 s73, s16, 38
	s_mul_i32 s74, s16, 39
	s_mul_i32 s75, s16, 40
	s_mul_i32 s76, s16, 41
	s_mul_i32 s77, s16, 42
	s_mul_i32 s78, s16, 43
	v_mov_b32_e32 v4, 0
	v_mov_b32_e32 v6, v19
	;; [unrolled: 1-line block ×15, first 2 shown]
	s_mul_i32 s79, s16, 44
	s_mul_i32 s80, s16, 45
	;; [unrolled: 1-line block ×19, first 2 shown]
	s_mov_b64 s[16:17], 0
	s_mov_b64 s[20:21], 0x800
	;; [unrolled: 1-line block ×3, first 2 shown]
.LBB122_4:                              ; =>This Inner Loop Header: Depth=1
	v_add_u32_e32 v32, s37, v42
	v_add_u32_e32 v36, s38, v42
	;; [unrolled: 1-line block ×4, first 2 shown]
	v_lshl_add_u64 v[26:27], v[20:21], 0, s[8:9]
	v_add_u32_e32 v46, s39, v42
	v_add_u32_e32 v60, s42, v42
	v_ashrrev_i32_e32 v33, 31, v32
	v_ashrrev_i32_e32 v37, 31, v36
	;; [unrolled: 1-line block ×4, first 2 shown]
	v_add_u32_e32 v62, s43, v42
	global_load_dword v52, v[26:27], off
	v_lshl_add_u64 v[26:27], v[32:33], 2, v[16:17]
	v_lshl_add_u64 v[32:33], v[36:37], 2, v[16:17]
	v_ashrrev_i32_e32 v47, 31, v46
	v_ashrrev_i32_e32 v61, 31, v60
	v_lshl_add_u64 v[24:25], v[24:25], 2, v[16:17]
	v_lshl_add_u64 v[28:29], v[28:29], 2, v[16:17]
	v_add_u32_e32 v64, s44, v42
	global_load_dword v49, v[26:27], off
	global_load_dword v53, v[32:33], off
	v_ashrrev_i32_e32 v63, 31, v62
	global_load_dword v24, v[24:25], off
	v_add_u32_e32 v66, s45, v42
	global_load_dword v25, v[28:29], off
	v_lshl_add_u64 v[32:33], v[46:47], 2, v[16:17]
	v_lshl_add_u64 v[46:47], v[60:61], 2, v[16:17]
	global_load_dword v54, v[32:33], off
	global_load_dword v61, v[46:47], off
	v_lshl_add_u64 v[46:47], v[62:63], 2, v[16:17]
	v_ashrrev_i32_e32 v65, 31, v64
	v_add_u32_e32 v68, s46, v42
	global_load_dword v62, v[46:47], off
	v_lshl_add_u64 v[46:47], v[64:65], 2, v[16:17]
	v_ashrrev_i32_e32 v67, 31, v66
	v_add_u32_e32 v70, s47, v42
	;; [unrolled: 4-line block ×6, first 2 shown]
	global_load_dword v71, v[46:47], off
	v_lshl_add_u64 v[46:47], v[74:75], 2, v[16:17]
	v_ashrrev_i32_e32 v77, 31, v76
	global_load_dword v72, v[46:47], off
	v_lshl_add_u64 v[46:47], v[76:77], 2, v[16:17]
	v_ashrrev_i32_e32 v79, 31, v78
	v_add_u32_e32 v30, s55, v42
	v_add_u32_e32 v26, s59, v42
	;; [unrolled: 1-line block ×3, first 2 shown]
	global_load_dword v75, v[46:47], off
	v_lshl_add_u64 v[46:47], v[78:79], 2, v[16:17]
	v_add_u32_e32 v78, s66, v42
	v_add_u32_e32 v50, s40, v42
	v_ashrrev_i32_e32 v31, 31, v30
	v_ashrrev_i32_e32 v27, 31, v26
	;; [unrolled: 1-line block ×4, first 2 shown]
	v_add_u32_e32 v58, s41, v42
	v_add_u32_e32 v80, s52, v42
	v_ashrrev_i32_e32 v51, 31, v50
	v_lshl_add_u64 v[30:31], v[30:31], 2, v[16:17]
	v_lshl_add_u64 v[26:27], v[26:27], 2, v[16:17]
	v_lshl_add_u64 v[28:29], v[36:37], 2, v[16:17]
	v_lshl_add_u64 v[36:37], v[78:79], 2, v[16:17]
	v_ashrrev_i32_e32 v59, 31, v58
	v_ashrrev_i32_e32 v81, 31, v80
	global_load_dword v30, v[30:31], off
	v_add_u32_e32 v82, s53, v42
	global_load_dword v36, v[36:37], off
	v_add_u32_e32 v34, s56, v42
	global_load_dword v26, v[26:27], off
	v_add_u32_e32 v84, s54, v42
	global_load_dword v27, v[28:29], off
	v_lshl_add_u64 v[32:33], v[50:51], 2, v[16:17]
	global_load_dword v57, v[32:33], off
	global_load_dword v18, v[46:47], off
	v_lshl_add_u64 v[32:33], v[58:59], 2, v[16:17]
	v_lshl_add_u64 v[46:47], v[80:81], 2, v[16:17]
	global_load_dword v58, v[32:33], off
	global_load_dword v45, v[46:47], off
	v_add_u32_e32 v32, s61, v42
	v_add_u32_e32 v50, s62, v42
	;; [unrolled: 1-line block ×4, first 2 shown]
	v_ashrrev_i32_e32 v83, 31, v82
	v_ashrrev_i32_e32 v35, 31, v34
	;; [unrolled: 1-line block ×4, first 2 shown]
	v_add_u32_e32 v76, s65, v42
	v_lshl_add_u64 v[46:47], v[82:83], 2, v[16:17]
	v_ashrrev_i32_e32 v85, 31, v84
	v_lshl_add_u64 v[34:35], v[34:35], 2, v[16:17]
	v_lshl_add_u64 v[28:29], v[32:33], 2, v[16:17]
	;; [unrolled: 1-line block ×3, first 2 shown]
	v_ashrrev_i32_e32 v87, 31, v86
	v_ashrrev_i32_e32 v89, 31, v88
	global_load_dword v46, v[46:47], off
	v_lshl_add_u64 v[80:81], v[84:85], 2, v[16:17]
	global_load_dword v31, v[34:35], off
	v_ashrrev_i32_e32 v77, 31, v76
	global_load_dword v28, v[28:29], off
	v_lshl_add_u64 v[34:35], v[88:89], 2, v[16:17]
	global_load_dword v29, v[32:33], off
	v_lshl_add_u64 v[32:33], v[86:87], 2, v[16:17]
	global_load_dword v47, v[80:81], off
	v_add_u32_e32 v82, s67, v42
	global_load_dword v32, v[32:33], off
	v_add_u32_e32 v78, s74, v42
	global_load_dword v33, v[34:35], off
	v_lshl_add_u64 v[34:35], v[76:77], 2, v[16:17]
	v_add_u32_e32 v76, s73, v42
	v_ashrrev_i32_e32 v77, 31, v76
	v_add_u32_e32 v80, s68, v42
	v_ashrrev_i32_e32 v83, 31, v82
	v_lshl_add_u64 v[76:77], v[76:77], 2, v[16:17]
	v_ashrrev_i32_e32 v79, 31, v78
	global_load_dword v34, v[34:35], off
	v_lshl_add_u64 v[50:51], v[82:83], 2, v[16:17]
	global_load_dword v56, v[76:77], off
	v_ashrrev_i32_e32 v81, 31, v80
	v_lshl_add_u64 v[76:77], v[78:79], 2, v[16:17]
	global_load_dword v35, v[50:51], off
	global_load_dword v59, v[76:77], off
	v_lshl_add_u64 v[50:51], v[80:81], 2, v[16:17]
	v_add_u32_e32 v80, s75, v42
	v_add_u32_e32 v84, s69, v42
	v_ashrrev_i32_e32 v81, 31, v80
	v_ashrrev_i32_e32 v85, 31, v84
	v_lshl_add_u64 v[76:77], v[80:81], 2, v[16:17]
	global_load_dword v37, v[50:51], off
	global_load_dword v60, v[76:77], off
	v_lshl_add_u64 v[50:51], v[84:85], 2, v[16:17]
	v_add_u32_e32 v84, s76, v42
	v_add_u32_e32 v90, s70, v42
	;; [unrolled: 1-line block ×3, first 2 shown]
	v_ashrrev_i32_e32 v85, 31, v84
	v_add_u32_e32 v92, s71, v42
	v_ashrrev_i32_e32 v91, 31, v90
	v_lshl_add_u64 v[76:77], v[84:85], 2, v[16:17]
	v_add_u32_e32 v80, s78, v42
	v_ashrrev_i32_e32 v79, 31, v78
	v_add_u32_e32 v86, s72, v42
	global_load_dword v48, v[50:51], off
	global_load_dword v64, v[76:77], off
	v_lshl_add_u64 v[50:51], v[90:91], 2, v[16:17]
	v_ashrrev_i32_e32 v93, 31, v92
	v_lshl_add_u64 v[76:77], v[78:79], 2, v[16:17]
	v_ashrrev_i32_e32 v81, 31, v80
	v_add_u32_e32 v78, s79, v42
	global_load_dword v50, v[50:51], off
	v_lshl_add_u64 v[82:83], v[92:93], 2, v[16:17]
	global_load_dword v66, v[76:77], off
	v_ashrrev_i32_e32 v87, 31, v86
	v_lshl_add_u64 v[76:77], v[80:81], 2, v[16:17]
	v_ashrrev_i32_e32 v79, 31, v78
	global_load_dword v51, v[82:83], off
	global_load_dword v69, v[76:77], off
	v_lshl_add_u64 v[82:83], v[86:87], 2, v[16:17]
	v_lshl_add_u64 v[76:77], v[78:79], 2, v[16:17]
	global_load_dword v55, v[82:83], off
	global_load_dword v70, v[76:77], off
	v_add_u32_e32 v76, s80, v42
	v_ashrrev_i32_e32 v77, 31, v76
	v_lshl_add_u64 v[76:77], v[76:77], 2, v[16:17]
	global_load_dword v73, v[76:77], off
	v_add_u32_e32 v76, s81, v42
	v_ashrrev_i32_e32 v77, 31, v76
	v_lshl_add_u64 v[76:77], v[76:77], 2, v[16:17]
	global_load_dword v74, v[76:77], off
	v_add_u32_e32 v76, s82, v42
	v_add_u32_e32 v78, s83, v42
	v_ashrrev_i32_e32 v77, 31, v76
	v_ashrrev_i32_e32 v79, 31, v78
	v_lshl_add_u64 v[76:77], v[76:77], 2, v[16:17]
	v_lshl_add_u64 v[78:79], v[78:79], 2, v[16:17]
	global_load_dword v76, v[76:77], off
	v_add_u32_e32 v80, s85, v42
	global_load_dword v77, v[78:79], off
	v_add_u32_e32 v78, s84, v42
	v_ashrrev_i32_e32 v79, 31, v78
	v_ashrrev_i32_e32 v81, 31, v80
	v_lshl_add_u64 v[78:79], v[78:79], 2, v[16:17]
	v_lshl_add_u64 v[80:81], v[80:81], 2, v[16:17]
	global_load_dword v78, v[78:79], off
	v_add_u32_e32 v82, s87, v42
	global_load_dword v79, v[80:81], off
	;; [unrolled: 8-line block ×8, first 2 shown]
	v_add_u32_e32 v92, s10, v42
	v_ashrrev_i32_e32 v93, 31, v92
	v_lshl_add_u64 v[92:93], v[92:93], 2, v[16:17]
	global_load_dword v92, v[92:93], off
	s_nop 0
	global_load_dword v93, v[20:21], off
	global_load_dwordx2 v[94:95], v[22:23], off
	s_waitcnt vmcnt(62)
	ds_write_b32 v43, v52 offset:264
	v_add_u32_e32 v52, s14, v42
	v_ashrrev_i32_e32 v97, 31, v96
	v_lshl_add_u64 v[96:97], v[96:97], 3, s[0:1]
	v_lshl_add_u64 v[20:21], v[20:21], 0, s[20:21]
	s_waitcnt vmcnt(1)
	ds_write_b32 v43, v93
	s_waitcnt vmcnt(0)
	v_cvt_f16_f32_e32 v93, v94
	v_cvt_f16_f32_e32 v106, v95
	v_lshl_add_u64 v[94:95], v[22:23], 0, s[12:13]
	global_load_dwordx2 v[94:95], v[94:95], off
	ds_write_b32 v43, v49 offset:528
	ds_write_b32 v43, v53 offset:792
	;; [unrolled: 1-line block ×14, first 2 shown]
	v_add_u32_e32 v62, s19, v42
	v_ashrrev_i32_e32 v53, 31, v52
	v_ashrrev_i32_e32 v63, 31, v62
	v_lshl_add_u64 v[52:53], v[52:53], 3, s[0:1]
	v_lshl_add_u64 v[62:63], v[62:63], 3, s[0:1]
	;; [unrolled: 1-line block ×3, first 2 shown]
	s_waitcnt vmcnt(0)
	v_cvt_f16_f32_e32 v110, v94
	v_add_u32_e32 v94, s26, v42
	v_cvt_f16_f32_e32 v111, v95
	v_ashrrev_i32_e32 v95, 31, v94
	v_lshl_add_u64 v[94:95], v[94:95], 3, s[0:1]
	global_load_dwordx2 v[52:53], v[52:53], off
	s_nop 0
	global_load_dwordx2 v[62:63], v[62:63], off
	s_nop 0
	;; [unrolled: 2-line block ×3, first 2 shown]
	global_load_dwordx2 v[96:97], v[96:97], off
	s_waitcnt vmcnt(3)
	v_cvt_f16_f32_e32 v112, v52
	s_waitcnt vmcnt(2)
	v_cvt_f16_f32_e32 v114, v62
	;; [unrolled: 2-line block ×4, first 2 shown]
	v_add_u32_e32 v52, s28, v42
	v_add_u32_e32 v62, s29, v42
	;; [unrolled: 1-line block ×4, first 2 shown]
	v_cvt_f16_f32_e32 v113, v53
	v_cvt_f16_f32_e32 v115, v63
	;; [unrolled: 1-line block ×4, first 2 shown]
	v_ashrrev_i32_e32 v53, 31, v52
	v_ashrrev_i32_e32 v63, 31, v62
	v_ashrrev_i32_e32 v95, 31, v94
	v_ashrrev_i32_e32 v97, 31, v96
	v_lshl_add_u64 v[52:53], v[52:53], 3, s[0:1]
	v_lshl_add_u64 v[62:63], v[62:63], 3, s[0:1]
	;; [unrolled: 1-line block ×4, first 2 shown]
	global_load_dwordx2 v[52:53], v[52:53], off
	s_nop 0
	global_load_dwordx2 v[62:63], v[62:63], off
	s_nop 0
	global_load_dwordx2 v[94:95], v[94:95], off
	s_nop 0
	global_load_dwordx2 v[96:97], v[96:97], off
	s_waitcnt vmcnt(3)
	v_cvt_f16_f32_e32 v120, v52
	s_waitcnt vmcnt(2)
	v_cvt_f16_f32_e32 v122, v62
	s_waitcnt vmcnt(1)
	v_cvt_f16_f32_e32 v124, v94
	s_waitcnt vmcnt(0)
	v_cvt_f16_f32_e32 v126, v96
	v_add_u32_e32 v52, s33, v42
	v_add_u32_e32 v62, s34, v42
	;; [unrolled: 1-line block ×4, first 2 shown]
	v_cvt_f16_f32_e32 v121, v53
	v_cvt_f16_f32_e32 v123, v63
	;; [unrolled: 1-line block ×4, first 2 shown]
	v_ashrrev_i32_e32 v53, 31, v52
	v_ashrrev_i32_e32 v63, 31, v62
	v_ashrrev_i32_e32 v95, 31, v94
	v_ashrrev_i32_e32 v97, 31, v96
	v_lshl_add_u64 v[52:53], v[52:53], 3, s[0:1]
	v_lshl_add_u64 v[62:63], v[62:63], 3, s[0:1]
	;; [unrolled: 1-line block ×4, first 2 shown]
	global_load_dwordx2 v[52:53], v[52:53], off
	s_nop 0
	global_load_dwordx2 v[62:63], v[62:63], off
	s_nop 0
	;; [unrolled: 2-line block ×3, first 2 shown]
	global_load_dwordx2 v[96:97], v[96:97], off
	v_add_u32_e32 v42, 0x200, v42
	v_cmp_le_i32_e32 vcc, s5, v42
	s_or_b64 s[16:17], vcc, s[16:17]
	s_waitcnt vmcnt(3)
	v_cvt_f16_f32_e32 v128, v52
	v_cvt_f16_f32_e32 v129, v53
	s_waitcnt vmcnt(2)
	v_cvt_f16_f32_e32 v130, v62
	v_cvt_f16_f32_e32 v131, v63
	;; [unrolled: 3-line block ×4, first 2 shown]
	ds_read_b64 v[52:53], v44
	ds_read_b64 v[62:63], v44 offset:32
	ds_read_b64 v[94:95], v44 offset:64
	;; [unrolled: 1-line block ×7, first 2 shown]
	ds_write_b32 v43, v18
	ds_write_b32 v43, v45 offset:264
	ds_write_b32 v43, v46 offset:528
	;; [unrolled: 1-line block ×15, first 2 shown]
	v_pack_b32_f16 v18, v93, v106
	ds_read_b64 v[24:25], v44
	ds_read_b64 v[26:27], v44 offset:32
	ds_read_b64 v[28:29], v44 offset:64
	;; [unrolled: 1-line block ×7, first 2 shown]
	ds_write_b32 v43, v35
	ds_write_b32 v43, v37 offset:264
	ds_write_b32 v43, v48 offset:528
	;; [unrolled: 1-line block ×15, first 2 shown]
	ds_read_b64 v[34:35], v44
	ds_read_b64 v[36:37], v44 offset:32
	ds_read_b64 v[48:49], v44 offset:64
	;; [unrolled: 1-line block ×7, first 2 shown]
	ds_write_b32 v43, v77
	ds_write_b32 v43, v78 offset:264
	ds_write_b32 v43, v79 offset:528
	;; [unrolled: 1-line block ×15, first 2 shown]
	v_pack_b32_f16 v45, v110, v111
	ds_read_b64 v[64:65], v44
	ds_read_b64 v[66:67], v44 offset:32
	ds_read_b64 v[68:69], v44 offset:64
	;; [unrolled: 1-line block ×7, first 2 shown]
	ds_write_b32 v43, v18
	ds_write_b32 v43, v45 offset:264
	v_pack_b32_f16 v18, v112, v113
	v_pack_b32_f16 v45, v114, v115
	;; [unrolled: 1-line block ×12, first 2 shown]
	ds_write_b32 v43, v18 offset:528
	ds_write_b32 v43, v45 offset:792
	;; [unrolled: 1-line block ×14, first 2 shown]
	ds_read_b64 v[80:81], v44
	ds_read_b64 v[82:83], v44 offset:32
	ds_read_b64 v[84:85], v44 offset:64
	;; [unrolled: 1-line block ×3, first 2 shown]
	s_waitcnt lgkmcnt(3)
	v_mfma_f32_16x16x16_f16 v[12:15], v[52:53], v[80:81], v[12:15]
	v_mfma_f32_16x16x16_f16 v[8:11], v[24:25], v[80:81], v[8:11]
	ds_read_b64 v[24:25], v44 offset:128
	v_mfma_f32_16x16x16_f16 v[0:3], v[34:35], v[80:81], v[0:3]
	v_mfma_f32_16x16x16_f16 v[4:7], v[64:65], v[80:81], v[4:7]
	s_waitcnt lgkmcnt(3)
	v_mfma_f32_16x16x16_f16 v[12:15], v[62:63], v[82:83], v[12:15]
	v_mfma_f32_16x16x16_f16 v[8:11], v[26:27], v[82:83], v[8:11]
	v_mfma_f32_16x16x16_f16 v[0:3], v[36:37], v[82:83], v[0:3]
	v_mfma_f32_16x16x16_f16 v[4:7], v[66:67], v[82:83], v[4:7]
	s_waitcnt lgkmcnt(2)
	v_mfma_f32_16x16x16_f16 v[12:15], v[94:95], v[84:85], v[12:15]
	v_mfma_f32_16x16x16_f16 v[8:11], v[28:29], v[84:85], v[8:11]
	;; [unrolled: 5-line block ×3, first 2 shown]
	ds_read_b64 v[26:27], v44 offset:160
	ds_read_b64 v[28:29], v44 offset:192
	;; [unrolled: 1-line block ×3, first 2 shown]
	v_mfma_f32_16x16x16_f16 v[0:3], v[50:51], v[86:87], v[0:3]
	v_mfma_f32_16x16x16_f16 v[4:7], v[70:71], v[86:87], v[4:7]
	s_waitcnt lgkmcnt(3)
	v_mfma_f32_16x16x16_f16 v[12:15], v[98:99], v[24:25], v[12:15]
	v_mfma_f32_16x16x16_f16 v[8:11], v[32:33], v[24:25], v[8:11]
	v_mfma_f32_16x16x16_f16 v[0:3], v[54:55], v[24:25], v[0:3]
	v_mfma_f32_16x16x16_f16 v[4:7], v[72:73], v[24:25], v[4:7]
	s_waitcnt lgkmcnt(2)
	v_mfma_f32_16x16x16_f16 v[12:15], v[100:101], v[26:27], v[12:15]
	v_mfma_f32_16x16x16_f16 v[8:11], v[46:47], v[26:27], v[8:11]
	;; [unrolled: 5-line block ×4, first 2 shown]
	v_mfma_f32_16x16x16_f16 v[0:3], v[60:61], v[30:31], v[0:3]
	v_mfma_f32_16x16x16_f16 v[4:7], v[78:79], v[30:31], v[4:7]
	s_andn2_b64 exec, exec, s[16:17]
	s_cbranch_execnz .LBB122_4
; %bb.5:
	s_or_b64 exec, exec, s[16:17]
.LBB122_6:
	s_or_b64 exec, exec, s[24:25]
	v_mul_u32_u24_e32 v16, 0x808, v41
	v_lshlrev_b32_e32 v17, 2, v40
	s_waitcnt lgkmcnt(0)
	s_mul_hi_i32 s1, s15, s4
	s_mul_i32 s0, s15, s4
	v_add3_u32 v16, 0, v16, v17
	v_and_b32_e32 v17, 0x3f0, v39
	s_lshl_b64 s[0:1], s[0:1], 2
	v_add_u32_e32 v17, v16, v17
	s_mul_i32 s4, s3, s11
	s_add_u32 s3, s6, s0
	s_barrier
	ds_write2_b32 v17, v12, v13 offset1:1
	ds_write_b32 v17, v14 offset:8
	v_or_b32_e32 v12, 12, v39
	s_addc_u32 s6, s7, s1
	s_ashr_i32 s5, s4, 31
	v_and_b32_e32 v12, 0x3fc, v12
	s_lshl_b64 s[0:1], s[4:5], 2
	v_add_u32_e32 v12, v16, v12
	s_add_u32 s0, s3, s0
	s_movk_i32 s3, 0x808
	ds_write_b32 v12, v15
	ds_write2_b32 v17, v8, v9 offset0:16 offset1:17
	ds_write_b32 v17, v10 offset:72
	ds_write_b32 v12, v11 offset:64
	ds_write2_b32 v17, v0, v1 offset0:32 offset1:33
	ds_write_b32 v17, v2 offset:136
	ds_write_b32 v12, v3 offset:128
	;; [unrolled: 3-line block ×3, first 2 shown]
	v_lshl_add_u32 v1, v39, 2, 0
	v_mad_u32_u24 v8, v38, s3, v1
	s_waitcnt lgkmcnt(0)
	s_barrier
	ds_read2st64_b32 v[2:3], v8 offset1:1
	ds_read2st64_b32 v[4:5], v8 offset0:2 offset1:3
	ds_read2st64_b32 v[6:7], v8 offset0:4 offset1:5
	;; [unrolled: 1-line block ×3, first 2 shown]
	v_add_u32_e32 v0, s2, v39
	s_addc_u32 s1, s6, s1
	v_cmp_gt_u32_e32 vcc, 6, v38
	s_waitcnt lgkmcnt(3)
	v_add_f32_e32 v2, 0, v2
	v_add_f32_e32 v2, v2, v3
	s_waitcnt lgkmcnt(2)
	v_add_f32_e32 v2, v2, v4
	v_add_f32_e32 v2, v2, v5
	;; [unrolled: 3-line block ×4, first 2 shown]
	v_mad_u64_u32 v[2:3], s[4:5], v38, s18, v[0:1]
	v_mov_b32_e32 v3, 0
	v_lshl_add_u64 v[4:5], v[2:3], 2, s[0:1]
	global_store_dword v[4:5], v6, off
	s_and_saveexec_b64 s[4:5], vcc
	s_cbranch_execz .LBB122_8
; %bb.7:
	v_or_b32_e32 v2, 8, v38
	v_mad_u32_u24 v1, v2, s3, v1
	ds_read2st64_b32 v[4:5], v1 offset1:1
	ds_read2st64_b32 v[6:7], v1 offset0:2 offset1:3
	ds_read2st64_b32 v[8:9], v1 offset0:4 offset1:5
	;; [unrolled: 1-line block ×3, first 2 shown]
	s_waitcnt lgkmcnt(3)
	v_add_f32_e32 v1, 0, v4
	v_add_f32_e32 v1, v1, v5
	s_waitcnt lgkmcnt(2)
	v_add_f32_e32 v1, v1, v6
	v_add_f32_e32 v1, v1, v7
	s_waitcnt lgkmcnt(1)
	v_add_f32_e32 v1, v1, v8
	v_add_f32_e32 v1, v1, v9
	s_waitcnt lgkmcnt(0)
	v_add_f32_e32 v1, v1, v10
	v_add_f32_e32 v4, v1, v11
	v_mad_u64_u32 v[0:1], s[2:3], v2, s18, v[0:1]
	v_mov_b32_e32 v1, v3
	v_lshl_add_u64 v[0:1], v[0:1], 2, s[0:1]
	global_store_dword v[0:1], v4, off
.LBB122_8:
	s_endpgm
	.section	.rodata,"a",@progbits
	.p2align	6, 0x0
	.amdhsa_kernel _ZL9mul_mat_fI7__half2Li64ELi14ELi8ELb0EEvPKT_PKfPKiPfiiiiiiiiiiiiiiii
		.amdhsa_group_segment_fixed_size 0
		.amdhsa_private_segment_fixed_size 0
		.amdhsa_kernarg_size 96
		.amdhsa_user_sgpr_count 2
		.amdhsa_user_sgpr_dispatch_ptr 0
		.amdhsa_user_sgpr_queue_ptr 0
		.amdhsa_user_sgpr_kernarg_segment_ptr 1
		.amdhsa_user_sgpr_dispatch_id 0
		.amdhsa_user_sgpr_kernarg_preload_length 0
		.amdhsa_user_sgpr_kernarg_preload_offset 0
		.amdhsa_user_sgpr_private_segment_size 0
		.amdhsa_uses_dynamic_stack 0
		.amdhsa_enable_private_segment 0
		.amdhsa_system_sgpr_workgroup_id_x 1
		.amdhsa_system_sgpr_workgroup_id_y 1
		.amdhsa_system_sgpr_workgroup_id_z 1
		.amdhsa_system_sgpr_workgroup_info 0
		.amdhsa_system_vgpr_workitem_id 1
		.amdhsa_next_free_vgpr 136
		.amdhsa_next_free_sgpr 98
		.amdhsa_accum_offset 136
		.amdhsa_reserve_vcc 1
		.amdhsa_float_round_mode_32 0
		.amdhsa_float_round_mode_16_64 0
		.amdhsa_float_denorm_mode_32 3
		.amdhsa_float_denorm_mode_16_64 3
		.amdhsa_dx10_clamp 1
		.amdhsa_ieee_mode 1
		.amdhsa_fp16_overflow 0
		.amdhsa_tg_split 0
		.amdhsa_exception_fp_ieee_invalid_op 0
		.amdhsa_exception_fp_denorm_src 0
		.amdhsa_exception_fp_ieee_div_zero 0
		.amdhsa_exception_fp_ieee_overflow 0
		.amdhsa_exception_fp_ieee_underflow 0
		.amdhsa_exception_fp_ieee_inexact 0
		.amdhsa_exception_int_div_zero 0
	.end_amdhsa_kernel
	.section	.text._ZL9mul_mat_fI7__half2Li64ELi14ELi8ELb0EEvPKT_PKfPKiPfiiiiiiiiiiiiiiii,"axG",@progbits,_ZL9mul_mat_fI7__half2Li64ELi14ELi8ELb0EEvPKT_PKfPKiPfiiiiiiiiiiiiiiii,comdat
.Lfunc_end122:
	.size	_ZL9mul_mat_fI7__half2Li64ELi14ELi8ELb0EEvPKT_PKfPKiPfiiiiiiiiiiiiiiii, .Lfunc_end122-_ZL9mul_mat_fI7__half2Li64ELi14ELi8ELb0EEvPKT_PKfPKiPfiiiiiiiiiiiiiiii
                                        ; -- End function
	.section	.AMDGPU.csdata,"",@progbits
; Kernel info:
; codeLenInByte = 4988
; NumSgprs: 104
; NumVgprs: 136
; NumAgprs: 0
; TotalNumVgprs: 136
; ScratchSize: 0
; MemoryBound: 0
; FloatMode: 240
; IeeeMode: 1
; LDSByteSize: 0 bytes/workgroup (compile time only)
; SGPRBlocks: 12
; VGPRBlocks: 16
; NumSGPRsForWavesPerEU: 104
; NumVGPRsForWavesPerEU: 136
; AccumOffset: 136
; Occupancy: 3
; WaveLimiterHint : 0
; COMPUTE_PGM_RSRC2:SCRATCH_EN: 0
; COMPUTE_PGM_RSRC2:USER_SGPR: 2
; COMPUTE_PGM_RSRC2:TRAP_HANDLER: 0
; COMPUTE_PGM_RSRC2:TGID_X_EN: 1
; COMPUTE_PGM_RSRC2:TGID_Y_EN: 1
; COMPUTE_PGM_RSRC2:TGID_Z_EN: 1
; COMPUTE_PGM_RSRC2:TIDIG_COMP_CNT: 1
; COMPUTE_PGM_RSRC3_GFX90A:ACCUM_OFFSET: 33
; COMPUTE_PGM_RSRC3_GFX90A:TG_SPLIT: 0
	.section	.text._ZL13mul_mat_f_idsI15__hip_bfloat162Li64ELi14ELi1EEvPKT_PKfPKiS7_S7_Pfiiiiiiiiiiiiii15HIP_vector_typeIjLj3EESA_,"axG",@progbits,_ZL13mul_mat_f_idsI15__hip_bfloat162Li64ELi14ELi1EEvPKT_PKfPKiS7_S7_Pfiiiiiiiiiiiiii15HIP_vector_typeIjLj3EESA_,comdat
	.globl	_ZL13mul_mat_f_idsI15__hip_bfloat162Li64ELi14ELi1EEvPKT_PKfPKiS7_S7_Pfiiiiiiiiiiiiii15HIP_vector_typeIjLj3EESA_ ; -- Begin function _ZL13mul_mat_f_idsI15__hip_bfloat162Li64ELi14ELi1EEvPKT_PKfPKiS7_S7_Pfiiiiiiiiiiiiii15HIP_vector_typeIjLj3EESA_
	.p2align	8
	.type	_ZL13mul_mat_f_idsI15__hip_bfloat162Li64ELi14ELi1EEvPKT_PKfPKiS7_S7_Pfiiiiiiiiiiiiii15HIP_vector_typeIjLj3EESA_,@function
_ZL13mul_mat_f_idsI15__hip_bfloat162Li64ELi14ELi1EEvPKT_PKfPKiS7_S7_Pfiiiiiiiiiiiiii15HIP_vector_typeIjLj3EESA_: ; @_ZL13mul_mat_f_idsI15__hip_bfloat162Li64ELi14ELi1EEvPKT_PKfPKiS7_S7_Pfiiiiiiiiiiiiii15HIP_vector_typeIjLj3EESA_
; %bb.0:
	s_load_dwordx2 s[6:7], s[0:1], 0x20
	s_mov_b32 s34, s3
	s_ashr_i32 s35, s3, 31
	s_lshl_b64 s[8:9], s[34:35], 2
	s_waitcnt lgkmcnt(0)
	s_add_u32 s6, s6, s8
	s_addc_u32 s7, s7, s9
	s_load_dwordx2 s[26:27], s[6:7], 0x0
	s_waitcnt lgkmcnt(0)
	s_sub_i32 s33, s27, s26
	s_add_i32 s3, s33, 13
	s_mul_hi_i32 s5, s3, 0x92492493
	s_add_i32 s5, s5, s3
	s_lshr_b32 s3, s5, 31
	s_ashr_i32 s5, s5, 3
	s_add_i32 s5, s5, s3
	s_cmp_ge_i32 s4, s5
	s_cbranch_scc1 .LBB123_203
; %bb.1:
	v_bfe_u32 v16, v0, 10, 10
	v_lshlrev_b32_e32 v114, 6, v16
	v_and_b32_e32 v17, 0x3ff, v0
	s_load_dwordx4 s[12:15], s[0:1], 0x30
	s_load_dwordx2 s[20:21], s[0:1], 0x40
	s_load_dwordx4 s[8:11], s[0:1], 0x4c
	s_load_dwordx4 s[16:19], s[0:1], 0x68
	s_load_dwordx2 s[24:25], s[0:1], 0x78
	v_or_b32_e32 v116, v114, v17
	s_ashr_i32 s27, s26, 31
	s_waitcnt lgkmcnt(0)
	v_cmp_le_i32_e32 vcc, s12, v116
	v_and_b32_e32 v0, 15, v17
                                        ; implicit-def: $sgpr3
                                        ; implicit-def: $vgpr115
	s_and_saveexec_b64 s[6:7], vcc
	s_xor_b64 s[6:7], exec, s[6:7]
; %bb.2:
	v_mul_u32_u24_e32 v115, 0x108, v0
	s_mov_b32 s3, 0
                                        ; implicit-def: $vgpr116
                                        ; implicit-def: $vgpr0
; %bb.3:
	s_or_saveexec_b64 s[22:23], s[6:7]
	s_load_dwordx2 s[6:7], s[0:1], 0x18
                                        ; implicit-def: $vgpr119 : SGPR spill to VGPR lane
	s_lshl_b32 s11, s2, 6
	s_mul_i32 s2, s4, 14
	v_accvgpr_write_b32 a0, s3
	v_accvgpr_write_b32 a1, s3
	s_waitcnt lgkmcnt(0)
	v_writelane_b32 v119, s6, 0
	v_accvgpr_write_b32 a2, s3
	v_accvgpr_write_b32 a3, s3
	v_writelane_b32 v119, s7, 1
	s_load_dwordx2 s[6:7], s[0:1], 0x28
	v_accvgpr_write_b32 a4, s3
	v_accvgpr_write_b32 a5, s3
	;; [unrolled: 1-line block ×4, first 2 shown]
	s_waitcnt lgkmcnt(0)
	v_writelane_b32 v119, s6, 2
	v_accvgpr_write_b32 a8, s3
	v_accvgpr_write_b32 a9, s3
	v_writelane_b32 v119, s7, 3
	v_accvgpr_write_b32 a10, s3
	v_accvgpr_write_b32 a11, s3
	;; [unrolled: 1-line block ×6, first 2 shown]
	v_writelane_b32 v119, s22, 4
	s_nop 1
	v_writelane_b32 v119, s23, 5
	s_xor_b64 exec, exec, s[22:23]
	s_cbranch_execz .LBB123_161
; %bb.4:
	v_writelane_b32 v119, s24, 6
	s_load_dwordx4 s[4:7], s[0:1], 0x0
	s_load_dwordx2 s[22:23], s[0:1], 0x10
	v_writelane_b32 v119, s25, 7
	s_mul_i32 s0, s34, s8
	s_mul_i32 s24, s11, s15
	s_ashr_i32 s1, s0, 31
	s_ashr_i32 s25, s24, 31
	s_lshl_b64 s[24:25], s[24:25], 2
	s_lshl_b64 s[0:1], s[0:1], 2
	s_add_u32 s24, s0, s24
	v_writelane_b32 v119, s11, 8
	s_addc_u32 s25, s1, s25
	s_waitcnt lgkmcnt(0)
	s_add_u32 s0, s24, s4
	v_writelane_b32 v119, s26, 9
	s_addc_u32 s1, s25, s5
	s_movk_i32 s3, 0x1080
	v_writelane_b32 v119, s27, 10
	s_lshl_b64 s[26:27], s[26:27], 2
	s_add_u32 s8, s22, s26
	s_addc_u32 s11, s23, s27
	s_cmp_lt_i32 s2, s33
	v_mad_u32_u24 v1, v16, s3, 0
	s_cselect_b64 s[34:35], -1, 0
	s_ashr_i32 s3, s2, 31
	s_lshl_b64 s[22:23], s[2:3], 2
	s_add_u32 s36, s8, s22
	s_addc_u32 s37, s11, s23
	s_or_b32 s3, s2, 1
	s_cmp_lt_i32 s3, s33
	v_mul_u32_u24_e32 v115, 0x108, v0
	v_lshrrev_b32_e32 v0, 1, v17
	s_cselect_b64 s[38:39], -1, 0
	s_add_i32 s3, s2, 2
	v_mov_b32_e32 v19, 0
	v_lshlrev_b32_e32 v2, 2, v17
	v_and_b32_e32 v0, 0x1f8, v0
	s_cmp_lt_i32 s3, s33
	v_lshlrev_b32_e32 v18, 8, v16
	v_add_u32_e32 v117, v1, v2
	v_add3_u32 v118, v1, v115, v0
	s_cselect_b64 s[40:41], -1, 0
	s_add_i32 s3, s2, 3
	v_lshl_add_u64 v[0:1], s[24:25], 0, v[18:19]
	v_mov_b32_e32 v3, v19
	s_cmp_lt_i32 s3, s33
	v_lshl_add_u64 v[0:1], v[0:1], 0, v[2:3]
	s_cselect_b64 s[42:43], -1, 0
	s_add_i32 s3, s2, 4
	v_lshl_add_u64 v[20:21], s[4:5], 0, v[0:1]
	s_mul_i32 s4, s15, 3
	s_cmp_lt_i32 s3, s33
	v_writelane_b32 v119, s4, 11
	s_mul_i32 s4, s15, 5
	s_cselect_b64 s[44:45], -1, 0
	s_add_i32 s3, s2, 5
	v_writelane_b32 v119, s4, 12
	s_mul_i32 s4, s15, 6
	s_cmp_lt_i32 s3, s33
	v_writelane_b32 v119, s4, 13
	s_mul_i32 s4, s15, 7
	s_cselect_b64 s[46:47], -1, 0
	s_add_i32 s3, s2, 6
	v_writelane_b32 v119, s4, 14
	;; [unrolled: 7-line block ×9, first 2 shown]
	s_mul_i32 s4, s15, 24
	s_cmp_lt_i32 s3, s33
	v_writelane_b32 v119, s4, 29
	s_mul_i32 s4, s15, 25
	s_cselect_b64 s[62:63], -1, 0
	s_ashr_i32 s23, s15, 31
	s_mov_b32 s22, s15
	v_writelane_b32 v119, s4, 30
	s_mul_i32 s4, s15, 26
	s_lshl_b64 s[64:65], s[22:23], 2
	s_lshl_b32 s3, s15, 1
	s_lshl_b32 s70, s15, 2
	;; [unrolled: 1-line block ×4, first 2 shown]
	v_writelane_b32 v119, s4, 31
	s_mul_i32 s93, s15, 27
	v_accvgpr_write_b32 a15, 0
	v_accvgpr_write_b32 a14, 0
	;; [unrolled: 1-line block ×16, first 2 shown]
	s_mul_i32 s94, s15, 28
	s_mul_i32 s95, s15, 29
	;; [unrolled: 1-line block ×4, first 2 shown]
	s_lshl_b32 s98, s15, 5
	s_mul_i32 s99, s15, 33
	s_mul_i32 s28, s15, 34
	;; [unrolled: 1-line block ×31, first 2 shown]
	s_mov_b32 s90, 0x7f800000
	s_movk_i32 s91, 0x7fff
	s_mov_b32 s92, 0x7060302
	s_mov_b64 s[4:5], 0
	s_mov_b64 s[66:67], 0x100
	s_branch .LBB123_6
.LBB123_5:                              ;   in Loop: Header=BB123_6 Depth=1
	s_or_b64 exec, exec, s[68:69]
	v_perm_b32 v18, v86, v18, s92
	v_add_u32_e32 v86, 0xc00, v117
	ds_write2_b32 v86, v18, v19 offset0:90 offset1:156
	ds_write_b32 v117, v19 offset:3960
	ds_read2_b64 v[86:89], v118 offset1:4
	v_accvgpr_write_b32 a0, v12
	v_accvgpr_write_b32 a4, v8
	;; [unrolled: 1-line block ×16, first 2 shown]
	s_waitcnt lgkmcnt(0)
	v_mfma_f32_16x16x16_bf16 a[0:3], v[28:29], v[86:87], a[0:3]
	ds_read2_b64 v[0:3], v118 offset0:8 offset1:12
	v_add_u32_e32 v116, 64, v116
	v_cmp_le_i32_e32 vcc, s12, v116
	v_mfma_f32_16x16x16_bf16 a[4:7], v[54:55], v[86:87], a[4:7]
	v_lshl_add_u64 v[20:21], v[20:21], 0, s[66:67]
	s_or_b64 s[4:5], vcc, s[4:5]
	v_mfma_f32_16x16x16_bf16 a[8:11], v[68:69], v[86:87], a[8:11]
	v_mfma_f32_16x16x16_bf16 a[12:15], v[84:85], v[86:87], a[12:15]
	;; [unrolled: 1-line block ×6, first 2 shown]
	s_waitcnt lgkmcnt(0)
	v_mfma_f32_16x16x16_bf16 a[0:3], v[24:25], v[0:1], a[0:3]
	v_mfma_f32_16x16x16_bf16 a[4:7], v[48:49], v[0:1], a[4:7]
	;; [unrolled: 1-line block ×8, first 2 shown]
	ds_read2_b64 v[0:3], v118 offset0:16 offset1:20
	s_waitcnt lgkmcnt(0)
	v_mfma_f32_16x16x16_bf16 a[0:3], v[36:37], v[0:1], a[0:3]
	v_mfma_f32_16x16x16_bf16 a[4:7], v[44:45], v[0:1], a[4:7]
	;; [unrolled: 1-line block ×8, first 2 shown]
	ds_read2_b64 v[0:3], v118 offset0:24 offset1:28
	s_waitcnt lgkmcnt(0)
	v_mfma_f32_16x16x16_bf16 a[0:3], v[32:33], v[0:1], a[0:3]
	v_mfma_f32_16x16x16_bf16 a[4:7], v[40:41], v[0:1], a[4:7]
	;; [unrolled: 1-line block ×8, first 2 shown]
	s_andn2_b64 exec, exec, s[4:5]
	s_cbranch_execz .LBB123_160
.LBB123_6:                              ; =>This Inner Loop Header: Depth=1
	v_readlane_b32 s68, v119, 11
	v_lshl_add_u64 v[0:1], v[20:21], 0, s[64:65]
	global_load_dword v18, v[20:21], off
	global_load_dword v22, v[0:1], off
	v_add_u32_e32 v2, s68, v116
	v_readlane_b32 s68, v119, 12
	v_add_u32_e32 v0, s3, v116
	v_add_u32_e32 v12, s74, v116
	;; [unrolled: 1-line block ×3, first 2 shown]
	v_readlane_b32 s68, v119, 13
	v_ashrrev_i32_e32 v1, 31, v0
	v_add_u32_e32 v4, s70, v116
	v_add_u32_e32 v8, s68, v116
	v_readlane_b32 s68, v119, 14
	v_ashrrev_i32_e32 v13, 31, v12
	v_lshl_add_u64 v[0:1], v[0:1], 2, s[0:1]
	v_add_u32_e32 v10, s68, v116
	v_readlane_b32 s68, v119, 15
	v_ashrrev_i32_e32 v3, 31, v2
	v_ashrrev_i32_e32 v5, 31, v4
	v_add_u32_e32 v14, s68, v116
	v_ashrrev_i32_e32 v7, 31, v6
	v_ashrrev_i32_e32 v9, 31, v8
	;; [unrolled: 1-line block ×3, first 2 shown]
	v_lshl_add_u64 v[12:13], v[12:13], 2, s[0:1]
	v_ashrrev_i32_e32 v15, 31, v14
	v_readlane_b32 s68, v119, 16
	v_lshl_add_u64 v[2:3], v[2:3], 2, s[0:1]
	v_lshl_add_u64 v[4:5], v[4:5], 2, s[0:1]
	;; [unrolled: 1-line block ×6, first 2 shown]
	global_load_dword v23, v[0:1], off
	global_load_dword v24, v[2:3], off
	;; [unrolled: 1-line block ×6, first 2 shown]
	s_nop 0
	global_load_dword v12, v[12:13], off
	s_nop 0
	global_load_dword v13, v[14:15], off
	v_add_u32_e32 v0, s68, v116
	v_readlane_b32 s68, v119, 17
	v_ashrrev_i32_e32 v1, 31, v0
	v_lshl_add_u64 v[0:1], v[0:1], 2, s[0:1]
	v_add_u32_e32 v2, s68, v116
	v_readlane_b32 s68, v119, 18
	v_ashrrev_i32_e32 v3, 31, v2
	v_lshl_add_u64 v[2:3], v[2:3], 2, s[0:1]
	;; [unrolled: 4-line block ×5, first 2 shown]
	v_add_u32_e32 v10, s68, v116
	v_ashrrev_i32_e32 v11, 31, v10
	v_lshl_add_u64 v[10:11], v[10:11], 2, s[0:1]
	global_load_dword v14, v[0:1], off
	global_load_dword v15, v[2:3], off
	s_nop 0
	global_load_dword v4, v[4:5], off
	s_nop 0
	;; [unrolled: 2-line block ×3, first 2 shown]
	global_load_dword v6, v[8:9], off
	global_load_dword v7, v[10:11], off
	v_add_u32_e32 v0, s82, v116
	v_readlane_b32 s68, v119, 22
	v_ashrrev_i32_e32 v1, 31, v0
	v_lshl_add_u64 v[0:1], v[0:1], 2, s[0:1]
	v_add_u32_e32 v2, s68, v116
	v_ashrrev_i32_e32 v3, 31, v2
	v_readlane_b32 s68, v119, 23
	v_lshl_add_u64 v[2:3], v[2:3], 2, s[0:1]
	global_load_dword v38, v[0:1], off
	global_load_dword v39, v[2:3], off
	v_add_u32_e32 v0, s68, v116
	v_readlane_b32 s68, v119, 24
	v_ashrrev_i32_e32 v1, 31, v0
	v_lshl_add_u64 v[0:1], v[0:1], 2, s[0:1]
	v_add_u32_e32 v2, s68, v116
	v_readlane_b32 s68, v119, 25
	v_ashrrev_i32_e32 v3, 31, v2
	v_lshl_add_u64 v[2:3], v[2:3], 2, s[0:1]
	s_andn2_b64 vcc, exec, s[34:35]
	v_mov_b32_e32 v112, 0
	v_mov_b32_e32 v113, 0
	s_waitcnt vmcnt(17)
	ds_write_b32 v117, v18
	s_waitcnt vmcnt(16)
	ds_write_b32 v117, v22 offset:264
	s_waitcnt vmcnt(15)
	ds_write_b32 v117, v23 offset:528
	;; [unrolled: 2-line block ×15, first 2 shown]
	v_add_u32_e32 v4, s68, v116
	v_readlane_b32 s68, v119, 26
	v_ashrrev_i32_e32 v5, 31, v4
	ds_read_b64 v[28:29], v118
	ds_read_b64 v[26:27], v118 offset:32
	ds_read_b64 v[24:25], v118 offset:64
	;; [unrolled: 1-line block ×3, first 2 shown]
	v_add_u32_e32 v6, s68, v116
	v_readlane_b32 s68, v119, 27
	v_ashrrev_i32_e32 v7, 31, v6
	v_lshl_add_u64 v[4:5], v[4:5], 2, s[0:1]
	v_add_u32_e32 v8, s68, v116
	v_readlane_b32 s68, v119, 28
	v_ashrrev_i32_e32 v9, 31, v8
	v_lshl_add_u64 v[6:7], v[6:7], 2, s[0:1]
	;; [unrolled: 4-line block ×4, first 2 shown]
	v_add_u32_e32 v14, s68, v116
	v_ashrrev_i32_e32 v15, 31, v14
	v_readlane_b32 s68, v119, 31
	v_lshl_add_u64 v[12:13], v[12:13], 2, s[0:1]
	v_lshl_add_u64 v[14:15], v[14:15], 2, s[0:1]
	global_load_dword v18, v[0:1], off
	global_load_dword v40, v[2:3], off
	global_load_dword v41, v[4:5], off
	global_load_dword v42, v[6:7], off
	global_load_dword v43, v[8:9], off
	global_load_dword v44, v[10:11], off
	global_load_dword v45, v[12:13], off
	global_load_dword v46, v[14:15], off
	v_add_u32_e32 v0, s68, v116
	v_ashrrev_i32_e32 v1, 31, v0
	v_add_u32_e32 v2, s93, v116
	v_add_u32_e32 v4, s94, v116
	v_add_u32_e32 v6, s95, v116
	v_add_u32_e32 v8, s96, v116
	v_add_u32_e32 v10, s97, v116
	v_add_u32_e32 v12, s98, v116
	v_add_u32_e32 v14, s99, v116
	v_lshl_add_u64 v[0:1], v[0:1], 2, s[0:1]
	v_ashrrev_i32_e32 v3, 31, v2
	v_ashrrev_i32_e32 v5, 31, v4
	v_ashrrev_i32_e32 v7, 31, v6
	v_ashrrev_i32_e32 v9, 31, v8
	v_ashrrev_i32_e32 v11, 31, v10
	v_ashrrev_i32_e32 v13, 31, v12
	v_ashrrev_i32_e32 v15, 31, v14
	v_lshl_add_u64 v[2:3], v[2:3], 2, s[0:1]
	v_lshl_add_u64 v[4:5], v[4:5], 2, s[0:1]
	v_lshl_add_u64 v[6:7], v[6:7], 2, s[0:1]
	v_lshl_add_u64 v[8:9], v[8:9], 2, s[0:1]
	v_lshl_add_u64 v[10:11], v[10:11], 2, s[0:1]
	v_lshl_add_u64 v[12:13], v[12:13], 2, s[0:1]
	v_lshl_add_u64 v[14:15], v[14:15], 2, s[0:1]
	global_load_dword v47, v[0:1], off
	global_load_dword v48, v[2:3], off
	global_load_dword v49, v[4:5], off
	global_load_dword v50, v[6:7], off
	global_load_dword v51, v[8:9], off
	global_load_dword v52, v[10:11], off
	global_load_dword v53, v[12:13], off
	global_load_dword v56, v[14:15], off
	v_add_u32_e32 v0, s28, v116
	v_ashrrev_i32_e32 v1, 31, v0
	v_add_u32_e32 v2, s29, v116
	v_add_u32_e32 v4, s24, v116
	v_add_u32_e32 v6, s25, v116
	v_add_u32_e32 v8, s11, v116
	v_add_u32_e32 v10, s30, v116
	v_add_u32_e32 v12, s31, v116
	v_add_u32_e32 v14, s22, v116
	v_lshl_add_u64 v[0:1], v[0:1], 2, s[0:1]
	v_ashrrev_i32_e32 v3, 31, v2
	v_ashrrev_i32_e32 v5, 31, v4
	v_ashrrev_i32_e32 v7, 31, v6
	v_ashrrev_i32_e32 v9, 31, v8
	v_ashrrev_i32_e32 v11, 31, v10
	v_ashrrev_i32_e32 v13, 31, v12
	v_ashrrev_i32_e32 v15, 31, v14
	v_lshl_add_u64 v[2:3], v[2:3], 2, s[0:1]
	v_lshl_add_u64 v[4:5], v[4:5], 2, s[0:1]
	v_lshl_add_u64 v[6:7], v[6:7], 2, s[0:1]
	v_lshl_add_u64 v[8:9], v[8:9], 2, s[0:1]
	v_lshl_add_u64 v[10:11], v[10:11], 2, s[0:1]
	;; [unrolled: 32-line block ×4, first 2 shown]
	v_lshl_add_u64 v[12:13], v[12:13], 2, s[0:1]
	v_lshl_add_u64 v[14:15], v[14:15], 2, s[0:1]
	global_load_dword v73, v[0:1], off
	global_load_dword v74, v[2:3], off
	;; [unrolled: 1-line block ×8, first 2 shown]
	v_add_u32_e32 v0, s85, v116
	v_ashrrev_i32_e32 v1, 31, v0
	v_add_u32_e32 v2, s86, v116
	v_add_u32_e32 v4, s87, v116
	;; [unrolled: 1-line block ×5, first 2 shown]
	v_lshl_add_u64 v[0:1], v[0:1], 2, s[0:1]
	v_ashrrev_i32_e32 v3, 31, v2
	v_ashrrev_i32_e32 v5, 31, v4
	;; [unrolled: 1-line block ×5, first 2 shown]
	v_lshl_add_u64 v[2:3], v[2:3], 2, s[0:1]
	v_lshl_add_u64 v[4:5], v[4:5], 2, s[0:1]
	;; [unrolled: 1-line block ×5, first 2 shown]
	global_load_dword v81, v[0:1], off
	global_load_dword v82, v[2:3], off
	;; [unrolled: 1-line block ×6, first 2 shown]
	ds_read_b64 v[36:37], v118 offset:128
	ds_read_b64 v[34:35], v118 offset:160
	ds_read_b64 v[32:33], v118 offset:192
	ds_read_b64 v[30:31], v118 offset:224
	s_waitcnt vmcnt(47)
	ds_write_b32 v117, v38
	s_waitcnt vmcnt(46)
	ds_write_b32 v117, v39 offset:264
	s_waitcnt vmcnt(45)
	ds_write_b32 v117, v18 offset:528
	s_waitcnt vmcnt(44)
	ds_write_b32 v117, v40 offset:792
	s_waitcnt vmcnt(43)
	ds_write_b32 v117, v41 offset:1056
	s_waitcnt vmcnt(42)
	ds_write_b32 v117, v42 offset:1320
	s_waitcnt vmcnt(41)
	ds_write_b32 v117, v43 offset:1584
	s_waitcnt vmcnt(40)
	ds_write_b32 v117, v44 offset:1848
	s_waitcnt vmcnt(39)
	ds_write_b32 v117, v45 offset:2112
	s_waitcnt vmcnt(38)
	ds_write_b32 v117, v46 offset:2376
	s_waitcnt vmcnt(37)
	ds_write_b32 v117, v47 offset:2640
	s_waitcnt vmcnt(36)
	ds_write_b32 v117, v48 offset:2904
	s_waitcnt vmcnt(35)
	ds_write_b32 v117, v49 offset:3168
	s_waitcnt vmcnt(34)
	ds_write_b32 v117, v50 offset:3432
	s_waitcnt vmcnt(33)
	ds_write_b32 v117, v51 offset:3696
	s_waitcnt vmcnt(32)
	ds_write_b32 v117, v52 offset:3960
	ds_read_b64 v[54:55], v118
	ds_read_b64 v[50:51], v118 offset:32
	ds_read_b64 v[48:49], v118 offset:64
	ds_read_b64 v[46:47], v118 offset:96
	ds_read_b64 v[44:45], v118 offset:128
	ds_read_b64 v[42:43], v118 offset:160
	ds_read_b64 v[40:41], v118 offset:192
	ds_read_b64 v[38:39], v118 offset:224
	s_waitcnt vmcnt(31)
	ds_write_b32 v117, v53
	s_waitcnt vmcnt(30)
	ds_write_b32 v117, v56 offset:264
	s_waitcnt vmcnt(29)
	ds_write_b32 v117, v57 offset:528
	s_waitcnt vmcnt(28)
	ds_write_b32 v117, v58 offset:792
	s_waitcnt vmcnt(27)
	ds_write_b32 v117, v59 offset:1056
	s_waitcnt vmcnt(26)
	ds_write_b32 v117, v60 offset:1320
	s_waitcnt vmcnt(25)
	ds_write_b32 v117, v61 offset:1584
	s_waitcnt vmcnt(24)
	ds_write_b32 v117, v62 offset:1848
	s_waitcnt vmcnt(23)
	ds_write_b32 v117, v63 offset:2112
	s_waitcnt vmcnt(22)
	ds_write_b32 v117, v64 offset:2376
	s_waitcnt vmcnt(21)
	ds_write_b32 v117, v65 offset:2640
	s_waitcnt vmcnt(20)
	ds_write_b32 v117, v66 offset:2904
	s_waitcnt vmcnt(19)
	ds_write_b32 v117, v67 offset:3168
	s_waitcnt vmcnt(18)
	ds_write_b32 v117, v68 offset:3432
	s_waitcnt vmcnt(17)
	ds_write_b32 v117, v69 offset:3696
	s_waitcnt vmcnt(16)
	ds_write_b32 v117, v70 offset:3960
	ds_read_b64 v[68:69], v118
	ds_read_b64 v[66:67], v118 offset:32
	ds_read_b64 v[64:65], v118 offset:64
	ds_read_b64 v[62:63], v118 offset:96
	;; [unrolled: 40-line block ×3, first 2 shown]
	ds_read_b64 v[80:81], v118 offset:128
	ds_read_b64 v[76:77], v118 offset:160
	;; [unrolled: 1-line block ×4, first 2 shown]
	v_accvgpr_read_b32 v3, a15
	v_accvgpr_read_b32 v2, a14
	v_accvgpr_read_b32 v1, a13
	v_accvgpr_read_b32 v0, a12
	v_accvgpr_read_b32 v7, a11
	v_accvgpr_read_b32 v6, a10
	v_accvgpr_read_b32 v5, a9
	v_accvgpr_read_b32 v4, a8
	v_accvgpr_read_b32 v11, a7
	v_accvgpr_read_b32 v10, a6
	v_accvgpr_read_b32 v9, a5
	v_accvgpr_read_b32 v8, a4
	v_accvgpr_read_b32 v15, a3
	v_accvgpr_read_b32 v14, a2
	v_accvgpr_read_b32 v13, a1
	v_accvgpr_read_b32 v12, a0
	s_cbranch_vccnz .LBB123_9
; %bb.7:                                ;   in Loop: Header=BB123_6 Depth=1
	s_load_dword s68, s[36:37], 0x0
	v_mov_b32_e32 v113, 0
	v_mov_b32_e32 v112, 0
	s_waitcnt lgkmcnt(0)
	s_mul_hi_u32 s69, s68, s16
	s_add_i32 s69, s68, s69
	s_lshr_b32 s69, s69, s17
	s_cmp_ge_i32 s69, s13
	s_cbranch_scc1 .LBB123_9
; %bb.8:                                ;   in Loop: Header=BB123_6 Depth=1
	s_mul_i32 vcc_lo, s69, s18
	s_sub_i32 s68, s68, vcc_lo
	s_mul_i32 s69, s69, s20
	s_mul_i32 s68, s68, s9
	v_add_u32_e32 v18, s69, v116
	v_lshl_add_u32 v86, v18, 1, s68
	v_ashrrev_i32_e32 v87, 31, v86
	v_lshl_add_u64 v[86:87], v[86:87], 2, s[6:7]
	global_load_dwordx2 v[112:113], v[86:87], off
.LBB123_9:                              ;   in Loop: Header=BB123_6 Depth=1
	s_andn2_b64 vcc, exec, s[38:39]
	v_mov_b32_e32 v106, 0
	v_mov_b32_e32 v110, 0
	v_mov_b32_e32 v111, 0
	s_cbranch_vccnz .LBB123_12
; %bb.10:                               ;   in Loop: Header=BB123_6 Depth=1
	s_load_dword s68, s[36:37], 0x4
	v_mov_b32_e32 v111, 0
	v_mov_b32_e32 v110, 0
	s_waitcnt lgkmcnt(0)
	s_mul_hi_u32 s69, s68, s16
	s_add_i32 s69, s68, s69
	s_lshr_b32 s69, s69, s17
	s_cmp_ge_i32 s69, s13
	s_cbranch_scc1 .LBB123_12
; %bb.11:                               ;   in Loop: Header=BB123_6 Depth=1
	s_mul_i32 vcc_lo, s69, s18
	s_sub_i32 s68, s68, vcc_lo
	s_mul_i32 s69, s69, s20
	s_mul_i32 s68, s68, s9
	v_add_u32_e32 v18, s69, v116
	v_lshl_add_u32 v86, v18, 1, s68
	v_ashrrev_i32_e32 v87, 31, v86
	v_lshl_add_u64 v[86:87], v[86:87], 2, s[6:7]
	global_load_dwordx2 v[110:111], v[86:87], off
.LBB123_12:                             ;   in Loop: Header=BB123_6 Depth=1
	s_andn2_b64 vcc, exec, s[40:41]
	v_mov_b32_e32 v107, 0
	s_cbranch_vccnz .LBB123_15
; %bb.13:                               ;   in Loop: Header=BB123_6 Depth=1
	s_load_dword s68, s[36:37], 0x8
	v_mov_b32_e32 v107, 0
	v_mov_b32_e32 v106, 0
	s_waitcnt lgkmcnt(0)
	s_mul_hi_u32 s69, s68, s16
	s_add_i32 s69, s68, s69
	s_lshr_b32 s69, s69, s17
	s_cmp_ge_i32 s69, s13
	s_cbranch_scc1 .LBB123_15
; %bb.14:                               ;   in Loop: Header=BB123_6 Depth=1
	s_mul_i32 vcc_lo, s69, s18
	s_sub_i32 s68, s68, vcc_lo
	s_mul_i32 s69, s69, s20
	s_mul_i32 s68, s68, s9
	v_add_u32_e32 v18, s69, v116
	v_lshl_add_u32 v86, v18, 1, s68
	v_ashrrev_i32_e32 v87, 31, v86
	v_lshl_add_u64 v[86:87], v[86:87], 2, s[6:7]
	global_load_dwordx2 v[106:107], v[86:87], off
.LBB123_15:                             ;   in Loop: Header=BB123_6 Depth=1
	s_andn2_b64 vcc, exec, s[42:43]
	v_mov_b32_e32 v102, 0
	v_mov_b32_e32 v108, 0
	v_mov_b32_e32 v109, 0
	s_cbranch_vccnz .LBB123_18
; %bb.16:                               ;   in Loop: Header=BB123_6 Depth=1
	s_load_dword s68, s[36:37], 0xc
	v_mov_b32_e32 v109, 0
	v_mov_b32_e32 v108, 0
	s_waitcnt lgkmcnt(0)
	s_mul_hi_u32 s69, s68, s16
	s_add_i32 s69, s68, s69
	s_lshr_b32 s69, s69, s17
	s_cmp_ge_i32 s69, s13
	s_cbranch_scc1 .LBB123_18
; %bb.17:                               ;   in Loop: Header=BB123_6 Depth=1
	s_mul_i32 vcc_lo, s69, s18
	s_sub_i32 s68, s68, vcc_lo
	s_mul_i32 s69, s69, s20
	s_mul_i32 s68, s68, s9
	v_add_u32_e32 v18, s69, v116
	v_lshl_add_u32 v86, v18, 1, s68
	v_ashrrev_i32_e32 v87, 31, v86
	v_lshl_add_u64 v[86:87], v[86:87], 2, s[6:7]
	global_load_dwordx2 v[108:109], v[86:87], off
.LBB123_18:                             ;   in Loop: Header=BB123_6 Depth=1
	s_andn2_b64 vcc, exec, s[44:45]
	v_mov_b32_e32 v103, 0
	s_cbranch_vccnz .LBB123_21
; %bb.19:                               ;   in Loop: Header=BB123_6 Depth=1
	s_load_dword s68, s[36:37], 0x10
	v_mov_b32_e32 v103, 0
	v_mov_b32_e32 v102, 0
	s_waitcnt lgkmcnt(0)
	s_mul_hi_u32 s69, s68, s16
	s_add_i32 s69, s68, s69
	s_lshr_b32 s69, s69, s17
	s_cmp_ge_i32 s69, s13
	s_cbranch_scc1 .LBB123_21
; %bb.20:                               ;   in Loop: Header=BB123_6 Depth=1
	s_mul_i32 vcc_lo, s69, s18
	s_sub_i32 s68, s68, vcc_lo
	s_mul_i32 s69, s69, s20
	s_mul_i32 s68, s68, s9
	v_add_u32_e32 v18, s69, v116
	v_lshl_add_u32 v86, v18, 1, s68
	v_ashrrev_i32_e32 v87, 31, v86
	v_lshl_add_u64 v[86:87], v[86:87], 2, s[6:7]
	global_load_dwordx2 v[102:103], v[86:87], off
.LBB123_21:                             ;   in Loop: Header=BB123_6 Depth=1
	;; [unrolled: 50-line block ×6, first 2 shown]
	s_andn2_b64 vcc, exec, s[62:63]
	v_mov_b32_e32 v88, 0
	v_mov_b32_e32 v89, 0
	s_cbranch_vccnz .LBB123_48
; %bb.46:                               ;   in Loop: Header=BB123_6 Depth=1
	s_load_dword s68, s[36:37], 0x34
	v_mov_b32_e32 v89, 0
	v_mov_b32_e32 v88, 0
	s_waitcnt lgkmcnt(0)
	s_mul_hi_u32 s69, s68, s16
	s_add_i32 s69, s68, s69
	s_lshr_b32 s69, s69, s17
	s_cmp_ge_i32 s69, s13
	s_cbranch_scc1 .LBB123_48
; %bb.47:                               ;   in Loop: Header=BB123_6 Depth=1
	s_mul_i32 vcc_lo, s69, s18
	s_sub_i32 s68, s68, vcc_lo
	s_mul_i32 s69, s69, s20
	s_mul_i32 s68, s68, s9
	v_add_u32_e32 v18, s69, v116
	v_lshl_add_u32 v88, v18, 1, s68
	v_ashrrev_i32_e32 v89, 31, v88
	v_lshl_add_u64 v[88:89], v[88:89], 2, s[6:7]
	global_load_dwordx2 v[88:89], v[88:89], off
.LBB123_48:                             ;   in Loop: Header=BB123_6 Depth=1
	s_waitcnt vmcnt(0)
	v_and_b32_e32 v18, 0x7f800000, v112
	v_cmp_ne_u32_e32 vcc, s90, v18
                                        ; implicit-def: $vgpr18
	s_and_saveexec_b64 s[68:69], vcc
	s_xor_b64 s[68:69], exec, s[68:69]
; %bb.49:                               ;   in Loop: Header=BB123_6 Depth=1
	v_bfe_u32 v18, v112, 16, 1
	v_add3_u32 v18, v112, v18, s91
; %bb.50:                               ;   in Loop: Header=BB123_6 Depth=1
	s_andn2_saveexec_b64 s[68:69], s[68:69]
; %bb.51:                               ;   in Loop: Header=BB123_6 Depth=1
	v_or_b32_e32 v18, 0x10000, v112
	v_cmp_eq_u32_sdwa vcc, v112, v19 src0_sel:WORD_0 src1_sel:DWORD
	s_nop 1
	v_cndmask_b32_e32 v18, v18, v112, vcc
; %bb.52:                               ;   in Loop: Header=BB123_6 Depth=1
	s_or_b64 exec, exec, s[68:69]
	v_and_b32_e32 v112, 0x7f800000, v113
	v_cmp_ne_u32_e32 vcc, s90, v112
                                        ; implicit-def: $vgpr112
	s_and_saveexec_b64 s[68:69], vcc
	s_xor_b64 s[68:69], exec, s[68:69]
; %bb.53:                               ;   in Loop: Header=BB123_6 Depth=1
	v_bfe_u32 v112, v113, 16, 1
	v_add3_u32 v112, v113, v112, s91
                                        ; implicit-def: $vgpr113
; %bb.54:                               ;   in Loop: Header=BB123_6 Depth=1
	s_andn2_saveexec_b64 s[68:69], s[68:69]
; %bb.55:                               ;   in Loop: Header=BB123_6 Depth=1
	v_or_b32_e32 v112, 0x10000, v113
	v_cmp_eq_u32_sdwa vcc, v113, v19 src0_sel:WORD_0 src1_sel:DWORD
	s_nop 1
	v_cndmask_b32_e32 v112, v112, v113, vcc
; %bb.56:                               ;   in Loop: Header=BB123_6 Depth=1
	s_or_b64 exec, exec, s[68:69]
	v_perm_b32 v18, v112, v18, s92
	ds_write_b32 v117, v18
	v_and_b32_e32 v18, 0x7f800000, v110
	v_cmp_ne_u32_e32 vcc, s90, v18
                                        ; implicit-def: $vgpr18
	s_and_saveexec_b64 s[68:69], vcc
	s_xor_b64 s[68:69], exec, s[68:69]
; %bb.57:                               ;   in Loop: Header=BB123_6 Depth=1
	v_bfe_u32 v18, v110, 16, 1
	v_add3_u32 v18, v110, v18, s91
; %bb.58:                               ;   in Loop: Header=BB123_6 Depth=1
	s_andn2_saveexec_b64 s[68:69], s[68:69]
; %bb.59:                               ;   in Loop: Header=BB123_6 Depth=1
	v_or_b32_e32 v18, 0x10000, v110
	v_cmp_eq_u32_sdwa vcc, v110, v19 src0_sel:WORD_0 src1_sel:DWORD
	s_nop 1
	v_cndmask_b32_e32 v18, v18, v110, vcc
; %bb.60:                               ;   in Loop: Header=BB123_6 Depth=1
	s_or_b64 exec, exec, s[68:69]
	v_and_b32_e32 v110, 0x7f800000, v111
	v_cmp_ne_u32_e32 vcc, s90, v110
                                        ; implicit-def: $vgpr110
	s_and_saveexec_b64 s[68:69], vcc
	s_xor_b64 s[68:69], exec, s[68:69]
; %bb.61:                               ;   in Loop: Header=BB123_6 Depth=1
	v_bfe_u32 v110, v111, 16, 1
	v_add3_u32 v110, v111, v110, s91
                                        ; implicit-def: $vgpr111
; %bb.62:                               ;   in Loop: Header=BB123_6 Depth=1
	s_andn2_saveexec_b64 s[68:69], s[68:69]
; %bb.63:                               ;   in Loop: Header=BB123_6 Depth=1
	v_or_b32_e32 v110, 0x10000, v111
	v_cmp_eq_u32_sdwa vcc, v111, v19 src0_sel:WORD_0 src1_sel:DWORD
	s_nop 1
	v_cndmask_b32_e32 v110, v110, v111, vcc
; %bb.64:                               ;   in Loop: Header=BB123_6 Depth=1
	s_or_b64 exec, exec, s[68:69]
	v_perm_b32 v18, v110, v18, s92
	ds_write_b32 v117, v18 offset:264
	v_and_b32_e32 v18, 0x7f800000, v106
	v_cmp_ne_u32_e32 vcc, s90, v18
                                        ; implicit-def: $vgpr18
	s_and_saveexec_b64 s[68:69], vcc
	s_xor_b64 s[68:69], exec, s[68:69]
; %bb.65:                               ;   in Loop: Header=BB123_6 Depth=1
	v_bfe_u32 v18, v106, 16, 1
	v_add3_u32 v18, v106, v18, s91
; %bb.66:                               ;   in Loop: Header=BB123_6 Depth=1
	s_andn2_saveexec_b64 s[68:69], s[68:69]
; %bb.67:                               ;   in Loop: Header=BB123_6 Depth=1
	v_or_b32_e32 v18, 0x10000, v106
	v_cmp_eq_u32_sdwa vcc, v106, v19 src0_sel:WORD_0 src1_sel:DWORD
	s_nop 1
	v_cndmask_b32_e32 v18, v18, v106, vcc
; %bb.68:                               ;   in Loop: Header=BB123_6 Depth=1
	s_or_b64 exec, exec, s[68:69]
	v_and_b32_e32 v106, 0x7f800000, v107
	v_cmp_ne_u32_e32 vcc, s90, v106
                                        ; implicit-def: $vgpr106
	s_and_saveexec_b64 s[68:69], vcc
	s_xor_b64 s[68:69], exec, s[68:69]
; %bb.69:                               ;   in Loop: Header=BB123_6 Depth=1
	v_bfe_u32 v106, v107, 16, 1
	v_add3_u32 v106, v107, v106, s91
                                        ; implicit-def: $vgpr107
; %bb.70:                               ;   in Loop: Header=BB123_6 Depth=1
	s_andn2_saveexec_b64 s[68:69], s[68:69]
; %bb.71:                               ;   in Loop: Header=BB123_6 Depth=1
	v_or_b32_e32 v106, 0x10000, v107
	v_cmp_eq_u32_sdwa vcc, v107, v19 src0_sel:WORD_0 src1_sel:DWORD
	s_nop 1
	v_cndmask_b32_e32 v106, v106, v107, vcc
; %bb.72:                               ;   in Loop: Header=BB123_6 Depth=1
	s_or_b64 exec, exec, s[68:69]
	v_perm_b32 v18, v106, v18, s92
	ds_write_b32 v117, v18 offset:528
	v_and_b32_e32 v18, 0x7f800000, v108
	v_cmp_ne_u32_e32 vcc, s90, v18
                                        ; implicit-def: $vgpr18
	s_and_saveexec_b64 s[68:69], vcc
	s_xor_b64 s[68:69], exec, s[68:69]
; %bb.73:                               ;   in Loop: Header=BB123_6 Depth=1
	v_bfe_u32 v18, v108, 16, 1
	v_add3_u32 v18, v108, v18, s91
; %bb.74:                               ;   in Loop: Header=BB123_6 Depth=1
	s_andn2_saveexec_b64 s[68:69], s[68:69]
; %bb.75:                               ;   in Loop: Header=BB123_6 Depth=1
	v_or_b32_e32 v18, 0x10000, v108
	v_cmp_eq_u32_sdwa vcc, v108, v19 src0_sel:WORD_0 src1_sel:DWORD
	s_nop 1
	v_cndmask_b32_e32 v18, v18, v108, vcc
; %bb.76:                               ;   in Loop: Header=BB123_6 Depth=1
	s_or_b64 exec, exec, s[68:69]
	v_and_b32_e32 v106, 0x7f800000, v109
	v_cmp_ne_u32_e32 vcc, s90, v106
                                        ; implicit-def: $vgpr106
	s_and_saveexec_b64 s[68:69], vcc
	s_xor_b64 s[68:69], exec, s[68:69]
; %bb.77:                               ;   in Loop: Header=BB123_6 Depth=1
	v_bfe_u32 v106, v109, 16, 1
	v_add3_u32 v106, v109, v106, s91
                                        ; implicit-def: $vgpr109
; %bb.78:                               ;   in Loop: Header=BB123_6 Depth=1
	s_andn2_saveexec_b64 s[68:69], s[68:69]
; %bb.79:                               ;   in Loop: Header=BB123_6 Depth=1
	v_or_b32_e32 v106, 0x10000, v109
	v_cmp_eq_u32_sdwa vcc, v109, v19 src0_sel:WORD_0 src1_sel:DWORD
	s_nop 1
	v_cndmask_b32_e32 v106, v106, v109, vcc
; %bb.80:                               ;   in Loop: Header=BB123_6 Depth=1
	s_or_b64 exec, exec, s[68:69]
	v_perm_b32 v18, v106, v18, s92
	ds_write_b32 v117, v18 offset:792
	v_and_b32_e32 v18, 0x7f800000, v102
	v_cmp_ne_u32_e32 vcc, s90, v18
                                        ; implicit-def: $vgpr18
	s_and_saveexec_b64 s[68:69], vcc
	s_xor_b64 s[68:69], exec, s[68:69]
; %bb.81:                               ;   in Loop: Header=BB123_6 Depth=1
	v_bfe_u32 v18, v102, 16, 1
	v_add3_u32 v18, v102, v18, s91
; %bb.82:                               ;   in Loop: Header=BB123_6 Depth=1
	s_andn2_saveexec_b64 s[68:69], s[68:69]
; %bb.83:                               ;   in Loop: Header=BB123_6 Depth=1
	v_or_b32_e32 v18, 0x10000, v102
	v_cmp_eq_u32_sdwa vcc, v102, v19 src0_sel:WORD_0 src1_sel:DWORD
	s_nop 1
	v_cndmask_b32_e32 v18, v18, v102, vcc
; %bb.84:                               ;   in Loop: Header=BB123_6 Depth=1
	s_or_b64 exec, exec, s[68:69]
	v_and_b32_e32 v102, 0x7f800000, v103
	v_cmp_ne_u32_e32 vcc, s90, v102
                                        ; implicit-def: $vgpr102
	s_and_saveexec_b64 s[68:69], vcc
	s_xor_b64 s[68:69], exec, s[68:69]
; %bb.85:                               ;   in Loop: Header=BB123_6 Depth=1
	v_bfe_u32 v102, v103, 16, 1
	v_add3_u32 v102, v103, v102, s91
                                        ; implicit-def: $vgpr103
; %bb.86:                               ;   in Loop: Header=BB123_6 Depth=1
	s_andn2_saveexec_b64 s[68:69], s[68:69]
; %bb.87:                               ;   in Loop: Header=BB123_6 Depth=1
	v_or_b32_e32 v102, 0x10000, v103
	v_cmp_eq_u32_sdwa vcc, v103, v19 src0_sel:WORD_0 src1_sel:DWORD
	s_nop 1
	v_cndmask_b32_e32 v102, v102, v103, vcc
; %bb.88:                               ;   in Loop: Header=BB123_6 Depth=1
	s_or_b64 exec, exec, s[68:69]
	v_perm_b32 v18, v102, v18, s92
	ds_write_b32 v117, v18 offset:1056
	v_and_b32_e32 v18, 0x7f800000, v104
	v_cmp_ne_u32_e32 vcc, s90, v18
                                        ; implicit-def: $vgpr18
	s_and_saveexec_b64 s[68:69], vcc
	s_xor_b64 s[68:69], exec, s[68:69]
; %bb.89:                               ;   in Loop: Header=BB123_6 Depth=1
	v_bfe_u32 v18, v104, 16, 1
	v_add3_u32 v18, v104, v18, s91
; %bb.90:                               ;   in Loop: Header=BB123_6 Depth=1
	s_andn2_saveexec_b64 s[68:69], s[68:69]
; %bb.91:                               ;   in Loop: Header=BB123_6 Depth=1
	v_or_b32_e32 v18, 0x10000, v104
	v_cmp_eq_u32_sdwa vcc, v104, v19 src0_sel:WORD_0 src1_sel:DWORD
	s_nop 1
	v_cndmask_b32_e32 v18, v18, v104, vcc
; %bb.92:                               ;   in Loop: Header=BB123_6 Depth=1
	s_or_b64 exec, exec, s[68:69]
	v_and_b32_e32 v102, 0x7f800000, v105
	v_cmp_ne_u32_e32 vcc, s90, v102
                                        ; implicit-def: $vgpr102
	s_and_saveexec_b64 s[68:69], vcc
	s_xor_b64 s[68:69], exec, s[68:69]
; %bb.93:                               ;   in Loop: Header=BB123_6 Depth=1
	v_bfe_u32 v102, v105, 16, 1
	v_add3_u32 v102, v105, v102, s91
                                        ; implicit-def: $vgpr105
; %bb.94:                               ;   in Loop: Header=BB123_6 Depth=1
	s_andn2_saveexec_b64 s[68:69], s[68:69]
; %bb.95:                               ;   in Loop: Header=BB123_6 Depth=1
	v_or_b32_e32 v102, 0x10000, v105
	v_cmp_eq_u32_sdwa vcc, v105, v19 src0_sel:WORD_0 src1_sel:DWORD
	s_nop 1
	v_cndmask_b32_e32 v102, v102, v105, vcc
; %bb.96:                               ;   in Loop: Header=BB123_6 Depth=1
	s_or_b64 exec, exec, s[68:69]
	v_perm_b32 v18, v102, v18, s92
	ds_write_b32 v117, v18 offset:1320
	v_and_b32_e32 v18, 0x7f800000, v98
	v_cmp_ne_u32_e32 vcc, s90, v18
                                        ; implicit-def: $vgpr18
	s_and_saveexec_b64 s[68:69], vcc
	s_xor_b64 s[68:69], exec, s[68:69]
; %bb.97:                               ;   in Loop: Header=BB123_6 Depth=1
	v_bfe_u32 v18, v98, 16, 1
	v_add3_u32 v18, v98, v18, s91
; %bb.98:                               ;   in Loop: Header=BB123_6 Depth=1
	s_andn2_saveexec_b64 s[68:69], s[68:69]
; %bb.99:                               ;   in Loop: Header=BB123_6 Depth=1
	v_or_b32_e32 v18, 0x10000, v98
	v_cmp_eq_u32_sdwa vcc, v98, v19 src0_sel:WORD_0 src1_sel:DWORD
	s_nop 1
	v_cndmask_b32_e32 v18, v18, v98, vcc
; %bb.100:                              ;   in Loop: Header=BB123_6 Depth=1
	s_or_b64 exec, exec, s[68:69]
	v_and_b32_e32 v98, 0x7f800000, v99
	v_cmp_ne_u32_e32 vcc, s90, v98
                                        ; implicit-def: $vgpr98
	s_and_saveexec_b64 s[68:69], vcc
	s_xor_b64 s[68:69], exec, s[68:69]
; %bb.101:                              ;   in Loop: Header=BB123_6 Depth=1
	v_bfe_u32 v98, v99, 16, 1
	v_add3_u32 v98, v99, v98, s91
                                        ; implicit-def: $vgpr99
; %bb.102:                              ;   in Loop: Header=BB123_6 Depth=1
	s_andn2_saveexec_b64 s[68:69], s[68:69]
; %bb.103:                              ;   in Loop: Header=BB123_6 Depth=1
	v_or_b32_e32 v98, 0x10000, v99
	v_cmp_eq_u32_sdwa vcc, v99, v19 src0_sel:WORD_0 src1_sel:DWORD
	s_nop 1
	v_cndmask_b32_e32 v98, v98, v99, vcc
; %bb.104:                              ;   in Loop: Header=BB123_6 Depth=1
	s_or_b64 exec, exec, s[68:69]
	v_perm_b32 v18, v98, v18, s92
	ds_write_b32 v117, v18 offset:1584
	v_and_b32_e32 v18, 0x7f800000, v100
	v_cmp_ne_u32_e32 vcc, s90, v18
                                        ; implicit-def: $vgpr18
	s_and_saveexec_b64 s[68:69], vcc
	s_xor_b64 s[68:69], exec, s[68:69]
; %bb.105:                              ;   in Loop: Header=BB123_6 Depth=1
	v_bfe_u32 v18, v100, 16, 1
	v_add3_u32 v18, v100, v18, s91
; %bb.106:                              ;   in Loop: Header=BB123_6 Depth=1
	s_andn2_saveexec_b64 s[68:69], s[68:69]
; %bb.107:                              ;   in Loop: Header=BB123_6 Depth=1
	v_or_b32_e32 v18, 0x10000, v100
	v_cmp_eq_u32_sdwa vcc, v100, v19 src0_sel:WORD_0 src1_sel:DWORD
	s_nop 1
	v_cndmask_b32_e32 v18, v18, v100, vcc
; %bb.108:                              ;   in Loop: Header=BB123_6 Depth=1
	s_or_b64 exec, exec, s[68:69]
	v_and_b32_e32 v98, 0x7f800000, v101
	v_cmp_ne_u32_e32 vcc, s90, v98
                                        ; implicit-def: $vgpr98
	s_and_saveexec_b64 s[68:69], vcc
	s_xor_b64 s[68:69], exec, s[68:69]
; %bb.109:                              ;   in Loop: Header=BB123_6 Depth=1
	v_bfe_u32 v98, v101, 16, 1
	v_add3_u32 v98, v101, v98, s91
                                        ; implicit-def: $vgpr101
; %bb.110:                              ;   in Loop: Header=BB123_6 Depth=1
	s_andn2_saveexec_b64 s[68:69], s[68:69]
; %bb.111:                              ;   in Loop: Header=BB123_6 Depth=1
	v_or_b32_e32 v98, 0x10000, v101
	v_cmp_eq_u32_sdwa vcc, v101, v19 src0_sel:WORD_0 src1_sel:DWORD
	s_nop 1
	v_cndmask_b32_e32 v98, v98, v101, vcc
; %bb.112:                              ;   in Loop: Header=BB123_6 Depth=1
	s_or_b64 exec, exec, s[68:69]
	v_perm_b32 v18, v98, v18, s92
	ds_write_b32 v117, v18 offset:1848
	v_and_b32_e32 v18, 0x7f800000, v94
	v_cmp_ne_u32_e32 vcc, s90, v18
                                        ; implicit-def: $vgpr18
	s_and_saveexec_b64 s[68:69], vcc
	s_xor_b64 s[68:69], exec, s[68:69]
; %bb.113:                              ;   in Loop: Header=BB123_6 Depth=1
	v_bfe_u32 v18, v94, 16, 1
	v_add3_u32 v18, v94, v18, s91
; %bb.114:                              ;   in Loop: Header=BB123_6 Depth=1
	s_andn2_saveexec_b64 s[68:69], s[68:69]
; %bb.115:                              ;   in Loop: Header=BB123_6 Depth=1
	v_or_b32_e32 v18, 0x10000, v94
	v_cmp_eq_u32_sdwa vcc, v94, v19 src0_sel:WORD_0 src1_sel:DWORD
	s_nop 1
	v_cndmask_b32_e32 v18, v18, v94, vcc
; %bb.116:                              ;   in Loop: Header=BB123_6 Depth=1
	s_or_b64 exec, exec, s[68:69]
	v_and_b32_e32 v94, 0x7f800000, v95
	v_cmp_ne_u32_e32 vcc, s90, v94
                                        ; implicit-def: $vgpr94
	s_and_saveexec_b64 s[68:69], vcc
	s_xor_b64 s[68:69], exec, s[68:69]
; %bb.117:                              ;   in Loop: Header=BB123_6 Depth=1
	v_bfe_u32 v94, v95, 16, 1
	v_add3_u32 v94, v95, v94, s91
                                        ; implicit-def: $vgpr95
; %bb.118:                              ;   in Loop: Header=BB123_6 Depth=1
	s_andn2_saveexec_b64 s[68:69], s[68:69]
; %bb.119:                              ;   in Loop: Header=BB123_6 Depth=1
	v_or_b32_e32 v94, 0x10000, v95
	v_cmp_eq_u32_sdwa vcc, v95, v19 src0_sel:WORD_0 src1_sel:DWORD
	s_nop 1
	v_cndmask_b32_e32 v94, v94, v95, vcc
; %bb.120:                              ;   in Loop: Header=BB123_6 Depth=1
	s_or_b64 exec, exec, s[68:69]
	v_perm_b32 v18, v94, v18, s92
	ds_write_b32 v117, v18 offset:2112
	v_and_b32_e32 v18, 0x7f800000, v96
	v_cmp_ne_u32_e32 vcc, s90, v18
                                        ; implicit-def: $vgpr18
	s_and_saveexec_b64 s[68:69], vcc
	s_xor_b64 s[68:69], exec, s[68:69]
; %bb.121:                              ;   in Loop: Header=BB123_6 Depth=1
	v_bfe_u32 v18, v96, 16, 1
	v_add3_u32 v18, v96, v18, s91
; %bb.122:                              ;   in Loop: Header=BB123_6 Depth=1
	s_andn2_saveexec_b64 s[68:69], s[68:69]
; %bb.123:                              ;   in Loop: Header=BB123_6 Depth=1
	v_or_b32_e32 v18, 0x10000, v96
	v_cmp_eq_u32_sdwa vcc, v96, v19 src0_sel:WORD_0 src1_sel:DWORD
	s_nop 1
	v_cndmask_b32_e32 v18, v18, v96, vcc
; %bb.124:                              ;   in Loop: Header=BB123_6 Depth=1
	s_or_b64 exec, exec, s[68:69]
	v_and_b32_e32 v94, 0x7f800000, v97
	v_cmp_ne_u32_e32 vcc, s90, v94
                                        ; implicit-def: $vgpr94
	s_and_saveexec_b64 s[68:69], vcc
	s_xor_b64 s[68:69], exec, s[68:69]
; %bb.125:                              ;   in Loop: Header=BB123_6 Depth=1
	v_bfe_u32 v94, v97, 16, 1
	v_add3_u32 v94, v97, v94, s91
                                        ; implicit-def: $vgpr97
; %bb.126:                              ;   in Loop: Header=BB123_6 Depth=1
	s_andn2_saveexec_b64 s[68:69], s[68:69]
; %bb.127:                              ;   in Loop: Header=BB123_6 Depth=1
	v_or_b32_e32 v94, 0x10000, v97
	v_cmp_eq_u32_sdwa vcc, v97, v19 src0_sel:WORD_0 src1_sel:DWORD
	s_nop 1
	v_cndmask_b32_e32 v94, v94, v97, vcc
; %bb.128:                              ;   in Loop: Header=BB123_6 Depth=1
	s_or_b64 exec, exec, s[68:69]
	v_perm_b32 v18, v94, v18, s92
	ds_write_b32 v117, v18 offset:2376
	v_and_b32_e32 v18, 0x7f800000, v90
	v_cmp_ne_u32_e32 vcc, s90, v18
                                        ; implicit-def: $vgpr18
	s_and_saveexec_b64 s[68:69], vcc
	s_xor_b64 s[68:69], exec, s[68:69]
; %bb.129:                              ;   in Loop: Header=BB123_6 Depth=1
	v_bfe_u32 v18, v90, 16, 1
	v_add3_u32 v18, v90, v18, s91
; %bb.130:                              ;   in Loop: Header=BB123_6 Depth=1
	s_andn2_saveexec_b64 s[68:69], s[68:69]
; %bb.131:                              ;   in Loop: Header=BB123_6 Depth=1
	v_or_b32_e32 v18, 0x10000, v90
	v_cmp_eq_u32_sdwa vcc, v90, v19 src0_sel:WORD_0 src1_sel:DWORD
	s_nop 1
	v_cndmask_b32_e32 v18, v18, v90, vcc
; %bb.132:                              ;   in Loop: Header=BB123_6 Depth=1
	s_or_b64 exec, exec, s[68:69]
	v_and_b32_e32 v90, 0x7f800000, v91
	v_cmp_ne_u32_e32 vcc, s90, v90
                                        ; implicit-def: $vgpr90
	s_and_saveexec_b64 s[68:69], vcc
	s_xor_b64 s[68:69], exec, s[68:69]
; %bb.133:                              ;   in Loop: Header=BB123_6 Depth=1
	v_bfe_u32 v90, v91, 16, 1
	v_add3_u32 v90, v91, v90, s91
                                        ; implicit-def: $vgpr91
; %bb.134:                              ;   in Loop: Header=BB123_6 Depth=1
	s_andn2_saveexec_b64 s[68:69], s[68:69]
; %bb.135:                              ;   in Loop: Header=BB123_6 Depth=1
	v_or_b32_e32 v90, 0x10000, v91
	v_cmp_eq_u32_sdwa vcc, v91, v19 src0_sel:WORD_0 src1_sel:DWORD
	s_nop 1
	v_cndmask_b32_e32 v90, v90, v91, vcc
; %bb.136:                              ;   in Loop: Header=BB123_6 Depth=1
	s_or_b64 exec, exec, s[68:69]
	v_perm_b32 v18, v90, v18, s92
	ds_write_b32 v117, v18 offset:2640
	v_and_b32_e32 v18, 0x7f800000, v92
	v_cmp_ne_u32_e32 vcc, s90, v18
                                        ; implicit-def: $vgpr18
	s_and_saveexec_b64 s[68:69], vcc
	s_xor_b64 s[68:69], exec, s[68:69]
; %bb.137:                              ;   in Loop: Header=BB123_6 Depth=1
	v_bfe_u32 v18, v92, 16, 1
	v_add3_u32 v18, v92, v18, s91
; %bb.138:                              ;   in Loop: Header=BB123_6 Depth=1
	s_andn2_saveexec_b64 s[68:69], s[68:69]
; %bb.139:                              ;   in Loop: Header=BB123_6 Depth=1
	v_or_b32_e32 v18, 0x10000, v92
	v_cmp_eq_u32_sdwa vcc, v92, v19 src0_sel:WORD_0 src1_sel:DWORD
	s_nop 1
	v_cndmask_b32_e32 v18, v18, v92, vcc
; %bb.140:                              ;   in Loop: Header=BB123_6 Depth=1
	s_or_b64 exec, exec, s[68:69]
	v_and_b32_e32 v90, 0x7f800000, v93
	v_cmp_ne_u32_e32 vcc, s90, v90
                                        ; implicit-def: $vgpr90
	s_and_saveexec_b64 s[68:69], vcc
	s_xor_b64 s[68:69], exec, s[68:69]
; %bb.141:                              ;   in Loop: Header=BB123_6 Depth=1
	v_bfe_u32 v90, v93, 16, 1
	v_add3_u32 v90, v93, v90, s91
                                        ; implicit-def: $vgpr93
; %bb.142:                              ;   in Loop: Header=BB123_6 Depth=1
	s_andn2_saveexec_b64 s[68:69], s[68:69]
; %bb.143:                              ;   in Loop: Header=BB123_6 Depth=1
	v_or_b32_e32 v90, 0x10000, v93
	v_cmp_eq_u32_sdwa vcc, v93, v19 src0_sel:WORD_0 src1_sel:DWORD
	s_nop 1
	v_cndmask_b32_e32 v90, v90, v93, vcc
; %bb.144:                              ;   in Loop: Header=BB123_6 Depth=1
	s_or_b64 exec, exec, s[68:69]
	v_perm_b32 v18, v90, v18, s92
	ds_write_b32 v117, v18 offset:2904
	v_and_b32_e32 v18, 0x7f800000, v86
	v_cmp_ne_u32_e32 vcc, s90, v18
                                        ; implicit-def: $vgpr18
	s_and_saveexec_b64 s[68:69], vcc
	s_xor_b64 s[68:69], exec, s[68:69]
; %bb.145:                              ;   in Loop: Header=BB123_6 Depth=1
	v_bfe_u32 v18, v86, 16, 1
	v_add3_u32 v18, v86, v18, s91
; %bb.146:                              ;   in Loop: Header=BB123_6 Depth=1
	s_andn2_saveexec_b64 s[68:69], s[68:69]
; %bb.147:                              ;   in Loop: Header=BB123_6 Depth=1
	v_or_b32_e32 v18, 0x10000, v86
	v_cmp_eq_u32_sdwa vcc, v86, v19 src0_sel:WORD_0 src1_sel:DWORD
	s_nop 1
	v_cndmask_b32_e32 v18, v18, v86, vcc
; %bb.148:                              ;   in Loop: Header=BB123_6 Depth=1
	s_or_b64 exec, exec, s[68:69]
	v_and_b32_e32 v86, 0x7f800000, v87
	v_cmp_ne_u32_e32 vcc, s90, v86
                                        ; implicit-def: $vgpr86
	s_and_saveexec_b64 s[68:69], vcc
	s_xor_b64 s[68:69], exec, s[68:69]
; %bb.149:                              ;   in Loop: Header=BB123_6 Depth=1
	v_bfe_u32 v86, v87, 16, 1
	v_add3_u32 v86, v87, v86, s91
                                        ; implicit-def: $vgpr87
; %bb.150:                              ;   in Loop: Header=BB123_6 Depth=1
	s_andn2_saveexec_b64 s[68:69], s[68:69]
; %bb.151:                              ;   in Loop: Header=BB123_6 Depth=1
	v_or_b32_e32 v86, 0x10000, v87
	v_cmp_eq_u32_sdwa vcc, v87, v19 src0_sel:WORD_0 src1_sel:DWORD
	s_nop 1
	v_cndmask_b32_e32 v86, v86, v87, vcc
; %bb.152:                              ;   in Loop: Header=BB123_6 Depth=1
	s_or_b64 exec, exec, s[68:69]
	v_perm_b32 v18, v86, v18, s92
	ds_write_b32 v117, v18 offset:3168
	v_and_b32_e32 v18, 0x7f800000, v88
	v_cmp_ne_u32_e32 vcc, s90, v18
                                        ; implicit-def: $vgpr18
	s_and_saveexec_b64 s[68:69], vcc
	s_xor_b64 s[68:69], exec, s[68:69]
; %bb.153:                              ;   in Loop: Header=BB123_6 Depth=1
	v_bfe_u32 v18, v88, 16, 1
	v_add3_u32 v18, v88, v18, s91
; %bb.154:                              ;   in Loop: Header=BB123_6 Depth=1
	s_andn2_saveexec_b64 s[68:69], s[68:69]
; %bb.155:                              ;   in Loop: Header=BB123_6 Depth=1
	v_or_b32_e32 v18, 0x10000, v88
	v_cmp_eq_u32_sdwa vcc, v88, v19 src0_sel:WORD_0 src1_sel:DWORD
	s_nop 1
	v_cndmask_b32_e32 v18, v18, v88, vcc
; %bb.156:                              ;   in Loop: Header=BB123_6 Depth=1
	s_or_b64 exec, exec, s[68:69]
	v_and_b32_e32 v86, 0x7f800000, v89
	v_cmp_ne_u32_e32 vcc, s90, v86
                                        ; implicit-def: $vgpr86
	s_and_saveexec_b64 s[68:69], vcc
	s_xor_b64 s[68:69], exec, s[68:69]
; %bb.157:                              ;   in Loop: Header=BB123_6 Depth=1
	v_bfe_u32 v86, v89, 16, 1
	v_add3_u32 v86, v89, v86, s91
                                        ; implicit-def: $vgpr89
; %bb.158:                              ;   in Loop: Header=BB123_6 Depth=1
	s_andn2_saveexec_b64 s[68:69], s[68:69]
	s_cbranch_execz .LBB123_5
; %bb.159:                              ;   in Loop: Header=BB123_6 Depth=1
	v_or_b32_e32 v86, 0x10000, v89
	v_cmp_eq_u32_sdwa vcc, v89, v19 src0_sel:WORD_0 src1_sel:DWORD
	s_nop 1
	v_cndmask_b32_e32 v86, v86, v89, vcc
	s_branch .LBB123_5
.LBB123_160:
	s_or_b64 exec, exec, s[4:5]
	v_readlane_b32 s24, v119, 6
	v_readlane_b32 s26, v119, 9
	;; [unrolled: 1-line block ×5, first 2 shown]
.LBB123_161:
	v_readlane_b32 s0, v119, 4
	v_readlane_b32 s1, v119, 5
	s_or_b64 exec, exec, s[0:1]
	s_lshl_b64 s[0:1], s[26:27], 2
	v_readlane_b32 s4, v119, 0
	v_lshlrev_b32_e32 v0, 2, v114
	v_or_b32_e32 v2, 12, v17
	v_readlane_b32 s5, v119, 1
	s_add_u32 s4, s4, s0
	v_add3_u32 v0, 0, v115, v0
	v_and_b32_e32 v1, 0x3f0, v17
	v_and_b32_e32 v2, 0x3fc, v2
	s_addc_u32 s5, s5, s1
	v_add_u32_e32 v1, v0, v1
	v_add_u32_e32 v0, v0, v2
	ds_write2_b32 v1, a0, a1 offset1:1
	ds_write_b32 v1, a2 offset:8
	ds_write_b32 v0, a3
	ds_write2_b32 v1, a4, a5 offset0:16 offset1:17
	ds_write_b32 v1, a6 offset:72
	ds_write_b32 v0, a7 offset:64
	ds_write2_b32 v1, a8, a9 offset0:32 offset1:33
	ds_write_b32 v1, a10 offset:136
	ds_write_b32 v0, a11 offset:128
	;; [unrolled: 3-line block ×3, first 2 shown]
	s_cmp_gt_i32 s14, 0
	v_add_u32_e32 v0, s2, v16
	s_cselect_b64 s[6:7], -1, 0
	v_cmp_gt_i32_e64 s[0:1], s33, v0
	v_cmp_gt_u32_e32 vcc, 14, v16
	s_and_b64 s[0:1], s[6:7], s[0:1]
	v_lshl_add_u32 v3, v17, 2, 0
	v_add_u32_e32 v2, s11, v17
	v_mul_u32_u24_e32 v4, 0x108, v16
	s_and_b64 s[8:9], vcc, s[0:1]
	s_and_saveexec_b64 s[0:1], s[8:9]
	v_readlane_b32 s14, v119, 2
	v_readlane_b32 s15, v119, 3
	s_cbranch_execz .LBB123_164
; %bb.162:
	v_ashrrev_i32_e32 v1, 31, v0
	v_lshl_add_u64 v[6:7], v[0:1], 2, s[4:5]
	global_load_dword v1, v[6:7], off
	s_waitcnt vmcnt(0)
	v_mul_hi_u32 v5, v1, s19
	v_add_u32_e32 v5, v1, v5
	v_lshrrev_b32_e32 v5, s24, v5
	v_cmp_gt_i32_e32 vcc, s13, v5
	s_and_b64 exec, exec, vcc
	s_cbranch_execz .LBB123_164
; %bb.163:
	v_add_u32_e32 v6, v3, v4
	ds_read_b32 v6, v6
	v_mul_lo_u32 v7, v5, s25
	v_sub_u32_e32 v1, v1, v7
	v_mul_lo_u32 v5, v5, s21
	v_mul_lo_u32 v1, v1, s10
	s_waitcnt lgkmcnt(0)
	v_add_f32_e32 v8, 0, v6
	v_add3_u32 v6, v2, v5, v1
	v_mov_b32_e32 v7, 0
	v_lshl_add_u64 v[6:7], v[6:7], 2, s[14:15]
	global_store_dword v[6:7], v8, off
.LBB123_164:
	s_or_b64 exec, exec, s[0:1]
	v_add_u32_e32 v1, 1, v0
	v_cmp_gt_i32_e64 s[0:1], s33, v1
	v_cmp_gt_u32_e32 vcc, 13, v16
	s_and_b64 s[0:1], s[6:7], s[0:1]
	s_and_b64 s[8:9], vcc, s[0:1]
	s_and_saveexec_b64 s[0:1], s[8:9]
	s_cbranch_execz .LBB123_167
; %bb.165:
	s_ashr_i32 s3, s2, 31
	v_mov_b32_e32 v17, 0
	v_lshl_add_u64 v[6:7], v[16:17], 0, s[2:3]
	v_lshl_add_u64 v[6:7], v[6:7], 2, s[4:5]
	global_load_dword v1, v[6:7], off offset:4
	s_waitcnt vmcnt(0)
	v_mul_hi_u32 v5, v1, s19
	v_add_u32_e32 v5, v1, v5
	v_lshrrev_b32_e32 v5, s24, v5
	v_cmp_gt_i32_e32 vcc, s13, v5
	s_and_b64 exec, exec, vcc
	s_cbranch_execz .LBB123_167
; %bb.166:
	v_add_u32_e32 v6, v4, v3
	ds_read_b32 v6, v6 offset:264
	v_mul_lo_u32 v7, v5, s25
	v_sub_u32_e32 v1, v1, v7
	v_mul_lo_u32 v5, v5, s21
	v_mul_lo_u32 v1, v1, s10
	s_waitcnt lgkmcnt(0)
	v_add_f32_e32 v8, 0, v6
	v_add3_u32 v6, v2, v5, v1
	v_mov_b32_e32 v7, v17
	v_lshl_add_u64 v[6:7], v[6:7], 2, s[14:15]
	global_store_dword v[6:7], v8, off
.LBB123_167:
	s_or_b64 exec, exec, s[0:1]
	v_add_u32_e32 v1, 2, v0
	v_cmp_gt_i32_e64 s[0:1], s33, v1
	v_cmp_gt_u32_e32 vcc, 12, v16
	s_and_b64 s[0:1], s[6:7], s[0:1]
	s_and_b64 s[8:9], vcc, s[0:1]
	s_and_saveexec_b64 s[0:1], s[8:9]
	s_cbranch_execz .LBB123_170
; %bb.168:
	s_ashr_i32 s3, s2, 31
	v_mov_b32_e32 v17, 0
	v_lshl_add_u64 v[6:7], v[16:17], 0, s[2:3]
	v_lshl_add_u64 v[6:7], v[6:7], 2, s[4:5]
	global_load_dword v1, v[6:7], off offset:8
	s_waitcnt vmcnt(0)
	v_mul_hi_u32 v5, v1, s19
	v_add_u32_e32 v5, v1, v5
	v_lshrrev_b32_e32 v5, s24, v5
	v_cmp_gt_i32_e32 vcc, s13, v5
	s_and_b64 exec, exec, vcc
	s_cbranch_execz .LBB123_170
; %bb.169:
	v_add_u32_e32 v6, v3, v4
	ds_read_b32 v6, v6 offset:528
	v_mul_lo_u32 v7, v5, s25
	v_sub_u32_e32 v1, v1, v7
	v_mul_lo_u32 v5, v5, s21
	v_mul_lo_u32 v1, v1, s10
	s_waitcnt lgkmcnt(0)
	v_add_f32_e32 v8, 0, v6
	v_add3_u32 v6, v2, v5, v1
	v_mov_b32_e32 v7, v17
	v_lshl_add_u64 v[6:7], v[6:7], 2, s[14:15]
	global_store_dword v[6:7], v8, off
.LBB123_170:
	;; [unrolled: 35-line block ×12, first 2 shown]
	s_or_b64 exec, exec, s[0:1]
	v_add_u32_e32 v0, 13, v0
	v_cmp_gt_i32_e64 s[0:1], s33, v0
	v_cmp_eq_u32_e32 vcc, 0, v16
	s_and_b64 s[0:1], s[6:7], s[0:1]
	s_and_b64 s[0:1], vcc, s[0:1]
	s_and_saveexec_b64 s[6:7], s[0:1]
	s_cbranch_execz .LBB123_203
; %bb.201:
	s_ashr_i32 s3, s2, 31
	s_lshl_b64 s[0:1], s[2:3], 2
	s_add_u32 s0, s4, s0
	s_addc_u32 s1, s5, s1
	s_load_dword s0, s[0:1], 0x34
	s_waitcnt lgkmcnt(0)
	s_mul_hi_u32 s1, s0, s19
	s_add_i32 s1, s0, s1
	s_lshr_b32 s1, s1, s24
	s_cmp_ge_i32 s1, s13
	s_cbranch_scc1 .LBB123_203
; %bb.202:
	v_add_u32_e32 v0, v3, v4
	ds_read_b32 v0, v0 offset:3432
	s_mul_i32 s2, s1, s25
	s_sub_i32 s0, s0, s2
	s_mul_i32 s1, s1, s21
	s_mul_i32 s0, s0, s10
	s_add_i32 s0, s0, s1
	s_waitcnt lgkmcnt(0)
	v_add_f32_e32 v3, 0, v0
	v_add_u32_e32 v0, s0, v2
	v_mov_b32_e32 v1, 0
	v_lshl_add_u64 v[0:1], v[0:1], 2, s[14:15]
	global_store_dword v[0:1], v3, off
.LBB123_203:
	s_endpgm
	.section	.rodata,"a",@progbits
	.p2align	6, 0x0
	.amdhsa_kernel _ZL13mul_mat_f_idsI15__hip_bfloat162Li64ELi14ELi1EEvPKT_PKfPKiS7_S7_Pfiiiiiiiiiiiiii15HIP_vector_typeIjLj3EESA_
		.amdhsa_group_segment_fixed_size 0
		.amdhsa_private_segment_fixed_size 0
		.amdhsa_kernarg_size 128
		.amdhsa_user_sgpr_count 2
		.amdhsa_user_sgpr_dispatch_ptr 0
		.amdhsa_user_sgpr_queue_ptr 0
		.amdhsa_user_sgpr_kernarg_segment_ptr 1
		.amdhsa_user_sgpr_dispatch_id 0
		.amdhsa_user_sgpr_kernarg_preload_length 0
		.amdhsa_user_sgpr_kernarg_preload_offset 0
		.amdhsa_user_sgpr_private_segment_size 0
		.amdhsa_uses_dynamic_stack 0
		.amdhsa_enable_private_segment 0
		.amdhsa_system_sgpr_workgroup_id_x 1
		.amdhsa_system_sgpr_workgroup_id_y 1
		.amdhsa_system_sgpr_workgroup_id_z 1
		.amdhsa_system_sgpr_workgroup_info 0
		.amdhsa_system_vgpr_workitem_id 1
		.amdhsa_next_free_vgpr 136
		.amdhsa_next_free_sgpr 100
		.amdhsa_accum_offset 120
		.amdhsa_reserve_vcc 1
		.amdhsa_float_round_mode_32 0
		.amdhsa_float_round_mode_16_64 0
		.amdhsa_float_denorm_mode_32 3
		.amdhsa_float_denorm_mode_16_64 3
		.amdhsa_dx10_clamp 1
		.amdhsa_ieee_mode 1
		.amdhsa_fp16_overflow 0
		.amdhsa_tg_split 0
		.amdhsa_exception_fp_ieee_invalid_op 0
		.amdhsa_exception_fp_denorm_src 0
		.amdhsa_exception_fp_ieee_div_zero 0
		.amdhsa_exception_fp_ieee_overflow 0
		.amdhsa_exception_fp_ieee_underflow 0
		.amdhsa_exception_fp_ieee_inexact 0
		.amdhsa_exception_int_div_zero 0
	.end_amdhsa_kernel
	.section	.text._ZL13mul_mat_f_idsI15__hip_bfloat162Li64ELi14ELi1EEvPKT_PKfPKiS7_S7_Pfiiiiiiiiiiiiii15HIP_vector_typeIjLj3EESA_,"axG",@progbits,_ZL13mul_mat_f_idsI15__hip_bfloat162Li64ELi14ELi1EEvPKT_PKfPKiS7_S7_Pfiiiiiiiiiiiiii15HIP_vector_typeIjLj3EESA_,comdat
.Lfunc_end123:
	.size	_ZL13mul_mat_f_idsI15__hip_bfloat162Li64ELi14ELi1EEvPKT_PKfPKiS7_S7_Pfiiiiiiiiiiiiii15HIP_vector_typeIjLj3EESA_, .Lfunc_end123-_ZL13mul_mat_f_idsI15__hip_bfloat162Li64ELi14ELi1EEvPKT_PKfPKiS7_S7_Pfiiiiiiiiiiiiii15HIP_vector_typeIjLj3EESA_
                                        ; -- End function
	.section	.AMDGPU.csdata,"",@progbits
; Kernel info:
; codeLenInByte = 10996
; NumSgprs: 106
; NumVgprs: 120
; NumAgprs: 16
; TotalNumVgprs: 136
; ScratchSize: 0
; MemoryBound: 0
; FloatMode: 240
; IeeeMode: 1
; LDSByteSize: 0 bytes/workgroup (compile time only)
; SGPRBlocks: 13
; VGPRBlocks: 16
; NumSGPRsForWavesPerEU: 106
; NumVGPRsForWavesPerEU: 136
; AccumOffset: 120
; Occupancy: 3
; WaveLimiterHint : 1
; COMPUTE_PGM_RSRC2:SCRATCH_EN: 0
; COMPUTE_PGM_RSRC2:USER_SGPR: 2
; COMPUTE_PGM_RSRC2:TRAP_HANDLER: 0
; COMPUTE_PGM_RSRC2:TGID_X_EN: 1
; COMPUTE_PGM_RSRC2:TGID_Y_EN: 1
; COMPUTE_PGM_RSRC2:TGID_Z_EN: 1
; COMPUTE_PGM_RSRC2:TIDIG_COMP_CNT: 1
; COMPUTE_PGM_RSRC3_GFX90A:ACCUM_OFFSET: 29
; COMPUTE_PGM_RSRC3_GFX90A:TG_SPLIT: 0
	.section	.text._ZL9mul_mat_fI15__hip_bfloat162Li64ELi14ELi1ELb1EEvPKT_PKfPKiPfiiiiiiiiiiiiiiii,"axG",@progbits,_ZL9mul_mat_fI15__hip_bfloat162Li64ELi14ELi1ELb1EEvPKT_PKfPKiPfiiiiiiiiiiiiiiii,comdat
	.globl	_ZL9mul_mat_fI15__hip_bfloat162Li64ELi14ELi1ELb1EEvPKT_PKfPKiPfiiiiiiiiiiiiiiii ; -- Begin function _ZL9mul_mat_fI15__hip_bfloat162Li64ELi14ELi1ELb1EEvPKT_PKfPKiPfiiiiiiiiiiiiiiii
	.p2align	8
	.type	_ZL9mul_mat_fI15__hip_bfloat162Li64ELi14ELi1ELb1EEvPKT_PKfPKiPfiiiiiiiiiiiiiiii,@function
_ZL9mul_mat_fI15__hip_bfloat162Li64ELi14ELi1ELb1EEvPKT_PKfPKiPfiiiiiiiiiiiiiiii: ; @_ZL9mul_mat_fI15__hip_bfloat162Li64ELi14ELi1ELb1EEvPKT_PKfPKiPfiiiiiiiiiiiiiiii
; %bb.0:
	s_load_dwordx8 s[64:71], s[0:1], 0x20
	s_mov_b32 s33, s4
	s_load_dwordx2 s[8:9], s[0:1], 0x10
	v_and_b32_e32 v16, 0x3ff, v0
	v_bfe_u32 v17, v0, 10, 10
	s_waitcnt lgkmcnt(0)
	s_add_i32 s4, s65, 13
	s_mul_hi_i32 s5, s4, 0x92492493
	s_add_i32 s5, s5, s4
	s_lshr_b32 s4, s5, 31
	s_ashr_i32 s5, s5, 3
	s_add_i32 s5, s5, s4
	v_cvt_f32_u32_e32 v1, s5
	s_load_dword s4, s[0:1], 0x64
	s_add_u32 s34, s0, 0x60
	s_addc_u32 s35, s1, 0
	v_rcp_iflag_f32_e32 v1, v1
	s_sub_i32 s6, 0, s5
	v_mul_f32_e32 v1, 0x4f7ffffe, v1
	v_cvt_u32_f32_e32 v1, v1
	v_mul_lo_u32 v2, s6, v1
	v_mul_hi_u32 v2, v1, v2
	v_add_u32_e32 v1, v1, v2
	s_waitcnt lgkmcnt(0)
	v_mul_hi_u32 v1, s4, v1
	v_mul_lo_u32 v2, v1, s5
	v_sub_u32_e32 v2, s4, v2
	v_add_u32_e32 v3, 1, v1
	v_subrev_u32_e32 v4, s5, v2
	v_cmp_le_u32_e32 vcc, s5, v2
	s_nop 1
	v_cndmask_b32_e32 v1, v1, v3, vcc
	v_cndmask_b32_e32 v2, v2, v4, vcc
	v_add_u32_e32 v3, 1, v1
	v_cmp_le_u32_e32 vcc, s5, v2
	s_nop 1
	v_cndmask_b32_e32 v1, v1, v3, vcc
	v_cvt_f32_u32_e32 v2, v1
	v_sub_u32_e32 v3, 0, v1
	v_cmp_eq_u32_e32 vcc, 0, v16
	v_rcp_iflag_f32_e32 v2, v2
	s_nop 0
	v_mul_f32_e32 v2, 0x4f7ffffe, v2
	v_cvt_u32_f32_e32 v2, v2
	v_mul_lo_u32 v3, v3, v2
	v_mul_hi_u32 v3, v2, v3
	v_add_u32_e32 v2, v2, v3
	v_mul_hi_u32 v2, s3, v2
	s_and_saveexec_b64 s[6:7], vcc
	s_cbranch_execz .LBB124_2
; %bb.1:
	v_mov_b32_e32 v3, 0x100
	v_lshl_add_u32 v3, v17, 2, v3
	v_mov_b32_e32 v4, -1
	ds_write_b32 v3, v4
.LBB124_2:
	s_or_b64 exec, exec, s[6:7]
	v_mul_lo_u32 v3, v2, v1
	v_sub_u32_e32 v3, s3, v3
	v_add_u32_e32 v4, 1, v2
	v_sub_u32_e32 v5, v3, v1
	v_cmp_ge_u32_e64 s[6:7], v3, v1
	v_cmp_gt_i32_e64 s[28:29], s66, v16
	s_nop 0
	v_cndmask_b32_e64 v2, v2, v4, s[6:7]
	v_cndmask_b32_e64 v3, v3, v5, s[6:7]
	v_add_u32_e32 v4, 1, v2
	v_cmp_ge_u32_e64 s[6:7], v3, v1
	s_nop 1
	v_cndmask_b32_e64 v2, v2, v4, s[6:7]
	v_mul_lo_u32 v92, v2, 14
	v_mul_lo_u32 v1, v2, v1
	v_mul_hi_i32 v3, v92, s71
	v_mul_lo_u32 v2, v92, s71
	v_sub_u32_e32 v8, s3, v1
	v_lshlrev_b64 v[2:3], 2, v[2:3]
	v_add_u32_e32 v1, v17, v92
	v_lshl_add_u64 v[2:3], s[8:9], 0, v[2:3]
	v_cmp_gt_i32_e64 s[44:45], s65, v1
	v_mov_b32_e32 v1, 0
	s_and_saveexec_b64 s[10:11], s[44:45]
	s_cbranch_execz .LBB124_10
; %bb.3:
	v_mov_b32_e32 v1, 0
	s_and_saveexec_b64 s[12:13], s[28:29]
	s_cbranch_execz .LBB124_9
; %bb.4:
	v_mul_lo_u32 v4, v17, s71
	v_ashrrev_i32_e32 v5, 31, v4
	v_mov_b32_e32 v1, 0x100
	v_lshl_add_u64 v[4:5], v[4:5], 2, v[2:3]
	v_lshl_add_u32 v9, v17, 2, v1
	v_mul_lo_u32 v6, v16, s70
	s_lshl_b32 s3, s70, 6
	s_mov_b64 s[14:15], 0
	v_mov_b32_e32 v1, 0
	v_mov_b32_e32 v10, v16
	s_branch .LBB124_6
.LBB124_5:                              ;   in Loop: Header=BB124_6 Depth=1
	s_or_b64 exec, exec, s[16:17]
	v_add_u32_e32 v10, 64, v10
	v_cmp_le_i32_e64 s[8:9], s66, v10
	s_xor_b64 s[4:5], s[6:7], -1
	s_or_b64 s[4:5], s[4:5], s[8:9]
	s_and_b64 s[4:5], exec, s[4:5]
	s_or_b64 s[14:15], s[4:5], s[14:15]
	v_add_u32_e32 v6, s3, v6
	s_andn2_b64 exec, exec, s[14:15]
	s_cbranch_execz .LBB124_8
.LBB124_6:                              ; =>This Inner Loop Header: Depth=1
	v_ashrrev_i32_e32 v7, 31, v6
	v_lshl_add_u64 v[12:13], v[6:7], 2, v[4:5]
	global_load_dword v7, v[12:13], off
	s_waitcnt vmcnt(0)
	v_cmp_ne_u32_e64 s[6:7], v7, v8
	v_cmp_eq_u32_e64 s[8:9], v7, v8
	s_and_saveexec_b64 s[16:17], s[8:9]
	s_cbranch_execz .LBB124_5
; %bb.7:                                ;   in Loop: Header=BB124_6 Depth=1
	v_mov_b32_e32 v1, 1
	ds_write_b32 v9, v10
	s_branch .LBB124_5
.LBB124_8:
	s_or_b64 exec, exec, s[14:15]
.LBB124_9:
	s_or_b64 exec, exec, s[12:13]
.LBB124_10:
	s_or_b64 exec, exec, s[10:11]
	s_and_saveexec_b64 s[6:7], vcc
	s_cbranch_execz .LBB124_12
; %bb.11:
	v_mov_b32_e32 v4, 0x100
	v_lshl_add_u32 v4, v17, 2, v4
	v_mov_b32_e32 v5, -1
	ds_write_b32 v4, v5 offset:4
.LBB124_12:
	s_or_b64 exec, exec, s[6:7]
	v_add_u32_e32 v93, 1, v17
	v_add_u32_e32 v4, v93, v92
	v_cmp_gt_i32_e64 s[4:5], s65, v4
	s_mov_b64 s[10:11], exec
                                        ; implicit-def: $vgpr113 : SGPR spill to VGPR lane
	s_nop 0
	v_writelane_b32 v113, s4, 0
	s_nop 1
	v_writelane_b32 v113, s5, 1
	s_and_b64 s[4:5], s[10:11], s[4:5]
	s_mov_b64 exec, s[4:5]
	s_cbranch_execz .LBB124_20
; %bb.13:
	s_and_saveexec_b64 s[12:13], s[28:29]
	s_cbranch_execz .LBB124_19
; %bb.14:
	v_mul_lo_u32 v4, v93, s71
	v_ashrrev_i32_e32 v5, 31, v4
	v_mov_b32_e32 v6, 0x100
	v_lshl_add_u64 v[4:5], v[4:5], 2, v[2:3]
	v_lshl_add_u32 v9, v17, 2, v6
	v_mul_lo_u32 v6, v16, s70
	s_lshl_b32 s3, s70, 6
	s_mov_b64 s[14:15], 0
	v_mov_b32_e32 v10, v16
	s_branch .LBB124_16
.LBB124_15:                             ;   in Loop: Header=BB124_16 Depth=1
	s_or_b64 exec, exec, s[16:17]
	v_add_u32_e32 v10, 64, v10
	v_cmp_le_i32_e64 s[8:9], s66, v10
	s_xor_b64 s[4:5], s[6:7], -1
	s_or_b64 s[4:5], s[4:5], s[8:9]
	s_and_b64 s[4:5], exec, s[4:5]
	s_or_b64 s[14:15], s[4:5], s[14:15]
	v_add_u32_e32 v6, s3, v6
	s_andn2_b64 exec, exec, s[14:15]
	s_cbranch_execz .LBB124_18
.LBB124_16:                             ; =>This Inner Loop Header: Depth=1
	v_ashrrev_i32_e32 v7, 31, v6
	v_lshl_add_u64 v[12:13], v[6:7], 2, v[4:5]
	global_load_dword v7, v[12:13], off
	s_waitcnt vmcnt(0)
	v_cmp_ne_u32_e64 s[6:7], v7, v8
	v_cmp_eq_u32_e64 s[8:9], v7, v8
	s_and_saveexec_b64 s[16:17], s[8:9]
	s_cbranch_execz .LBB124_15
; %bb.17:                               ;   in Loop: Header=BB124_16 Depth=1
	v_mov_b32_e32 v1, 1
	ds_write_b32 v9, v10 offset:4
	s_branch .LBB124_15
.LBB124_18:
	s_or_b64 exec, exec, s[14:15]
.LBB124_19:
	s_or_b64 exec, exec, s[12:13]
.LBB124_20:
	s_or_b64 exec, exec, s[10:11]
	s_and_saveexec_b64 s[6:7], vcc
	s_cbranch_execz .LBB124_22
; %bb.21:
	v_mov_b32_e32 v4, 0x100
	v_lshl_add_u32 v4, v17, 2, v4
	v_mov_b32_e32 v5, -1
	ds_write_b32 v4, v5 offset:8
.LBB124_22:
	s_or_b64 exec, exec, s[6:7]
	v_add_u32_e32 v94, 2, v17
	v_add_u32_e32 v4, v94, v92
	v_cmp_gt_i32_e64 s[4:5], s65, v4
	s_mov_b64 s[10:11], exec
	s_nop 0
	v_writelane_b32 v113, s4, 2
	s_nop 1
	v_writelane_b32 v113, s5, 3
	s_and_b64 s[4:5], s[10:11], s[4:5]
	s_mov_b64 exec, s[4:5]
	s_cbranch_execz .LBB124_30
; %bb.23:
	s_and_saveexec_b64 s[12:13], s[28:29]
	s_cbranch_execz .LBB124_29
; %bb.24:
	v_mul_lo_u32 v4, v94, s71
	v_ashrrev_i32_e32 v5, 31, v4
	v_mov_b32_e32 v6, 0x100
	v_lshl_add_u64 v[4:5], v[4:5], 2, v[2:3]
	v_lshl_add_u32 v9, v17, 2, v6
	v_mul_lo_u32 v6, v16, s70
	s_lshl_b32 s3, s70, 6
	s_mov_b64 s[14:15], 0
	v_mov_b32_e32 v10, v16
	s_branch .LBB124_26
.LBB124_25:                             ;   in Loop: Header=BB124_26 Depth=1
	s_or_b64 exec, exec, s[16:17]
	v_add_u32_e32 v10, 64, v10
	v_cmp_le_i32_e64 s[8:9], s66, v10
	s_xor_b64 s[4:5], s[6:7], -1
	s_or_b64 s[4:5], s[4:5], s[8:9]
	s_and_b64 s[4:5], exec, s[4:5]
	s_or_b64 s[14:15], s[4:5], s[14:15]
	v_add_u32_e32 v6, s3, v6
	s_andn2_b64 exec, exec, s[14:15]
	s_cbranch_execz .LBB124_28
.LBB124_26:                             ; =>This Inner Loop Header: Depth=1
	v_ashrrev_i32_e32 v7, 31, v6
	v_lshl_add_u64 v[12:13], v[6:7], 2, v[4:5]
	global_load_dword v7, v[12:13], off
	s_waitcnt vmcnt(0)
	v_cmp_ne_u32_e64 s[6:7], v7, v8
	v_cmp_eq_u32_e64 s[8:9], v7, v8
	s_and_saveexec_b64 s[16:17], s[8:9]
	s_cbranch_execz .LBB124_25
; %bb.27:                               ;   in Loop: Header=BB124_26 Depth=1
	v_mov_b32_e32 v1, 1
	ds_write_b32 v9, v10 offset:8
	s_branch .LBB124_25
.LBB124_28:
	s_or_b64 exec, exec, s[14:15]
.LBB124_29:
	s_or_b64 exec, exec, s[12:13]
.LBB124_30:
	s_or_b64 exec, exec, s[10:11]
	s_and_saveexec_b64 s[6:7], vcc
	s_cbranch_execz .LBB124_32
; %bb.31:
	v_mov_b32_e32 v4, 0x100
	v_lshl_add_u32 v4, v17, 2, v4
	v_mov_b32_e32 v5, -1
	ds_write_b32 v4, v5 offset:12
.LBB124_32:
	s_or_b64 exec, exec, s[6:7]
	v_add_u32_e32 v95, 3, v17
	v_add_u32_e32 v4, v95, v92
	v_cmp_gt_i32_e64 s[4:5], s65, v4
	s_mov_b64 s[12:13], exec
	;; [unrolled: 64-line block ×7, first 2 shown]
	s_nop 0
	v_writelane_b32 v113, s4, 14
	s_nop 1
	v_writelane_b32 v113, s5, 15
	s_and_b64 s[4:5], s[22:23], s[4:5]
	s_mov_b64 exec, s[4:5]
	s_cbranch_execz .LBB124_90
; %bb.83:
	s_and_saveexec_b64 s[24:25], s[28:29]
	s_cbranch_execz .LBB124_89
; %bb.84:
	v_mul_lo_u32 v4, v100, s71
	v_ashrrev_i32_e32 v5, 31, v4
	v_mov_b32_e32 v6, 0x100
	v_lshl_add_u64 v[4:5], v[4:5], 2, v[2:3]
	v_lshl_add_u32 v9, v17, 2, v6
	v_mul_lo_u32 v6, v16, s70
	s_lshl_b32 s3, s70, 6
	s_mov_b64 s[26:27], 0
	v_mov_b32_e32 v10, v16
	s_branch .LBB124_86
.LBB124_85:                             ;   in Loop: Header=BB124_86 Depth=1
	s_or_b64 exec, exec, s[30:31]
	v_add_u32_e32 v10, 64, v10
	v_cmp_le_i32_e64 s[20:21], s66, v10
	s_xor_b64 s[4:5], s[18:19], -1
	s_or_b64 s[4:5], s[4:5], s[20:21]
	s_and_b64 s[4:5], exec, s[4:5]
	s_or_b64 s[26:27], s[4:5], s[26:27]
	v_add_u32_e32 v6, s3, v6
	s_andn2_b64 exec, exec, s[26:27]
	s_cbranch_execz .LBB124_88
.LBB124_86:                             ; =>This Inner Loop Header: Depth=1
	v_ashrrev_i32_e32 v7, 31, v6
	v_lshl_add_u64 v[12:13], v[6:7], 2, v[4:5]
	global_load_dword v7, v[12:13], off
	s_waitcnt vmcnt(0)
	v_cmp_ne_u32_e64 s[18:19], v7, v8
	v_cmp_eq_u32_e64 s[20:21], v7, v8
	s_and_saveexec_b64 s[30:31], s[20:21]
	s_cbranch_execz .LBB124_85
; %bb.87:                               ;   in Loop: Header=BB124_86 Depth=1
	v_mov_b32_e32 v1, 1
	ds_write_b32 v9, v10 offset:32
	s_branch .LBB124_85
.LBB124_88:
	s_or_b64 exec, exec, s[26:27]
.LBB124_89:
	s_or_b64 exec, exec, s[24:25]
.LBB124_90:
	s_or_b64 exec, exec, s[22:23]
	s_load_dwordx4 s[72:75], s[0:1], 0x44
	s_and_saveexec_b64 s[18:19], vcc
	s_cbranch_execz .LBB124_92
; %bb.91:
	v_mov_b32_e32 v4, 0x100
	v_lshl_add_u32 v4, v17, 2, v4
	v_mov_b32_e32 v5, -1
	ds_write_b32 v4, v5 offset:36
.LBB124_92:
	s_or_b64 exec, exec, s[18:19]
	v_add_u32_e32 v101, 9, v17
	v_add_u32_e32 v4, v101, v92
	v_cmp_gt_i32_e64 s[4:5], s65, v4
	s_mov_b64 s[24:25], exec
	s_nop 0
	v_writelane_b32 v113, s4, 16
	s_nop 1
	v_writelane_b32 v113, s5, 17
	s_and_b64 s[4:5], s[24:25], s[4:5]
	s_mov_b64 exec, s[4:5]
	s_cbranch_execz .LBB124_100
; %bb.93:
	s_and_saveexec_b64 s[26:27], s[28:29]
	s_cbranch_execz .LBB124_99
; %bb.94:
	v_mul_lo_u32 v4, v101, s71
	v_ashrrev_i32_e32 v5, 31, v4
	v_mov_b32_e32 v6, 0x100
	v_lshl_add_u64 v[4:5], v[4:5], 2, v[2:3]
	v_lshl_add_u32 v9, v17, 2, v6
	v_mul_lo_u32 v6, v16, s70
	s_lshl_b32 s3, s70, 6
	s_mov_b64 s[30:31], 0
	v_mov_b32_e32 v10, v16
	s_branch .LBB124_96
.LBB124_95:                             ;   in Loop: Header=BB124_96 Depth=1
	s_or_b64 exec, exec, s[36:37]
	v_add_u32_e32 v10, 64, v10
	v_cmp_le_i32_e64 s[22:23], s66, v10
	s_xor_b64 s[4:5], s[20:21], -1
	s_or_b64 s[4:5], s[4:5], s[22:23]
	s_and_b64 s[4:5], exec, s[4:5]
	s_or_b64 s[30:31], s[4:5], s[30:31]
	v_add_u32_e32 v6, s3, v6
	s_andn2_b64 exec, exec, s[30:31]
	s_cbranch_execz .LBB124_98
.LBB124_96:                             ; =>This Inner Loop Header: Depth=1
	v_ashrrev_i32_e32 v7, 31, v6
	v_lshl_add_u64 v[12:13], v[6:7], 2, v[4:5]
	global_load_dword v7, v[12:13], off
	s_waitcnt vmcnt(0)
	v_cmp_ne_u32_e64 s[20:21], v7, v8
	v_cmp_eq_u32_e64 s[22:23], v7, v8
	s_and_saveexec_b64 s[36:37], s[22:23]
	s_cbranch_execz .LBB124_95
; %bb.97:                               ;   in Loop: Header=BB124_96 Depth=1
	v_mov_b32_e32 v1, 1
	ds_write_b32 v9, v10 offset:36
	s_branch .LBB124_95
.LBB124_98:
	s_or_b64 exec, exec, s[30:31]
.LBB124_99:
	s_or_b64 exec, exec, s[26:27]
.LBB124_100:
	s_or_b64 exec, exec, s[24:25]
	s_waitcnt lgkmcnt(0)
	s_abs_i32 s3, s75
	s_and_saveexec_b64 s[20:21], vcc
	s_cbranch_execz .LBB124_102
; %bb.101:
	v_mov_b32_e32 v4, 0x100
	v_lshl_add_u32 v4, v17, 2, v4
	v_mov_b32_e32 v5, -1
	ds_write_b32 v4, v5 offset:40
.LBB124_102:
	s_or_b64 exec, exec, s[20:21]
	v_cvt_f32_u32_e32 v9, s3
	v_add_u32_e32 v102, 10, v17
	v_add_u32_e32 v4, v102, v92
	v_cmp_gt_i32_e64 s[4:5], s65, v4
	s_mov_b64 s[26:27], exec
	s_nop 0
	v_writelane_b32 v113, s4, 18
	s_nop 1
	v_writelane_b32 v113, s5, 19
	s_and_b64 s[4:5], s[26:27], s[4:5]
	s_mov_b64 exec, s[4:5]
	s_cbranch_execz .LBB124_110
; %bb.103:
	s_and_saveexec_b64 s[30:31], s[28:29]
	s_cbranch_execz .LBB124_109
; %bb.104:
	v_mul_lo_u32 v4, v102, s71
	v_ashrrev_i32_e32 v5, 31, v4
	v_mov_b32_e32 v6, 0x100
	v_lshl_add_u64 v[4:5], v[4:5], 2, v[2:3]
	v_lshl_add_u32 v10, v17, 2, v6
	v_mul_lo_u32 v6, v16, s70
	s_lshl_b32 s4, s70, 6
	s_mov_b64 s[36:37], 0
	v_mov_b32_e32 v11, v16
	s_branch .LBB124_106
.LBB124_105:                            ;   in Loop: Header=BB124_106 Depth=1
	s_or_b64 exec, exec, s[38:39]
	v_add_u32_e32 v11, 64, v11
	v_cmp_le_i32_e64 s[24:25], s66, v11
	s_xor_b64 s[6:7], s[22:23], -1
	s_or_b64 s[6:7], s[6:7], s[24:25]
	s_and_b64 s[6:7], exec, s[6:7]
	s_or_b64 s[36:37], s[6:7], s[36:37]
	v_add_u32_e32 v6, s4, v6
	s_andn2_b64 exec, exec, s[36:37]
	s_cbranch_execz .LBB124_108
.LBB124_106:                            ; =>This Inner Loop Header: Depth=1
	v_ashrrev_i32_e32 v7, 31, v6
	v_lshl_add_u64 v[12:13], v[6:7], 2, v[4:5]
	global_load_dword v7, v[12:13], off
	s_waitcnt vmcnt(0)
	v_cmp_ne_u32_e64 s[22:23], v7, v8
	v_cmp_eq_u32_e64 s[24:25], v7, v8
	s_and_saveexec_b64 s[38:39], s[24:25]
	s_cbranch_execz .LBB124_105
; %bb.107:                              ;   in Loop: Header=BB124_106 Depth=1
	v_mov_b32_e32 v1, 1
	ds_write_b32 v10, v11 offset:40
	s_branch .LBB124_105
.LBB124_108:
	s_or_b64 exec, exec, s[36:37]
.LBB124_109:
	s_or_b64 exec, exec, s[30:31]
.LBB124_110:
	s_or_b64 exec, exec, s[26:27]
	v_rcp_iflag_f32_e32 v4, v9
	s_and_saveexec_b64 s[22:23], vcc
	s_cbranch_execz .LBB124_112
; %bb.111:
	v_mov_b32_e32 v5, 0x100
	v_lshl_add_u32 v5, v17, 2, v5
	v_mov_b32_e32 v6, -1
	ds_write_b32 v5, v6 offset:44
.LBB124_112:
	s_or_b64 exec, exec, s[22:23]
	v_add_u32_e32 v103, 11, v17
	v_mul_f32_e32 v9, 0x4f7ffffe, v4
	v_add_u32_e32 v4, v103, v92
	v_cmp_gt_i32_e64 s[4:5], s65, v4
	s_mov_b64 s[30:31], exec
	s_nop 0
	v_writelane_b32 v113, s4, 20
	s_nop 1
	v_writelane_b32 v113, s5, 21
	s_and_b64 s[4:5], s[30:31], s[4:5]
	s_mov_b64 exec, s[4:5]
	s_cbranch_execz .LBB124_120
; %bb.113:
	s_and_saveexec_b64 s[36:37], s[28:29]
	s_cbranch_execz .LBB124_119
; %bb.114:
	v_mul_lo_u32 v4, v103, s71
	v_ashrrev_i32_e32 v5, 31, v4
	v_mov_b32_e32 v6, 0x100
	v_lshl_add_u64 v[4:5], v[4:5], 2, v[2:3]
	v_lshl_add_u32 v10, v17, 2, v6
	v_mul_lo_u32 v6, v16, s70
	s_lshl_b32 s4, s70, 6
	s_mov_b64 s[38:39], 0
	v_mov_b32_e32 v11, v16
	s_branch .LBB124_116
.LBB124_115:                            ;   in Loop: Header=BB124_116 Depth=1
	s_or_b64 exec, exec, s[40:41]
	v_add_u32_e32 v11, 64, v11
	v_cmp_le_i32_e64 s[26:27], s66, v11
	s_xor_b64 s[6:7], s[24:25], -1
	s_or_b64 s[6:7], s[6:7], s[26:27]
	s_and_b64 s[6:7], exec, s[6:7]
	s_or_b64 s[38:39], s[6:7], s[38:39]
	v_add_u32_e32 v6, s4, v6
	s_andn2_b64 exec, exec, s[38:39]
	s_cbranch_execz .LBB124_118
.LBB124_116:                            ; =>This Inner Loop Header: Depth=1
	v_ashrrev_i32_e32 v7, 31, v6
	v_lshl_add_u64 v[12:13], v[6:7], 2, v[4:5]
	global_load_dword v7, v[12:13], off
	s_waitcnt vmcnt(0)
	v_cmp_ne_u32_e64 s[24:25], v7, v8
	v_cmp_eq_u32_e64 s[26:27], v7, v8
	s_and_saveexec_b64 s[40:41], s[26:27]
	s_cbranch_execz .LBB124_115
; %bb.117:                              ;   in Loop: Header=BB124_116 Depth=1
	v_mov_b32_e32 v1, 1
	ds_write_b32 v10, v11 offset:44
	s_branch .LBB124_115
.LBB124_118:
	s_or_b64 exec, exec, s[38:39]
.LBB124_119:
	s_or_b64 exec, exec, s[36:37]
.LBB124_120:
	s_or_b64 exec, exec, s[30:31]
	v_cvt_u32_f32_e32 v9, v9
	s_sub_i32 s4, 0, s3
	s_and_saveexec_b64 s[24:25], vcc
	s_cbranch_execz .LBB124_122
; %bb.121:
	v_mov_b32_e32 v4, 0x100
	v_lshl_add_u32 v4, v17, 2, v4
	v_mov_b32_e32 v5, -1
	ds_write_b32 v4, v5 offset:48
.LBB124_122:
	s_or_b64 exec, exec, s[24:25]
	v_add_u32_e32 v104, 12, v17
	v_mul_lo_u32 v10, s4, v9
	v_add_u32_e32 v4, v104, v92
	v_cmp_gt_i32_e64 s[4:5], s65, v4
	s_mov_b64 s[36:37], exec
	s_nop 0
	v_writelane_b32 v113, s4, 22
	s_nop 1
	v_writelane_b32 v113, s5, 23
	s_and_b64 s[4:5], s[36:37], s[4:5]
	s_mov_b64 exec, s[4:5]
	s_cbranch_execz .LBB124_130
; %bb.123:
	s_and_saveexec_b64 s[38:39], s[28:29]
	s_cbranch_execz .LBB124_129
; %bb.124:
	v_mul_lo_u32 v4, v104, s71
	v_ashrrev_i32_e32 v5, 31, v4
	v_mov_b32_e32 v6, 0x100
	v_lshl_add_u64 v[4:5], v[4:5], 2, v[2:3]
	v_lshl_add_u32 v11, v17, 2, v6
	v_mul_lo_u32 v6, v16, s70
	s_lshl_b32 s4, s70, 6
	s_mov_b64 s[40:41], 0
	v_mov_b32_e32 v12, v16
	s_branch .LBB124_126
.LBB124_125:                            ;   in Loop: Header=BB124_126 Depth=1
	s_or_b64 exec, exec, s[42:43]
	v_add_u32_e32 v12, 64, v12
	v_cmp_le_i32_e64 s[30:31], s66, v12
	s_xor_b64 s[6:7], s[26:27], -1
	s_or_b64 s[6:7], s[6:7], s[30:31]
	s_and_b64 s[6:7], exec, s[6:7]
	s_or_b64 s[40:41], s[6:7], s[40:41]
	v_add_u32_e32 v6, s4, v6
	s_andn2_b64 exec, exec, s[40:41]
	s_cbranch_execz .LBB124_128
.LBB124_126:                            ; =>This Inner Loop Header: Depth=1
	v_ashrrev_i32_e32 v7, 31, v6
	v_lshl_add_u64 v[14:15], v[6:7], 2, v[4:5]
	global_load_dword v7, v[14:15], off
	s_waitcnt vmcnt(0)
	v_cmp_ne_u32_e64 s[26:27], v7, v8
	v_cmp_eq_u32_e64 s[30:31], v7, v8
	s_and_saveexec_b64 s[42:43], s[30:31]
	s_cbranch_execz .LBB124_125
; %bb.127:                              ;   in Loop: Header=BB124_126 Depth=1
	v_mov_b32_e32 v1, 1
	ds_write_b32 v11, v12 offset:48
	s_branch .LBB124_125
.LBB124_128:
	s_or_b64 exec, exec, s[40:41]
.LBB124_129:
	s_or_b64 exec, exec, s[38:39]
.LBB124_130:
	s_or_b64 exec, exec, s[36:37]
	v_mul_hi_u32 v4, v9, v10
	s_and_saveexec_b64 s[26:27], vcc
	s_cbranch_execz .LBB124_132
; %bb.131:
	v_mov_b32_e32 v5, 0x100
	v_lshl_add_u32 v5, v17, 2, v5
	v_mov_b32_e32 v6, -1
	ds_write_b32 v5, v6 offset:52
.LBB124_132:
	s_or_b64 exec, exec, s[26:27]
	s_load_dwordx4 s[12:15], s[0:1], 0x54
	v_add_u32_e32 v105, 13, v17
	s_abs_i32 s4, s33
	v_add_u32_e32 v6, v9, v4
	v_add_u32_e32 v4, v105, v92
	v_cmp_gt_i32_e64 s[6:7], s65, v4
	s_mov_b64 s[30:31], exec
	s_nop 0
	v_writelane_b32 v113, s6, 24
	s_nop 1
	v_writelane_b32 v113, s7, 25
	s_and_b64 s[6:7], s[30:31], s[6:7]
	s_mov_b64 exec, s[6:7]
	s_cbranch_execz .LBB124_140
; %bb.133:
	s_and_saveexec_b64 s[36:37], s[28:29]
	s_cbranch_execz .LBB124_139
; %bb.134:
	v_mul_lo_u32 v4, v105, s71
	v_ashrrev_i32_e32 v5, 31, v4
	v_lshl_add_u64 v[2:3], v[4:5], 2, v[2:3]
	v_mov_b32_e32 v4, 0x100
	v_lshl_add_u32 v7, v17, 2, v4
	v_mul_lo_u32 v4, v16, s70
	s_lshl_b32 s5, s70, 6
	s_mov_b64 s[38:39], 0
	v_mov_b32_e32 v9, v16
	s_branch .LBB124_136
.LBB124_135:                            ;   in Loop: Header=BB124_136 Depth=1
	s_or_b64 exec, exec, s[40:41]
	v_add_u32_e32 v9, 64, v9
	v_cmp_le_i32_e64 s[28:29], s66, v9
	s_xor_b64 s[6:7], vcc, -1
	s_or_b64 s[6:7], s[6:7], s[28:29]
	s_and_b64 s[6:7], exec, s[6:7]
	s_or_b64 s[38:39], s[6:7], s[38:39]
	v_add_u32_e32 v4, s5, v4
	s_andn2_b64 exec, exec, s[38:39]
	s_cbranch_execz .LBB124_138
.LBB124_136:                            ; =>This Inner Loop Header: Depth=1
	v_ashrrev_i32_e32 v5, 31, v4
	v_lshl_add_u64 v[10:11], v[4:5], 2, v[2:3]
	global_load_dword v5, v[10:11], off
	s_waitcnt vmcnt(0)
	v_cmp_ne_u32_e32 vcc, v5, v8
	v_cmp_eq_u32_e64 s[28:29], v5, v8
	s_and_saveexec_b64 s[40:41], s[28:29]
	s_cbranch_execz .LBB124_135
; %bb.137:                              ;   in Loop: Header=BB124_136 Depth=1
	v_mov_b32_e32 v1, 1
	ds_write_b32 v7, v9 offset:52
	s_branch .LBB124_135
.LBB124_138:
	s_or_b64 exec, exec, s[38:39]
.LBB124_139:
	s_or_b64 exec, exec, s[36:37]
.LBB124_140:
	s_or_b64 exec, exec, s[30:31]
	s_load_dwordx2 s[6:7], s[34:35], 0xc
	s_load_dwordx2 s[30:31], s[0:1], 0x8
	;; [unrolled: 1-line block ×3, first 2 shown]
	v_cmp_ne_u32_e32 vcc, 0, v1
	v_mul_hi_u32 v2, s4, v6
	s_waitcnt lgkmcnt(0)
	s_and_b32 s5, s7, 0xffff
	v_cndmask_b32_e64 v1, 0, 1, vcc
	v_writelane_b32 v113, s8, 26
	s_lshr_b32 s7, s6, 16
	v_or_b32_dpp v1, v1, v1 row_shl:1 row_mask:0xf bank_mask:0xf bound_ctrl:1
	s_and_b32 s6, s6, 0xffff
	v_writelane_b32 v113, s9, 27
	v_or_b32_dpp v1, v1, v1 row_shl:2 row_mask:0xf bank_mask:0xf bound_ctrl:1
	s_mul_i32 s8, s7, s6
	s_bfe_i32 s8, s8, 0x180000
	v_or_b32_dpp v1, v1, v1 row_shl:4 row_mask:0xf bank_mask:0xf bound_ctrl:1
	s_mul_i32 s5, s8, s5
	s_add_i32 s8, s5, 63
	v_or_b32_dpp v1, v1, v1 row_shl:8 row_mask:0xf bank_mask:0xf bound_ctrl:1
	s_bitcmp1_b32 exec_hi, 0
	s_nop 0
	v_mov_b32_dpp v3, v1 wave_shl:1 row_mask:0xf bank_mask:0xf bound_ctrl:1
	s_nop 1
	v_or_b32_dpp v1, v3, v1 row_mirror row_mask:0xf bank_mask:0xf bound_ctrl:1
	s_nop 0
	v_readlane_b32 s5, v1, 32
	s_cselect_b32 s5, s5, 0
	v_readlane_b32 s9, v1, 0
	s_or_b32 s5, s5, s9
	s_andn2_b32 s8, s8, 63
	s_cmp_lg_u32 s8, 64
	v_mov_b32_e32 v1, s5
	s_cbranch_scc0 .LBB124_147
; %bb.141:
	v_bfe_u32 v0, v0, 20, 10
	v_mbcnt_lo_u32_b32 v1, -1, 0
	v_mad_u32_u24 v0, v0, s7, v17
	v_mbcnt_hi_u32_b32 v3, -1, v1
	v_mad_u64_u32 v[0:1], s[6:7], v0, s6, v[16:17]
	v_lshrrev_b32_e32 v1, 6, v0
	v_or_b32_e32 v1, v3, v1
	v_cmp_eq_u32_e32 vcc, 0, v1
	s_and_saveexec_b64 s[28:29], vcc
	s_cbranch_execz .LBB124_143
; %bb.142:
	v_mov_b32_e32 v1, 0
	v_mov_b32_e32 v4, s5
	ds_write_b32 v1, v4
.LBB124_143:
	s_or_b64 exec, exec, s[28:29]
	v_cmp_eq_u32_e32 vcc, 0, v3
	v_cmp_lt_u32_e64 s[28:29], 63, v0
	s_and_b64 s[6:7], s[28:29], vcc
	s_waitcnt lgkmcnt(0)
	; wave barrier
	s_waitcnt lgkmcnt(0)
	s_and_saveexec_b64 s[28:29], s[6:7]
	s_cbranch_execz .LBB124_146
; %bb.144:
	v_mbcnt_lo_u32_b32 v0, exec_lo, 0
	v_mbcnt_hi_u32_b32 v0, exec_hi, v0
	v_cmp_eq_u32_e32 vcc, 0, v0
	s_and_b64 exec, exec, vcc
	s_cbranch_execz .LBB124_146
; %bb.145:
	v_mov_b32_e32 v0, 0
	v_mov_b32_e32 v1, s5
	ds_or_b32 v0, v1
.LBB124_146:
	s_or_b64 exec, exec, s[28:29]
	v_mov_b32_e32 v0, 0
	s_waitcnt lgkmcnt(0)
	; wave barrier
	s_waitcnt lgkmcnt(0)
	ds_read_b32 v1, v0
	s_waitcnt lgkmcnt(0)
	; wave barrier
	s_waitcnt lgkmcnt(0)
.LBB124_147:
	s_load_dwordx2 s[28:29], s[0:1], 0x0
	v_cmp_ne_u32_e32 vcc, 0, v1
	s_ashr_i32 s5, s33, 31
	s_ashr_i32 s6, s75, 31
	s_cbranch_vccz .LBB124_364
; %bb.148:
	v_lshlrev_b32_e32 v106, 6, v17
	v_add_u32_e32 v107, v106, v16
	v_cmp_le_i32_e32 vcc, s64, v107
	v_and_b32_e32 v0, 15, v16
                                        ; implicit-def: $sgpr7
                                        ; implicit-def: $vgpr108
	s_and_saveexec_b64 s[0:1], vcc
	s_xor_b64 s[0:1], exec, s[0:1]
; %bb.149:
	v_mul_u32_u24_e32 v108, 0x108, v0
	s_mov_b32 s7, 0
                                        ; implicit-def: $vgpr107
                                        ; implicit-def: $vgpr2
                                        ; implicit-def: $vgpr8
                                        ; implicit-def: $vgpr0
; %bb.150:
	s_or_saveexec_b64 s[0:1], s[0:1]
	s_lshl_b32 s8, s2, 6
	v_accvgpr_write_b32 a0, s7
	v_accvgpr_write_b32 a1, s7
	;; [unrolled: 1-line block ×16, first 2 shown]
	v_writelane_b32 v113, s0, 28
	s_nop 1
	v_writelane_b32 v113, s1, 29
	s_xor_b64 exec, exec, s[0:1]
	s_cbranch_execz .LBB124_308
; %bb.151:
	v_mul_lo_u32 v1, v2, s3
	v_sub_u32_e32 v1, s4, v1
	v_add_u32_e32 v3, 1, v2
	v_subrev_u32_e32 v4, s3, v1
	v_cmp_le_u32_e32 vcc, s3, v1
	s_xor_b32 s0, s5, s6
	v_writelane_b32 v113, s44, 30
	v_cndmask_b32_e32 v2, v2, v3, vcc
	v_cndmask_b32_e32 v1, v1, v4, vcc
	v_add_u32_e32 v3, 1, v2
	v_cmp_le_u32_e32 vcc, s3, v1
	v_writelane_b32 v113, s45, 31
	v_mul_lo_u32 v4, v8, s72
	v_cndmask_b32_e32 v1, v2, v3, vcc
	v_xor_b32_e32 v1, s0, v1
	v_subrev_u32_e32 v1, s0, v1
	v_mul_hi_i32 v3, v1, s12
	v_mul_lo_u32 v2, v1, s12
	v_writelane_b32 v113, s8, 32
	v_ashrrev_i32_e32 v5, 31, v4
	s_mul_i32 s0, s8, s67
	v_lshlrev_b64 v[2:3], 2, v[2:3]
	s_movk_i32 s2, 0x1080
	v_mov_b32_e32 v109, 0x100
	v_writelane_b32 v113, s33, 33
	s_waitcnt lgkmcnt(0)
	v_lshl_add_u64 v[6:7], s[28:29], 0, v[2:3]
	v_lshlrev_b64 v[4:5], 2, v[4:5]
	s_ashr_i32 s1, s0, 31
	v_mad_u32_u24 v1, v17, s2, v109
	s_mul_hi_i32 s3, s13, s33
	v_writelane_b32 v113, s12, 34
	s_mul_i32 s2, s13, s33
	v_lshl_add_u64 v[6:7], v[6:7], 0, v[4:5]
	s_lshl_b64 s[0:1], s[0:1], 2
	s_lshl_b64 s[2:3], s[2:3], 2
	v_lshl_add_u64 v[18:19], v[6:7], 0, s[0:1]
	v_writelane_b32 v113, s13, 35
	v_mul_hi_i32 v7, s68, v92
	v_mul_lo_u32 v6, s68, v92
	s_add_u32 s2, s30, s2
	v_writelane_b32 v113, s14, 36
	v_lshlrev_b64 v[6:7], 3, v[6:7]
	s_addc_u32 s3, s31, s3
	v_writelane_b32 v113, s15, 37
	v_lshl_add_u64 v[20:21], s[2:3], 0, v[6:7]
	s_lshl_b32 s2, s68, 3
	v_writelane_b32 v113, s2, 38
	s_mul_i32 s2, s68, 6
	v_mul_u32_u24_e32 v108, 0x108, v0
	v_lshrrev_b32_e32 v0, 1, v16
	v_writelane_b32 v113, s2, 39
	s_lshl_b32 s2, s68, 4
	v_and_b32_e32 v0, 0x1f8, v0
	v_writelane_b32 v113, s2, 40
	s_mul_i32 s2, s68, 10
	v_add3_u32 v111, v1, v108, v0
	v_writelane_b32 v113, s2, 41
	s_mul_i32 s2, s68, 12
	v_lshlrev_b32_e32 v0, 1, v16
	v_lshl_add_u32 v110, v16, 2, v1
	v_writelane_b32 v113, s2, 42
	v_lshl_add_u32 v112, v17, 7, v0
	v_lshl_add_u64 v[0:1], v[2:3], 0, s[0:1]
	s_mul_i32 s0, s68, 26
	v_writelane_b32 v113, s0, 43
	s_mul_i32 s0, s68, 24
	v_writelane_b32 v113, s0, 44
	;; [unrolled: 2-line block ×6, first 2 shown]
	s_lshl_b32 s0, s68, 1
	v_writelane_b32 v113, s0, 49
	s_mul_i32 s0, s67, 3
	v_writelane_b32 v113, s0, 50
	s_mul_i32 s0, s67, 5
	;; [unrolled: 2-line block ×5, first 2 shown]
	v_lshl_add_u64 v[0:1], v[0:1], 0, v[4:5]
	v_writelane_b32 v113, s0, 54
	s_mul_i32 s0, s67, 10
	v_or_b32_e32 v6, 1, v92
	v_add_u32_e32 v7, 2, v92
	s_lshl_b32 s66, s68, 2
	v_add_u32_e32 v8, 3, v92
	v_add_u32_e32 v9, 4, v92
	;; [unrolled: 1-line block ×11, first 2 shown]
	s_ashr_i32 s3, s67, 31
	s_mov_b32 s2, s67
	v_lshlrev_b32_e32 v22, 2, v107
	v_mov_b32_e32 v23, 0
	v_lshl_add_u64 v[0:1], s[28:29], 0, v[0:1]
	v_writelane_b32 v113, s0, 55
	s_mul_i32 s0, s67, 11
	s_lshl_b64 s[2:3], s[2:3], 2
	v_lshl_add_u64 v[24:25], v[0:1], 0, v[22:23]
	s_lshl_b32 s90, s67, 1
	s_lshl_b32 s92, s67, 2
	;; [unrolled: 1-line block ×3, first 2 shown]
	v_writelane_b32 v113, s0, 56
	s_mul_i32 s70, s67, 12
	s_mul_i32 s71, s67, 13
	;; [unrolled: 1-line block ×4, first 2 shown]
	s_lshl_b32 s58, s67, 4
	s_mul_i32 s59, s67, 17
	s_mul_i32 s62, s67, 18
	;; [unrolled: 1-line block ×15, first 2 shown]
	s_lshl_b32 s83, s67, 5
	s_mul_i32 s14, s67, 33
	s_mul_i32 s15, s67, 34
	;; [unrolled: 1-line block ×10, first 2 shown]
	v_cmp_gt_i32_e64 s[28:29], s65, v92
	s_mul_i32 s0, s67, 43
	s_mul_i32 s1, s67, 44
	v_accvgpr_write_b32 a15, 0
	v_accvgpr_write_b32 a14, 0
	;; [unrolled: 1-line block ×16, first 2 shown]
	s_mul_i32 s18, s67, 45
	s_mul_i32 s19, s67, 46
	;; [unrolled: 1-line block ×19, first 2 shown]
	s_mov_b32 s97, 0x7f800000
	s_movk_i32 s98, 0x7fff
	s_mov_b32 s99, 0x7060302
	v_cmp_gt_i32_e64 s[30:31], s65, v6
	v_cmp_gt_i32_e64 s[34:35], s65, v7
	;; [unrolled: 1-line block ×13, first 2 shown]
	s_mov_b32 s65, s66
	s_mov_b64 s[66:67], 0
	s_mov_b64 s[76:77], 0x100
	s_branch .LBB124_153
.LBB124_152:                            ;   in Loop: Header=BB124_153 Depth=1
	s_or_b64 exec, exec, s[80:81]
	v_perm_b32 v22, v90, v22, s99
	v_add_u32_e32 v90, 0xc00, v110
	ds_write2_b32 v90, v22, v23 offset0:106 offset1:172
	ds_write_b32 v110, v23 offset:4024
	ds_read2_b64 v[114:117], v111 offset0:8 offset1:12
	v_accvgpr_write_b32 a0, v0
	v_accvgpr_write_b32 a4, v4
	;; [unrolled: 1-line block ×16, first 2 shown]
	s_waitcnt lgkmcnt(0)
	v_mfma_f32_16x16x16_bf16 a[0:3], v[32:33], v[114:115], a[0:3]
	ds_read2_b64 v[0:3], v111 offset0:16 offset1:20
	v_add_u32_e32 v107, 64, v107
	v_cmp_le_i32_e32 vcc, s64, v107
	v_mfma_f32_16x16x16_bf16 a[4:7], v[58:59], v[114:115], a[4:7]
	v_add_u32_e32 v112, 0x80, v112
	v_lshl_add_u64 v[24:25], v[24:25], 0, s[76:77]
	s_or_b64 s[66:67], vcc, s[66:67]
	v_mfma_f32_16x16x16_bf16 a[8:11], v[72:73], v[114:115], a[8:11]
	v_mfma_f32_16x16x16_bf16 a[12:15], v[88:89], v[114:115], a[12:15]
	;; [unrolled: 1-line block ×6, first 2 shown]
	s_waitcnt lgkmcnt(0)
	v_mfma_f32_16x16x16_bf16 a[0:3], v[28:29], v[0:1], a[0:3]
	v_mfma_f32_16x16x16_bf16 a[4:7], v[52:53], v[0:1], a[4:7]
	;; [unrolled: 1-line block ×8, first 2 shown]
	ds_read2_b64 v[0:3], v111 offset0:24 offset1:28
	s_waitcnt lgkmcnt(0)
	v_mfma_f32_16x16x16_bf16 a[0:3], v[40:41], v[0:1], a[0:3]
	v_mfma_f32_16x16x16_bf16 a[4:7], v[48:49], v[0:1], a[4:7]
	;; [unrolled: 1-line block ×8, first 2 shown]
	ds_read2_b64 v[0:3], v111 offset0:32 offset1:36
	s_waitcnt lgkmcnt(0)
	v_mfma_f32_16x16x16_bf16 a[0:3], v[36:37], v[0:1], a[0:3]
	v_mfma_f32_16x16x16_bf16 a[4:7], v[44:45], v[0:1], a[4:7]
	;; [unrolled: 1-line block ×8, first 2 shown]
	s_andn2_b64 exec, exec, s[66:67]
	s_cbranch_execz .LBB124_307
.LBB124_153:                            ; =>This Inner Loop Header: Depth=1
	v_readlane_b32 s80, v113, 50
	v_lshl_add_u64 v[0:1], v[24:25], 0, s[2:3]
	global_load_dword v22, v[24:25], off
	global_load_dword v26, v[0:1], off
	v_add_u32_e32 v2, s80, v107
	v_readlane_b32 s80, v113, 51
	v_add_u32_e32 v0, s90, v107
	v_add_u32_e32 v4, s92, v107
	v_add_u32_e32 v6, s80, v107
	v_readlane_b32 s80, v113, 52
	v_add_u32_e32 v12, s96, v107
	v_ashrrev_i32_e32 v1, 31, v0
	v_add_u32_e32 v8, s80, v107
	v_readlane_b32 s80, v113, 53
	v_ashrrev_i32_e32 v5, 31, v4
	v_ashrrev_i32_e32 v7, 31, v6
	v_add_u32_e32 v10, s80, v107
	v_readlane_b32 s80, v113, 54
	v_ashrrev_i32_e32 v13, 31, v12
	v_lshl_add_u64 v[0:1], v[0:1], 2, v[18:19]
	v_add_u32_e32 v14, s80, v107
	v_ashrrev_i32_e32 v3, 31, v2
	v_lshl_add_u64 v[4:5], v[4:5], 2, v[18:19]
	v_lshl_add_u64 v[6:7], v[6:7], 2, v[18:19]
	v_ashrrev_i32_e32 v9, 31, v8
	v_ashrrev_i32_e32 v11, 31, v10
	v_lshl_add_u64 v[12:13], v[12:13], 2, v[18:19]
	v_ashrrev_i32_e32 v15, 31, v14
	v_readlane_b32 s80, v113, 55
	v_lshl_add_u64 v[2:3], v[2:3], 2, v[18:19]
	v_lshl_add_u64 v[8:9], v[8:9], 2, v[18:19]
	;; [unrolled: 1-line block ×4, first 2 shown]
	global_load_dword v27, v[0:1], off
	global_load_dword v28, v[2:3], off
	;; [unrolled: 1-line block ×6, first 2 shown]
	s_nop 0
	global_load_dword v12, v[12:13], off
	s_nop 0
	global_load_dword v13, v[14:15], off
	v_add_u32_e32 v0, s80, v107
	v_readlane_b32 s80, v113, 56
	v_add_u32_e32 v4, s70, v107
	v_add_u32_e32 v6, s71, v107
	v_ashrrev_i32_e32 v1, 31, v0
	v_add_u32_e32 v2, s80, v107
	v_ashrrev_i32_e32 v5, 31, v4
	v_ashrrev_i32_e32 v7, 31, v6
	v_add_u32_e32 v8, s5, v107
	v_add_u32_e32 v10, s78, v107
	v_lshl_add_u64 v[0:1], v[0:1], 2, v[18:19]
	v_ashrrev_i32_e32 v3, 31, v2
	v_lshl_add_u64 v[4:5], v[4:5], 2, v[18:19]
	v_lshl_add_u64 v[6:7], v[6:7], 2, v[18:19]
	v_ashrrev_i32_e32 v9, 31, v8
	v_ashrrev_i32_e32 v11, 31, v10
	v_lshl_add_u64 v[2:3], v[2:3], 2, v[18:19]
	v_lshl_add_u64 v[8:9], v[8:9], 2, v[18:19]
	;; [unrolled: 1-line block ×3, first 2 shown]
	global_load_dword v14, v[0:1], off
	global_load_dword v15, v[2:3], off
	s_nop 0
	global_load_dword v4, v[4:5], off
	s_nop 0
	;; [unrolled: 2-line block ×3, first 2 shown]
	global_load_dword v6, v[8:9], off
	global_load_dword v7, v[10:11], off
	v_add_u32_e32 v0, s58, v107
	v_add_u32_e32 v2, s59, v107
	v_ashrrev_i32_e32 v1, 31, v0
	v_ashrrev_i32_e32 v3, 31, v2
	v_lshl_add_u64 v[0:1], v[0:1], 2, v[18:19]
	v_lshl_add_u64 v[2:3], v[2:3], 2, v[18:19]
	global_load_dword v42, v[0:1], off
	global_load_dword v43, v[2:3], off
	v_add_u32_e32 v0, s62, v107
	v_ashrrev_i32_e32 v1, 31, v0
	v_add_u32_e32 v2, s63, v107
	v_add_u32_e32 v8, s6, v107
	;; [unrolled: 1-line block ×3, first 2 shown]
	v_lshl_add_u64 v[0:1], v[0:1], 2, v[18:19]
	v_ashrrev_i32_e32 v3, 31, v2
	v_ashrrev_i32_e32 v9, 31, v8
	;; [unrolled: 1-line block ×3, first 2 shown]
	v_lshl_add_u64 v[2:3], v[2:3], 2, v[18:19]
	v_lshl_add_u64 v[8:9], v[8:9], 2, v[18:19]
	;; [unrolled: 1-line block ×3, first 2 shown]
	s_andn2_b64 vcc, exec, s[28:29]
	s_waitcnt vmcnt(17)
	ds_write_b32 v110, v22 offset:64
	s_waitcnt vmcnt(16)
	ds_write_b32 v110, v26 offset:328
	;; [unrolled: 2-line block ×16, first 2 shown]
	v_add_u32_e32 v4, s60, v107
	v_add_u32_e32 v6, s61, v107
	;; [unrolled: 1-line block ×4, first 2 shown]
	v_ashrrev_i32_e32 v5, 31, v4
	v_ashrrev_i32_e32 v7, 31, v6
	;; [unrolled: 1-line block ×4, first 2 shown]
	ds_read_b64 v[32:33], v111 offset:64
	ds_read_b64 v[30:31], v111 offset:96
	;; [unrolled: 1-line block ×4, first 2 shown]
	v_lshl_add_u64 v[4:5], v[4:5], 2, v[18:19]
	v_lshl_add_u64 v[6:7], v[6:7], 2, v[18:19]
	v_lshl_add_u64 v[12:13], v[12:13], 2, v[18:19]
	v_lshl_add_u64 v[14:15], v[14:15], 2, v[18:19]
	global_load_dword v22, v[0:1], off
	global_load_dword v44, v[2:3], off
	global_load_dword v45, v[4:5], off
	global_load_dword v46, v[6:7], off
	global_load_dword v47, v[8:9], off
	global_load_dword v48, v[10:11], off
	global_load_dword v49, v[12:13], off
	global_load_dword v50, v[14:15], off
	v_add_u32_e32 v0, s10, v107
	v_ashrrev_i32_e32 v1, 31, v0
	v_add_u32_e32 v2, s11, v107
	v_add_u32_e32 v4, s12, v107
	v_add_u32_e32 v6, s13, v107
	v_add_u32_e32 v8, s75, v107
	v_add_u32_e32 v10, s82, v107
	v_add_u32_e32 v12, s83, v107
	v_add_u32_e32 v14, s14, v107
	v_lshl_add_u64 v[0:1], v[0:1], 2, v[18:19]
	v_ashrrev_i32_e32 v3, 31, v2
	v_ashrrev_i32_e32 v5, 31, v4
	v_ashrrev_i32_e32 v7, 31, v6
	v_ashrrev_i32_e32 v9, 31, v8
	v_ashrrev_i32_e32 v11, 31, v10
	v_ashrrev_i32_e32 v13, 31, v12
	v_ashrrev_i32_e32 v15, 31, v14
	v_lshl_add_u64 v[2:3], v[2:3], 2, v[18:19]
	v_lshl_add_u64 v[4:5], v[4:5], 2, v[18:19]
	v_lshl_add_u64 v[6:7], v[6:7], 2, v[18:19]
	v_lshl_add_u64 v[8:9], v[8:9], 2, v[18:19]
	v_lshl_add_u64 v[10:11], v[10:11], 2, v[18:19]
	v_lshl_add_u64 v[12:13], v[12:13], 2, v[18:19]
	v_lshl_add_u64 v[14:15], v[14:15], 2, v[18:19]
	global_load_dword v51, v[0:1], off
	global_load_dword v52, v[2:3], off
	global_load_dword v53, v[4:5], off
	global_load_dword v54, v[6:7], off
	global_load_dword v55, v[8:9], off
	global_load_dword v56, v[10:11], off
	global_load_dword v60, v[12:13], off
	global_load_dword v61, v[14:15], off
	v_add_u32_e32 v0, s15, v107
	v_ashrrev_i32_e32 v1, 31, v0
	v_add_u32_e32 v2, s84, v107
	v_add_u32_e32 v4, s85, v107
	v_add_u32_e32 v6, s86, v107
	v_add_u32_e32 v8, s87, v107
	v_add_u32_e32 v10, s88, v107
	v_add_u32_e32 v12, s89, v107
	v_add_u32_e32 v14, s16, v107
	v_lshl_add_u64 v[0:1], v[0:1], 2, v[18:19]
	v_ashrrev_i32_e32 v3, 31, v2
	v_ashrrev_i32_e32 v5, 31, v4
	v_ashrrev_i32_e32 v7, 31, v6
	v_ashrrev_i32_e32 v9, 31, v8
	v_ashrrev_i32_e32 v11, 31, v10
	v_ashrrev_i32_e32 v13, 31, v12
	v_ashrrev_i32_e32 v15, 31, v14
	v_lshl_add_u64 v[2:3], v[2:3], 2, v[18:19]
	v_lshl_add_u64 v[4:5], v[4:5], 2, v[18:19]
	v_lshl_add_u64 v[6:7], v[6:7], 2, v[18:19]
	;; [unrolled: 32-line block ×4, first 2 shown]
	v_lshl_add_u64 v[8:9], v[8:9], 2, v[18:19]
	v_lshl_add_u64 v[10:11], v[10:11], 2, v[18:19]
	;; [unrolled: 1-line block ×4, first 2 shown]
	global_load_dword v78, v[0:1], off
	global_load_dword v79, v[2:3], off
	;; [unrolled: 1-line block ×8, first 2 shown]
	v_add_u32_e32 v0, s79, v107
	v_ashrrev_i32_e32 v1, 31, v0
	v_add_u32_e32 v2, s68, v107
	v_add_u32_e32 v4, s91, v107
	;; [unrolled: 1-line block ×5, first 2 shown]
	v_lshl_add_u64 v[0:1], v[0:1], 2, v[18:19]
	v_ashrrev_i32_e32 v3, 31, v2
	v_ashrrev_i32_e32 v5, 31, v4
	;; [unrolled: 1-line block ×5, first 2 shown]
	v_lshl_add_u64 v[2:3], v[2:3], 2, v[18:19]
	v_lshl_add_u64 v[4:5], v[4:5], 2, v[18:19]
	;; [unrolled: 1-line block ×5, first 2 shown]
	global_load_dword v86, v[0:1], off
	global_load_dword v87, v[2:3], off
	;; [unrolled: 1-line block ×6, first 2 shown]
	ds_read_b64 v[40:41], v111 offset:192
	ds_read_b64 v[38:39], v111 offset:224
	ds_read_b64 v[36:37], v111 offset:256
	ds_read_b64 v[34:35], v111 offset:288
	s_waitcnt vmcnt(47)
	ds_write_b32 v110, v42 offset:64
	s_waitcnt vmcnt(46)
	ds_write_b32 v110, v43 offset:328
	s_waitcnt vmcnt(45)
	ds_write_b32 v110, v22 offset:592
	s_waitcnt vmcnt(44)
	ds_write_b32 v110, v44 offset:856
	s_waitcnt vmcnt(43)
	ds_write_b32 v110, v45 offset:1120
	s_waitcnt vmcnt(42)
	ds_write_b32 v110, v46 offset:1384
	s_waitcnt vmcnt(41)
	ds_write_b32 v110, v47 offset:1648
	s_waitcnt vmcnt(40)
	ds_write_b32 v110, v48 offset:1912
	s_waitcnt vmcnt(39)
	ds_write_b32 v110, v49 offset:2176
	s_waitcnt vmcnt(38)
	ds_write_b32 v110, v50 offset:2440
	s_waitcnt vmcnt(37)
	ds_write_b32 v110, v51 offset:2704
	s_waitcnt vmcnt(36)
	ds_write_b32 v110, v52 offset:2968
	s_waitcnt vmcnt(35)
	ds_write_b32 v110, v53 offset:3232
	s_waitcnt vmcnt(34)
	ds_write_b32 v110, v54 offset:3496
	s_waitcnt vmcnt(33)
	ds_write_b32 v110, v55 offset:3760
	s_waitcnt vmcnt(32)
	ds_write_b32 v110, v56 offset:4024
	ds_read_b64 v[58:59], v111 offset:64
	ds_read_b64 v[56:57], v111 offset:96
	ds_read_b64 v[52:53], v111 offset:128
	ds_read_b64 v[50:51], v111 offset:160
	ds_read_b64 v[48:49], v111 offset:192
	ds_read_b64 v[46:47], v111 offset:224
	ds_read_b64 v[44:45], v111 offset:256
	ds_read_b64 v[42:43], v111 offset:288
	s_waitcnt vmcnt(31)
	ds_write_b32 v110, v60 offset:64
	s_waitcnt vmcnt(30)
	ds_write_b32 v110, v61 offset:328
	s_waitcnt vmcnt(29)
	ds_write_b32 v110, v62 offset:592
	s_waitcnt vmcnt(28)
	ds_write_b32 v110, v63 offset:856
	s_waitcnt vmcnt(27)
	ds_write_b32 v110, v64 offset:1120
	s_waitcnt vmcnt(26)
	ds_write_b32 v110, v65 offset:1384
	s_waitcnt vmcnt(25)
	ds_write_b32 v110, v66 offset:1648
	s_waitcnt vmcnt(24)
	ds_write_b32 v110, v67 offset:1912
	s_waitcnt vmcnt(23)
	ds_write_b32 v110, v68 offset:2176
	s_waitcnt vmcnt(22)
	ds_write_b32 v110, v69 offset:2440
	s_waitcnt vmcnt(21)
	ds_write_b32 v110, v70 offset:2704
	s_waitcnt vmcnt(20)
	ds_write_b32 v110, v71 offset:2968
	s_waitcnt vmcnt(19)
	ds_write_b32 v110, v72 offset:3232
	s_waitcnt vmcnt(18)
	ds_write_b32 v110, v73 offset:3496
	s_waitcnt vmcnt(17)
	ds_write_b32 v110, v74 offset:3760
	s_waitcnt vmcnt(16)
	ds_write_b32 v110, v75 offset:4024
	ds_read_b64 v[72:73], v111 offset:64
	ds_read_b64 v[70:71], v111 offset:96
	ds_read_b64 v[68:69], v111 offset:128
	ds_read_b64 v[66:67], v111 offset:160
	;; [unrolled: 40-line block ×3, first 2 shown]
	ds_read_b64 v[84:85], v111 offset:192
	ds_read_b64 v[80:81], v111 offset:224
	;; [unrolled: 1-line block ×4, first 2 shown]
	v_accvgpr_read_b32 v3, a15
	v_accvgpr_read_b32 v2, a14
	;; [unrolled: 1-line block ×16, first 2 shown]
	v_mov_b32_e32 v90, 0
	v_mov_b32_e32 v91, 0
	s_cbranch_vccnz .LBB124_156
; %bb.154:                              ;   in Loop: Header=BB124_153 Depth=1
	ds_read_b32 v22, v109
	v_mov_b32_e32 v91, 0
	v_mov_b32_e32 v90, 0
	s_waitcnt lgkmcnt(0)
	v_cmp_gt_i32_e32 vcc, 0, v22
	s_cbranch_vccnz .LBB124_156
; %bb.155:                              ;   in Loop: Header=BB124_153 Depth=1
	v_mul_lo_u32 v22, v22, s73
	v_add_u32_e32 v90, v112, v22
	v_ashrrev_i32_e32 v91, 31, v90
	v_lshl_add_u64 v[90:91], v[90:91], 2, v[20:21]
	global_load_dwordx2 v[90:91], v[90:91], off
.LBB124_156:                            ;   in Loop: Header=BB124_153 Depth=1
	s_waitcnt vmcnt(0)
	v_and_b32_e32 v22, 0x7f800000, v90
	v_cmp_ne_u32_e32 vcc, s97, v22
                                        ; implicit-def: $vgpr22
	s_and_saveexec_b64 s[80:81], vcc
	s_xor_b64 s[80:81], exec, s[80:81]
; %bb.157:                              ;   in Loop: Header=BB124_153 Depth=1
	v_bfe_u32 v22, v90, 16, 1
	v_add3_u32 v22, v90, v22, s98
; %bb.158:                              ;   in Loop: Header=BB124_153 Depth=1
	s_andn2_saveexec_b64 s[80:81], s[80:81]
; %bb.159:                              ;   in Loop: Header=BB124_153 Depth=1
	v_or_b32_e32 v22, 0x10000, v90
	v_cmp_eq_u32_sdwa vcc, v90, v23 src0_sel:WORD_0 src1_sel:DWORD
	s_nop 1
	v_cndmask_b32_e32 v22, v22, v90, vcc
; %bb.160:                              ;   in Loop: Header=BB124_153 Depth=1
	s_or_b64 exec, exec, s[80:81]
	v_and_b32_e32 v90, 0x7f800000, v91
	v_cmp_ne_u32_e32 vcc, s97, v90
                                        ; implicit-def: $vgpr90
	s_and_saveexec_b64 s[80:81], vcc
	s_xor_b64 s[80:81], exec, s[80:81]
; %bb.161:                              ;   in Loop: Header=BB124_153 Depth=1
	v_bfe_u32 v90, v91, 16, 1
	v_add3_u32 v90, v91, v90, s98
                                        ; implicit-def: $vgpr91
; %bb.162:                              ;   in Loop: Header=BB124_153 Depth=1
	s_andn2_saveexec_b64 s[80:81], s[80:81]
; %bb.163:                              ;   in Loop: Header=BB124_153 Depth=1
	v_or_b32_e32 v90, 0x10000, v91
	v_cmp_eq_u32_sdwa vcc, v91, v23 src0_sel:WORD_0 src1_sel:DWORD
	s_nop 1
	v_cndmask_b32_e32 v90, v90, v91, vcc
; %bb.164:                              ;   in Loop: Header=BB124_153 Depth=1
	s_or_b64 exec, exec, s[80:81]
	v_perm_b32 v22, v90, v22, s99
	s_andn2_b64 vcc, exec, s[30:31]
	v_mov_b32_e32 v90, 0
	v_mov_b32_e32 v91, 0
	ds_write_b32 v110, v22 offset:64
	s_cbranch_vccnz .LBB124_167
; %bb.165:                              ;   in Loop: Header=BB124_153 Depth=1
	ds_read_b32 v22, v109 offset:4
	v_mov_b32_e32 v91, 0
	v_mov_b32_e32 v90, 0
	s_waitcnt lgkmcnt(0)
	v_cmp_gt_i32_e32 vcc, 0, v22
	s_cbranch_vccnz .LBB124_167
; %bb.166:                              ;   in Loop: Header=BB124_153 Depth=1
	v_mul_lo_u32 v22, v22, s73
	v_readlane_b32 s80, v113, 49
	s_nop 1
	v_add_u32_e32 v22, s80, v22
	v_add_u32_e32 v90, v22, v112
	v_ashrrev_i32_e32 v91, 31, v90
	v_lshl_add_u64 v[90:91], v[90:91], 2, v[20:21]
	global_load_dwordx2 v[90:91], v[90:91], off
.LBB124_167:                            ;   in Loop: Header=BB124_153 Depth=1
	s_waitcnt vmcnt(0)
	v_and_b32_e32 v22, 0x7f800000, v90
	v_cmp_ne_u32_e32 vcc, s97, v22
                                        ; implicit-def: $vgpr22
	s_and_saveexec_b64 s[80:81], vcc
	s_xor_b64 s[80:81], exec, s[80:81]
; %bb.168:                              ;   in Loop: Header=BB124_153 Depth=1
	v_bfe_u32 v22, v90, 16, 1
	v_add3_u32 v22, v90, v22, s98
; %bb.169:                              ;   in Loop: Header=BB124_153 Depth=1
	s_andn2_saveexec_b64 s[80:81], s[80:81]
; %bb.170:                              ;   in Loop: Header=BB124_153 Depth=1
	v_or_b32_e32 v22, 0x10000, v90
	v_cmp_eq_u32_sdwa vcc, v90, v23 src0_sel:WORD_0 src1_sel:DWORD
	s_nop 1
	v_cndmask_b32_e32 v22, v22, v90, vcc
; %bb.171:                              ;   in Loop: Header=BB124_153 Depth=1
	s_or_b64 exec, exec, s[80:81]
	v_and_b32_e32 v90, 0x7f800000, v91
	v_cmp_ne_u32_e32 vcc, s97, v90
                                        ; implicit-def: $vgpr90
	s_and_saveexec_b64 s[80:81], vcc
	s_xor_b64 s[80:81], exec, s[80:81]
; %bb.172:                              ;   in Loop: Header=BB124_153 Depth=1
	v_bfe_u32 v90, v91, 16, 1
	v_add3_u32 v90, v91, v90, s98
                                        ; implicit-def: $vgpr91
; %bb.173:                              ;   in Loop: Header=BB124_153 Depth=1
	s_andn2_saveexec_b64 s[80:81], s[80:81]
; %bb.174:                              ;   in Loop: Header=BB124_153 Depth=1
	v_or_b32_e32 v90, 0x10000, v91
	v_cmp_eq_u32_sdwa vcc, v91, v23 src0_sel:WORD_0 src1_sel:DWORD
	s_nop 1
	v_cndmask_b32_e32 v90, v90, v91, vcc
; %bb.175:                              ;   in Loop: Header=BB124_153 Depth=1
	s_or_b64 exec, exec, s[80:81]
	v_perm_b32 v22, v90, v22, s99
	s_andn2_b64 vcc, exec, s[34:35]
	v_mov_b32_e32 v90, 0
	v_mov_b32_e32 v91, 0
	ds_write_b32 v110, v22 offset:328
	s_cbranch_vccnz .LBB124_178
; %bb.176:                              ;   in Loop: Header=BB124_153 Depth=1
	ds_read_b32 v22, v109 offset:8
	v_mov_b32_e32 v91, 0
	v_mov_b32_e32 v90, 0
	s_waitcnt lgkmcnt(0)
	v_cmp_gt_i32_e32 vcc, 0, v22
	s_cbranch_vccnz .LBB124_178
; %bb.177:                              ;   in Loop: Header=BB124_153 Depth=1
	v_mul_lo_u32 v22, v22, s73
	v_add_u32_e32 v22, s65, v22
	v_add_u32_e32 v90, v22, v112
	v_ashrrev_i32_e32 v91, 31, v90
	v_lshl_add_u64 v[90:91], v[90:91], 2, v[20:21]
	global_load_dwordx2 v[90:91], v[90:91], off
.LBB124_178:                            ;   in Loop: Header=BB124_153 Depth=1
	s_waitcnt vmcnt(0)
	v_and_b32_e32 v22, 0x7f800000, v90
	v_cmp_ne_u32_e32 vcc, s97, v22
                                        ; implicit-def: $vgpr22
	s_and_saveexec_b64 s[80:81], vcc
	s_xor_b64 s[80:81], exec, s[80:81]
; %bb.179:                              ;   in Loop: Header=BB124_153 Depth=1
	v_bfe_u32 v22, v90, 16, 1
	v_add3_u32 v22, v90, v22, s98
; %bb.180:                              ;   in Loop: Header=BB124_153 Depth=1
	s_andn2_saveexec_b64 s[80:81], s[80:81]
; %bb.181:                              ;   in Loop: Header=BB124_153 Depth=1
	v_or_b32_e32 v22, 0x10000, v90
	v_cmp_eq_u32_sdwa vcc, v90, v23 src0_sel:WORD_0 src1_sel:DWORD
	s_nop 1
	v_cndmask_b32_e32 v22, v22, v90, vcc
; %bb.182:                              ;   in Loop: Header=BB124_153 Depth=1
	s_or_b64 exec, exec, s[80:81]
	v_and_b32_e32 v90, 0x7f800000, v91
	v_cmp_ne_u32_e32 vcc, s97, v90
                                        ; implicit-def: $vgpr90
	s_and_saveexec_b64 s[80:81], vcc
	s_xor_b64 s[80:81], exec, s[80:81]
; %bb.183:                              ;   in Loop: Header=BB124_153 Depth=1
	v_bfe_u32 v90, v91, 16, 1
	v_add3_u32 v90, v91, v90, s98
                                        ; implicit-def: $vgpr91
; %bb.184:                              ;   in Loop: Header=BB124_153 Depth=1
	s_andn2_saveexec_b64 s[80:81], s[80:81]
; %bb.185:                              ;   in Loop: Header=BB124_153 Depth=1
	v_or_b32_e32 v90, 0x10000, v91
	v_cmp_eq_u32_sdwa vcc, v91, v23 src0_sel:WORD_0 src1_sel:DWORD
	s_nop 1
	v_cndmask_b32_e32 v90, v90, v91, vcc
; %bb.186:                              ;   in Loop: Header=BB124_153 Depth=1
	s_or_b64 exec, exec, s[80:81]
	v_perm_b32 v22, v90, v22, s99
	s_andn2_b64 vcc, exec, s[36:37]
	v_mov_b32_e32 v90, 0
	v_mov_b32_e32 v91, 0
	ds_write_b32 v110, v22 offset:592
	s_cbranch_vccnz .LBB124_189
; %bb.187:                              ;   in Loop: Header=BB124_153 Depth=1
	ds_read_b32 v22, v109 offset:12
	v_mov_b32_e32 v91, 0
	v_mov_b32_e32 v90, 0
	s_waitcnt lgkmcnt(0)
	v_cmp_gt_i32_e32 vcc, 0, v22
	s_cbranch_vccnz .LBB124_189
; %bb.188:                              ;   in Loop: Header=BB124_153 Depth=1
	v_mul_lo_u32 v22, v22, s73
	v_readlane_b32 s80, v113, 39
	s_nop 1
	v_add_u32_e32 v22, s80, v22
	v_add_u32_e32 v90, v22, v112
	v_ashrrev_i32_e32 v91, 31, v90
	v_lshl_add_u64 v[90:91], v[90:91], 2, v[20:21]
	global_load_dwordx2 v[90:91], v[90:91], off
.LBB124_189:                            ;   in Loop: Header=BB124_153 Depth=1
	s_waitcnt vmcnt(0)
	v_and_b32_e32 v22, 0x7f800000, v90
	v_cmp_ne_u32_e32 vcc, s97, v22
                                        ; implicit-def: $vgpr22
	s_and_saveexec_b64 s[80:81], vcc
	s_xor_b64 s[80:81], exec, s[80:81]
; %bb.190:                              ;   in Loop: Header=BB124_153 Depth=1
	v_bfe_u32 v22, v90, 16, 1
	v_add3_u32 v22, v90, v22, s98
; %bb.191:                              ;   in Loop: Header=BB124_153 Depth=1
	s_andn2_saveexec_b64 s[80:81], s[80:81]
; %bb.192:                              ;   in Loop: Header=BB124_153 Depth=1
	v_or_b32_e32 v22, 0x10000, v90
	v_cmp_eq_u32_sdwa vcc, v90, v23 src0_sel:WORD_0 src1_sel:DWORD
	s_nop 1
	v_cndmask_b32_e32 v22, v22, v90, vcc
; %bb.193:                              ;   in Loop: Header=BB124_153 Depth=1
	s_or_b64 exec, exec, s[80:81]
	v_and_b32_e32 v90, 0x7f800000, v91
	v_cmp_ne_u32_e32 vcc, s97, v90
                                        ; implicit-def: $vgpr90
	s_and_saveexec_b64 s[80:81], vcc
	s_xor_b64 s[80:81], exec, s[80:81]
; %bb.194:                              ;   in Loop: Header=BB124_153 Depth=1
	v_bfe_u32 v90, v91, 16, 1
	v_add3_u32 v90, v91, v90, s98
                                        ; implicit-def: $vgpr91
; %bb.195:                              ;   in Loop: Header=BB124_153 Depth=1
	s_andn2_saveexec_b64 s[80:81], s[80:81]
; %bb.196:                              ;   in Loop: Header=BB124_153 Depth=1
	v_or_b32_e32 v90, 0x10000, v91
	v_cmp_eq_u32_sdwa vcc, v91, v23 src0_sel:WORD_0 src1_sel:DWORD
	s_nop 1
	v_cndmask_b32_e32 v90, v90, v91, vcc
; %bb.197:                              ;   in Loop: Header=BB124_153 Depth=1
	s_or_b64 exec, exec, s[80:81]
	v_perm_b32 v22, v90, v22, s99
	s_andn2_b64 vcc, exec, s[38:39]
	v_mov_b32_e32 v90, 0
	v_mov_b32_e32 v91, 0
	ds_write_b32 v110, v22 offset:856
	s_cbranch_vccnz .LBB124_200
; %bb.198:                              ;   in Loop: Header=BB124_153 Depth=1
	ds_read_b32 v22, v109 offset:16
	v_mov_b32_e32 v91, 0
	v_mov_b32_e32 v90, 0
	s_waitcnt lgkmcnt(0)
	v_cmp_gt_i32_e32 vcc, 0, v22
	s_cbranch_vccnz .LBB124_200
; %bb.199:                              ;   in Loop: Header=BB124_153 Depth=1
	v_mul_lo_u32 v22, v22, s73
	v_readlane_b32 s80, v113, 38
	s_nop 1
	v_add_u32_e32 v22, s80, v22
	v_add_u32_e32 v90, v22, v112
	v_ashrrev_i32_e32 v91, 31, v90
	v_lshl_add_u64 v[90:91], v[90:91], 2, v[20:21]
	global_load_dwordx2 v[90:91], v[90:91], off
.LBB124_200:                            ;   in Loop: Header=BB124_153 Depth=1
	s_waitcnt vmcnt(0)
	v_and_b32_e32 v22, 0x7f800000, v90
	v_cmp_ne_u32_e32 vcc, s97, v22
                                        ; implicit-def: $vgpr22
	s_and_saveexec_b64 s[80:81], vcc
	s_xor_b64 s[80:81], exec, s[80:81]
; %bb.201:                              ;   in Loop: Header=BB124_153 Depth=1
	v_bfe_u32 v22, v90, 16, 1
	v_add3_u32 v22, v90, v22, s98
; %bb.202:                              ;   in Loop: Header=BB124_153 Depth=1
	s_andn2_saveexec_b64 s[80:81], s[80:81]
; %bb.203:                              ;   in Loop: Header=BB124_153 Depth=1
	v_or_b32_e32 v22, 0x10000, v90
	v_cmp_eq_u32_sdwa vcc, v90, v23 src0_sel:WORD_0 src1_sel:DWORD
	s_nop 1
	v_cndmask_b32_e32 v22, v22, v90, vcc
; %bb.204:                              ;   in Loop: Header=BB124_153 Depth=1
	s_or_b64 exec, exec, s[80:81]
	v_and_b32_e32 v90, 0x7f800000, v91
	v_cmp_ne_u32_e32 vcc, s97, v90
                                        ; implicit-def: $vgpr90
	s_and_saveexec_b64 s[80:81], vcc
	s_xor_b64 s[80:81], exec, s[80:81]
; %bb.205:                              ;   in Loop: Header=BB124_153 Depth=1
	v_bfe_u32 v90, v91, 16, 1
	v_add3_u32 v90, v91, v90, s98
                                        ; implicit-def: $vgpr91
; %bb.206:                              ;   in Loop: Header=BB124_153 Depth=1
	s_andn2_saveexec_b64 s[80:81], s[80:81]
; %bb.207:                              ;   in Loop: Header=BB124_153 Depth=1
	v_or_b32_e32 v90, 0x10000, v91
	v_cmp_eq_u32_sdwa vcc, v91, v23 src0_sel:WORD_0 src1_sel:DWORD
	s_nop 1
	v_cndmask_b32_e32 v90, v90, v91, vcc
; %bb.208:                              ;   in Loop: Header=BB124_153 Depth=1
	s_or_b64 exec, exec, s[80:81]
	v_perm_b32 v22, v90, v22, s99
	s_andn2_b64 vcc, exec, s[40:41]
	v_mov_b32_e32 v90, 0
	v_mov_b32_e32 v91, 0
	ds_write_b32 v110, v22 offset:1120
	s_cbranch_vccnz .LBB124_211
; %bb.209:                              ;   in Loop: Header=BB124_153 Depth=1
	ds_read_b32 v22, v109 offset:20
	v_mov_b32_e32 v91, 0
	v_mov_b32_e32 v90, 0
	s_waitcnt lgkmcnt(0)
	v_cmp_gt_i32_e32 vcc, 0, v22
	s_cbranch_vccnz .LBB124_211
; %bb.210:                              ;   in Loop: Header=BB124_153 Depth=1
	v_mul_lo_u32 v22, v22, s73
	v_readlane_b32 s80, v113, 41
	s_nop 1
	v_add_u32_e32 v22, s80, v22
	v_add_u32_e32 v90, v22, v112
	v_ashrrev_i32_e32 v91, 31, v90
	v_lshl_add_u64 v[90:91], v[90:91], 2, v[20:21]
	global_load_dwordx2 v[90:91], v[90:91], off
.LBB124_211:                            ;   in Loop: Header=BB124_153 Depth=1
	s_waitcnt vmcnt(0)
	v_and_b32_e32 v22, 0x7f800000, v90
	v_cmp_ne_u32_e32 vcc, s97, v22
                                        ; implicit-def: $vgpr22
	s_and_saveexec_b64 s[80:81], vcc
	s_xor_b64 s[80:81], exec, s[80:81]
; %bb.212:                              ;   in Loop: Header=BB124_153 Depth=1
	v_bfe_u32 v22, v90, 16, 1
	v_add3_u32 v22, v90, v22, s98
; %bb.213:                              ;   in Loop: Header=BB124_153 Depth=1
	s_andn2_saveexec_b64 s[80:81], s[80:81]
; %bb.214:                              ;   in Loop: Header=BB124_153 Depth=1
	v_or_b32_e32 v22, 0x10000, v90
	v_cmp_eq_u32_sdwa vcc, v90, v23 src0_sel:WORD_0 src1_sel:DWORD
	s_nop 1
	v_cndmask_b32_e32 v22, v22, v90, vcc
; %bb.215:                              ;   in Loop: Header=BB124_153 Depth=1
	s_or_b64 exec, exec, s[80:81]
	v_and_b32_e32 v90, 0x7f800000, v91
	v_cmp_ne_u32_e32 vcc, s97, v90
                                        ; implicit-def: $vgpr90
	s_and_saveexec_b64 s[80:81], vcc
	s_xor_b64 s[80:81], exec, s[80:81]
; %bb.216:                              ;   in Loop: Header=BB124_153 Depth=1
	v_bfe_u32 v90, v91, 16, 1
	v_add3_u32 v90, v91, v90, s98
                                        ; implicit-def: $vgpr91
; %bb.217:                              ;   in Loop: Header=BB124_153 Depth=1
	s_andn2_saveexec_b64 s[80:81], s[80:81]
; %bb.218:                              ;   in Loop: Header=BB124_153 Depth=1
	v_or_b32_e32 v90, 0x10000, v91
	v_cmp_eq_u32_sdwa vcc, v91, v23 src0_sel:WORD_0 src1_sel:DWORD
	s_nop 1
	v_cndmask_b32_e32 v90, v90, v91, vcc
; %bb.219:                              ;   in Loop: Header=BB124_153 Depth=1
	s_or_b64 exec, exec, s[80:81]
	v_perm_b32 v22, v90, v22, s99
	s_andn2_b64 vcc, exec, s[42:43]
	v_mov_b32_e32 v90, 0
	v_mov_b32_e32 v91, 0
	ds_write_b32 v110, v22 offset:1384
	s_cbranch_vccnz .LBB124_222
; %bb.220:                              ;   in Loop: Header=BB124_153 Depth=1
	ds_read_b32 v22, v109 offset:24
	v_mov_b32_e32 v91, 0
	v_mov_b32_e32 v90, 0
	s_waitcnt lgkmcnt(0)
	v_cmp_gt_i32_e32 vcc, 0, v22
	s_cbranch_vccnz .LBB124_222
; %bb.221:                              ;   in Loop: Header=BB124_153 Depth=1
	v_mul_lo_u32 v22, v22, s73
	v_readlane_b32 s80, v113, 42
	s_nop 1
	v_add_u32_e32 v22, s80, v22
	v_add_u32_e32 v90, v22, v112
	v_ashrrev_i32_e32 v91, 31, v90
	v_lshl_add_u64 v[90:91], v[90:91], 2, v[20:21]
	global_load_dwordx2 v[90:91], v[90:91], off
.LBB124_222:                            ;   in Loop: Header=BB124_153 Depth=1
	s_waitcnt vmcnt(0)
	v_and_b32_e32 v22, 0x7f800000, v90
	v_cmp_ne_u32_e32 vcc, s97, v22
                                        ; implicit-def: $vgpr22
	s_and_saveexec_b64 s[80:81], vcc
	s_xor_b64 s[80:81], exec, s[80:81]
; %bb.223:                              ;   in Loop: Header=BB124_153 Depth=1
	v_bfe_u32 v22, v90, 16, 1
	v_add3_u32 v22, v90, v22, s98
; %bb.224:                              ;   in Loop: Header=BB124_153 Depth=1
	s_andn2_saveexec_b64 s[80:81], s[80:81]
; %bb.225:                              ;   in Loop: Header=BB124_153 Depth=1
	v_or_b32_e32 v22, 0x10000, v90
	v_cmp_eq_u32_sdwa vcc, v90, v23 src0_sel:WORD_0 src1_sel:DWORD
	s_nop 1
	v_cndmask_b32_e32 v22, v22, v90, vcc
; %bb.226:                              ;   in Loop: Header=BB124_153 Depth=1
	s_or_b64 exec, exec, s[80:81]
	v_and_b32_e32 v90, 0x7f800000, v91
	v_cmp_ne_u32_e32 vcc, s97, v90
                                        ; implicit-def: $vgpr90
	s_and_saveexec_b64 s[80:81], vcc
	s_xor_b64 s[80:81], exec, s[80:81]
; %bb.227:                              ;   in Loop: Header=BB124_153 Depth=1
	v_bfe_u32 v90, v91, 16, 1
	v_add3_u32 v90, v91, v90, s98
                                        ; implicit-def: $vgpr91
; %bb.228:                              ;   in Loop: Header=BB124_153 Depth=1
	s_andn2_saveexec_b64 s[80:81], s[80:81]
; %bb.229:                              ;   in Loop: Header=BB124_153 Depth=1
	v_or_b32_e32 v90, 0x10000, v91
	v_cmp_eq_u32_sdwa vcc, v91, v23 src0_sel:WORD_0 src1_sel:DWORD
	s_nop 1
	v_cndmask_b32_e32 v90, v90, v91, vcc
; %bb.230:                              ;   in Loop: Header=BB124_153 Depth=1
	s_or_b64 exec, exec, s[80:81]
	v_perm_b32 v22, v90, v22, s99
	s_andn2_b64 vcc, exec, s[44:45]
	v_mov_b32_e32 v90, 0
	v_mov_b32_e32 v91, 0
	ds_write_b32 v110, v22 offset:1648
	s_cbranch_vccnz .LBB124_233
; %bb.231:                              ;   in Loop: Header=BB124_153 Depth=1
	ds_read_b32 v22, v109 offset:28
	v_mov_b32_e32 v91, 0
	v_mov_b32_e32 v90, 0
	s_waitcnt lgkmcnt(0)
	v_cmp_gt_i32_e32 vcc, 0, v22
	s_cbranch_vccnz .LBB124_233
; %bb.232:                              ;   in Loop: Header=BB124_153 Depth=1
	v_mul_lo_u32 v22, v22, s73
	v_readlane_b32 s80, v113, 48
	s_nop 1
	v_add_u32_e32 v22, s80, v22
	v_add_u32_e32 v90, v22, v112
	v_ashrrev_i32_e32 v91, 31, v90
	v_lshl_add_u64 v[90:91], v[90:91], 2, v[20:21]
	global_load_dwordx2 v[90:91], v[90:91], off
.LBB124_233:                            ;   in Loop: Header=BB124_153 Depth=1
	s_waitcnt vmcnt(0)
	v_and_b32_e32 v22, 0x7f800000, v90
	v_cmp_ne_u32_e32 vcc, s97, v22
                                        ; implicit-def: $vgpr22
	s_and_saveexec_b64 s[80:81], vcc
	s_xor_b64 s[80:81], exec, s[80:81]
; %bb.234:                              ;   in Loop: Header=BB124_153 Depth=1
	v_bfe_u32 v22, v90, 16, 1
	v_add3_u32 v22, v90, v22, s98
; %bb.235:                              ;   in Loop: Header=BB124_153 Depth=1
	s_andn2_saveexec_b64 s[80:81], s[80:81]
; %bb.236:                              ;   in Loop: Header=BB124_153 Depth=1
	v_or_b32_e32 v22, 0x10000, v90
	v_cmp_eq_u32_sdwa vcc, v90, v23 src0_sel:WORD_0 src1_sel:DWORD
	s_nop 1
	v_cndmask_b32_e32 v22, v22, v90, vcc
; %bb.237:                              ;   in Loop: Header=BB124_153 Depth=1
	s_or_b64 exec, exec, s[80:81]
	v_and_b32_e32 v90, 0x7f800000, v91
	v_cmp_ne_u32_e32 vcc, s97, v90
                                        ; implicit-def: $vgpr90
	s_and_saveexec_b64 s[80:81], vcc
	s_xor_b64 s[80:81], exec, s[80:81]
; %bb.238:                              ;   in Loop: Header=BB124_153 Depth=1
	v_bfe_u32 v90, v91, 16, 1
	v_add3_u32 v90, v91, v90, s98
                                        ; implicit-def: $vgpr91
; %bb.239:                              ;   in Loop: Header=BB124_153 Depth=1
	s_andn2_saveexec_b64 s[80:81], s[80:81]
; %bb.240:                              ;   in Loop: Header=BB124_153 Depth=1
	v_or_b32_e32 v90, 0x10000, v91
	v_cmp_eq_u32_sdwa vcc, v91, v23 src0_sel:WORD_0 src1_sel:DWORD
	s_nop 1
	v_cndmask_b32_e32 v90, v90, v91, vcc
; %bb.241:                              ;   in Loop: Header=BB124_153 Depth=1
	s_or_b64 exec, exec, s[80:81]
	v_perm_b32 v22, v90, v22, s99
	s_andn2_b64 vcc, exec, s[46:47]
	v_mov_b32_e32 v90, 0
	v_mov_b32_e32 v91, 0
	ds_write_b32 v110, v22 offset:1912
	s_cbranch_vccnz .LBB124_244
; %bb.242:                              ;   in Loop: Header=BB124_153 Depth=1
	ds_read_b32 v22, v109 offset:32
	v_mov_b32_e32 v91, 0
	v_mov_b32_e32 v90, 0
	s_waitcnt lgkmcnt(0)
	v_cmp_gt_i32_e32 vcc, 0, v22
	s_cbranch_vccnz .LBB124_244
; %bb.243:                              ;   in Loop: Header=BB124_153 Depth=1
	v_mul_lo_u32 v22, v22, s73
	v_readlane_b32 s80, v113, 40
	s_nop 1
	v_add_u32_e32 v22, s80, v22
	v_add_u32_e32 v90, v22, v112
	v_ashrrev_i32_e32 v91, 31, v90
	v_lshl_add_u64 v[90:91], v[90:91], 2, v[20:21]
	global_load_dwordx2 v[90:91], v[90:91], off
.LBB124_244:                            ;   in Loop: Header=BB124_153 Depth=1
	s_waitcnt vmcnt(0)
	v_and_b32_e32 v22, 0x7f800000, v90
	v_cmp_ne_u32_e32 vcc, s97, v22
                                        ; implicit-def: $vgpr22
	s_and_saveexec_b64 s[80:81], vcc
	s_xor_b64 s[80:81], exec, s[80:81]
; %bb.245:                              ;   in Loop: Header=BB124_153 Depth=1
	v_bfe_u32 v22, v90, 16, 1
	v_add3_u32 v22, v90, v22, s98
; %bb.246:                              ;   in Loop: Header=BB124_153 Depth=1
	s_andn2_saveexec_b64 s[80:81], s[80:81]
; %bb.247:                              ;   in Loop: Header=BB124_153 Depth=1
	v_or_b32_e32 v22, 0x10000, v90
	v_cmp_eq_u32_sdwa vcc, v90, v23 src0_sel:WORD_0 src1_sel:DWORD
	s_nop 1
	v_cndmask_b32_e32 v22, v22, v90, vcc
; %bb.248:                              ;   in Loop: Header=BB124_153 Depth=1
	s_or_b64 exec, exec, s[80:81]
	v_and_b32_e32 v90, 0x7f800000, v91
	v_cmp_ne_u32_e32 vcc, s97, v90
                                        ; implicit-def: $vgpr90
	s_and_saveexec_b64 s[80:81], vcc
	s_xor_b64 s[80:81], exec, s[80:81]
; %bb.249:                              ;   in Loop: Header=BB124_153 Depth=1
	v_bfe_u32 v90, v91, 16, 1
	v_add3_u32 v90, v91, v90, s98
                                        ; implicit-def: $vgpr91
; %bb.250:                              ;   in Loop: Header=BB124_153 Depth=1
	s_andn2_saveexec_b64 s[80:81], s[80:81]
; %bb.251:                              ;   in Loop: Header=BB124_153 Depth=1
	v_or_b32_e32 v90, 0x10000, v91
	v_cmp_eq_u32_sdwa vcc, v91, v23 src0_sel:WORD_0 src1_sel:DWORD
	s_nop 1
	v_cndmask_b32_e32 v90, v90, v91, vcc
; %bb.252:                              ;   in Loop: Header=BB124_153 Depth=1
	s_or_b64 exec, exec, s[80:81]
	v_perm_b32 v22, v90, v22, s99
	s_andn2_b64 vcc, exec, s[48:49]
	v_mov_b32_e32 v90, 0
	v_mov_b32_e32 v91, 0
	ds_write_b32 v110, v22 offset:2176
	s_cbranch_vccnz .LBB124_255
; %bb.253:                              ;   in Loop: Header=BB124_153 Depth=1
	ds_read_b32 v22, v109 offset:36
	v_mov_b32_e32 v91, 0
	v_mov_b32_e32 v90, 0
	s_waitcnt lgkmcnt(0)
	v_cmp_gt_i32_e32 vcc, 0, v22
	s_cbranch_vccnz .LBB124_255
; %bb.254:                              ;   in Loop: Header=BB124_153 Depth=1
	v_mul_lo_u32 v22, v22, s73
	v_readlane_b32 s80, v113, 47
	s_nop 1
	v_add_u32_e32 v22, s80, v22
	v_add_u32_e32 v90, v22, v112
	v_ashrrev_i32_e32 v91, 31, v90
	v_lshl_add_u64 v[90:91], v[90:91], 2, v[20:21]
	global_load_dwordx2 v[90:91], v[90:91], off
.LBB124_255:                            ;   in Loop: Header=BB124_153 Depth=1
	s_waitcnt vmcnt(0)
	v_and_b32_e32 v22, 0x7f800000, v90
	v_cmp_ne_u32_e32 vcc, s97, v22
                                        ; implicit-def: $vgpr22
	s_and_saveexec_b64 s[80:81], vcc
	s_xor_b64 s[80:81], exec, s[80:81]
; %bb.256:                              ;   in Loop: Header=BB124_153 Depth=1
	v_bfe_u32 v22, v90, 16, 1
	v_add3_u32 v22, v90, v22, s98
; %bb.257:                              ;   in Loop: Header=BB124_153 Depth=1
	s_andn2_saveexec_b64 s[80:81], s[80:81]
; %bb.258:                              ;   in Loop: Header=BB124_153 Depth=1
	v_or_b32_e32 v22, 0x10000, v90
	v_cmp_eq_u32_sdwa vcc, v90, v23 src0_sel:WORD_0 src1_sel:DWORD
	s_nop 1
	v_cndmask_b32_e32 v22, v22, v90, vcc
; %bb.259:                              ;   in Loop: Header=BB124_153 Depth=1
	s_or_b64 exec, exec, s[80:81]
	v_and_b32_e32 v90, 0x7f800000, v91
	v_cmp_ne_u32_e32 vcc, s97, v90
                                        ; implicit-def: $vgpr90
	s_and_saveexec_b64 s[80:81], vcc
	s_xor_b64 s[80:81], exec, s[80:81]
; %bb.260:                              ;   in Loop: Header=BB124_153 Depth=1
	v_bfe_u32 v90, v91, 16, 1
	v_add3_u32 v90, v91, v90, s98
                                        ; implicit-def: $vgpr91
; %bb.261:                              ;   in Loop: Header=BB124_153 Depth=1
	s_andn2_saveexec_b64 s[80:81], s[80:81]
; %bb.262:                              ;   in Loop: Header=BB124_153 Depth=1
	v_or_b32_e32 v90, 0x10000, v91
	v_cmp_eq_u32_sdwa vcc, v91, v23 src0_sel:WORD_0 src1_sel:DWORD
	s_nop 1
	v_cndmask_b32_e32 v90, v90, v91, vcc
; %bb.263:                              ;   in Loop: Header=BB124_153 Depth=1
	s_or_b64 exec, exec, s[80:81]
	v_perm_b32 v22, v90, v22, s99
	s_andn2_b64 vcc, exec, s[50:51]
	v_mov_b32_e32 v90, 0
	v_mov_b32_e32 v91, 0
	ds_write_b32 v110, v22 offset:2440
	s_cbranch_vccnz .LBB124_266
; %bb.264:                              ;   in Loop: Header=BB124_153 Depth=1
	ds_read_b32 v22, v109 offset:40
	v_mov_b32_e32 v91, 0
	v_mov_b32_e32 v90, 0
	s_waitcnt lgkmcnt(0)
	v_cmp_gt_i32_e32 vcc, 0, v22
	s_cbranch_vccnz .LBB124_266
; %bb.265:                              ;   in Loop: Header=BB124_153 Depth=1
	v_mul_lo_u32 v22, v22, s73
	v_readlane_b32 s80, v113, 46
	s_nop 1
	v_add_u32_e32 v22, s80, v22
	v_add_u32_e32 v90, v22, v112
	v_ashrrev_i32_e32 v91, 31, v90
	v_lshl_add_u64 v[90:91], v[90:91], 2, v[20:21]
	global_load_dwordx2 v[90:91], v[90:91], off
.LBB124_266:                            ;   in Loop: Header=BB124_153 Depth=1
	s_waitcnt vmcnt(0)
	v_and_b32_e32 v22, 0x7f800000, v90
	v_cmp_ne_u32_e32 vcc, s97, v22
                                        ; implicit-def: $vgpr22
	s_and_saveexec_b64 s[80:81], vcc
	s_xor_b64 s[80:81], exec, s[80:81]
; %bb.267:                              ;   in Loop: Header=BB124_153 Depth=1
	v_bfe_u32 v22, v90, 16, 1
	v_add3_u32 v22, v90, v22, s98
; %bb.268:                              ;   in Loop: Header=BB124_153 Depth=1
	s_andn2_saveexec_b64 s[80:81], s[80:81]
; %bb.269:                              ;   in Loop: Header=BB124_153 Depth=1
	v_or_b32_e32 v22, 0x10000, v90
	v_cmp_eq_u32_sdwa vcc, v90, v23 src0_sel:WORD_0 src1_sel:DWORD
	s_nop 1
	v_cndmask_b32_e32 v22, v22, v90, vcc
; %bb.270:                              ;   in Loop: Header=BB124_153 Depth=1
	s_or_b64 exec, exec, s[80:81]
	v_and_b32_e32 v90, 0x7f800000, v91
	v_cmp_ne_u32_e32 vcc, s97, v90
                                        ; implicit-def: $vgpr90
	s_and_saveexec_b64 s[80:81], vcc
	s_xor_b64 s[80:81], exec, s[80:81]
; %bb.271:                              ;   in Loop: Header=BB124_153 Depth=1
	v_bfe_u32 v90, v91, 16, 1
	v_add3_u32 v90, v91, v90, s98
                                        ; implicit-def: $vgpr91
; %bb.272:                              ;   in Loop: Header=BB124_153 Depth=1
	s_andn2_saveexec_b64 s[80:81], s[80:81]
; %bb.273:                              ;   in Loop: Header=BB124_153 Depth=1
	v_or_b32_e32 v90, 0x10000, v91
	v_cmp_eq_u32_sdwa vcc, v91, v23 src0_sel:WORD_0 src1_sel:DWORD
	s_nop 1
	v_cndmask_b32_e32 v90, v90, v91, vcc
; %bb.274:                              ;   in Loop: Header=BB124_153 Depth=1
	s_or_b64 exec, exec, s[80:81]
	v_perm_b32 v22, v90, v22, s99
	s_andn2_b64 vcc, exec, s[52:53]
	v_mov_b32_e32 v90, 0
	v_mov_b32_e32 v91, 0
	ds_write_b32 v110, v22 offset:2704
	s_cbranch_vccnz .LBB124_277
; %bb.275:                              ;   in Loop: Header=BB124_153 Depth=1
	ds_read_b32 v22, v109 offset:44
	v_mov_b32_e32 v91, 0
	v_mov_b32_e32 v90, 0
	s_waitcnt lgkmcnt(0)
	v_cmp_gt_i32_e32 vcc, 0, v22
	s_cbranch_vccnz .LBB124_277
; %bb.276:                              ;   in Loop: Header=BB124_153 Depth=1
	v_mul_lo_u32 v22, v22, s73
	v_readlane_b32 s80, v113, 45
	s_nop 1
	v_add_u32_e32 v22, s80, v22
	v_add_u32_e32 v90, v22, v112
	v_ashrrev_i32_e32 v91, 31, v90
	v_lshl_add_u64 v[90:91], v[90:91], 2, v[20:21]
	global_load_dwordx2 v[90:91], v[90:91], off
.LBB124_277:                            ;   in Loop: Header=BB124_153 Depth=1
	s_waitcnt vmcnt(0)
	v_and_b32_e32 v22, 0x7f800000, v90
	v_cmp_ne_u32_e32 vcc, s97, v22
                                        ; implicit-def: $vgpr22
	s_and_saveexec_b64 s[80:81], vcc
	s_xor_b64 s[80:81], exec, s[80:81]
; %bb.278:                              ;   in Loop: Header=BB124_153 Depth=1
	v_bfe_u32 v22, v90, 16, 1
	v_add3_u32 v22, v90, v22, s98
; %bb.279:                              ;   in Loop: Header=BB124_153 Depth=1
	s_andn2_saveexec_b64 s[80:81], s[80:81]
; %bb.280:                              ;   in Loop: Header=BB124_153 Depth=1
	v_or_b32_e32 v22, 0x10000, v90
	v_cmp_eq_u32_sdwa vcc, v90, v23 src0_sel:WORD_0 src1_sel:DWORD
	s_nop 1
	v_cndmask_b32_e32 v22, v22, v90, vcc
; %bb.281:                              ;   in Loop: Header=BB124_153 Depth=1
	s_or_b64 exec, exec, s[80:81]
	v_and_b32_e32 v90, 0x7f800000, v91
	v_cmp_ne_u32_e32 vcc, s97, v90
                                        ; implicit-def: $vgpr90
	s_and_saveexec_b64 s[80:81], vcc
	s_xor_b64 s[80:81], exec, s[80:81]
; %bb.282:                              ;   in Loop: Header=BB124_153 Depth=1
	v_bfe_u32 v90, v91, 16, 1
	v_add3_u32 v90, v91, v90, s98
                                        ; implicit-def: $vgpr91
; %bb.283:                              ;   in Loop: Header=BB124_153 Depth=1
	s_andn2_saveexec_b64 s[80:81], s[80:81]
; %bb.284:                              ;   in Loop: Header=BB124_153 Depth=1
	v_or_b32_e32 v90, 0x10000, v91
	v_cmp_eq_u32_sdwa vcc, v91, v23 src0_sel:WORD_0 src1_sel:DWORD
	s_nop 1
	v_cndmask_b32_e32 v90, v90, v91, vcc
; %bb.285:                              ;   in Loop: Header=BB124_153 Depth=1
	s_or_b64 exec, exec, s[80:81]
	v_perm_b32 v22, v90, v22, s99
	s_andn2_b64 vcc, exec, s[54:55]
	v_mov_b32_e32 v90, 0
	v_mov_b32_e32 v91, 0
	ds_write_b32 v110, v22 offset:2968
	s_cbranch_vccnz .LBB124_288
; %bb.286:                              ;   in Loop: Header=BB124_153 Depth=1
	ds_read_b32 v22, v109 offset:48
	v_mov_b32_e32 v91, 0
	v_mov_b32_e32 v90, 0
	s_waitcnt lgkmcnt(0)
	v_cmp_gt_i32_e32 vcc, 0, v22
	s_cbranch_vccnz .LBB124_288
; %bb.287:                              ;   in Loop: Header=BB124_153 Depth=1
	v_mul_lo_u32 v22, v22, s73
	v_readlane_b32 s80, v113, 44
	s_nop 1
	v_add_u32_e32 v22, s80, v22
	v_add_u32_e32 v90, v22, v112
	v_ashrrev_i32_e32 v91, 31, v90
	v_lshl_add_u64 v[90:91], v[90:91], 2, v[20:21]
	global_load_dwordx2 v[90:91], v[90:91], off
.LBB124_288:                            ;   in Loop: Header=BB124_153 Depth=1
	s_waitcnt vmcnt(0)
	v_and_b32_e32 v22, 0x7f800000, v90
	v_cmp_ne_u32_e32 vcc, s97, v22
                                        ; implicit-def: $vgpr22
	s_and_saveexec_b64 s[80:81], vcc
	s_xor_b64 s[80:81], exec, s[80:81]
; %bb.289:                              ;   in Loop: Header=BB124_153 Depth=1
	v_bfe_u32 v22, v90, 16, 1
	v_add3_u32 v22, v90, v22, s98
; %bb.290:                              ;   in Loop: Header=BB124_153 Depth=1
	s_andn2_saveexec_b64 s[80:81], s[80:81]
; %bb.291:                              ;   in Loop: Header=BB124_153 Depth=1
	v_or_b32_e32 v22, 0x10000, v90
	v_cmp_eq_u32_sdwa vcc, v90, v23 src0_sel:WORD_0 src1_sel:DWORD
	s_nop 1
	v_cndmask_b32_e32 v22, v22, v90, vcc
; %bb.292:                              ;   in Loop: Header=BB124_153 Depth=1
	s_or_b64 exec, exec, s[80:81]
	v_and_b32_e32 v90, 0x7f800000, v91
	v_cmp_ne_u32_e32 vcc, s97, v90
                                        ; implicit-def: $vgpr90
	s_and_saveexec_b64 s[80:81], vcc
	s_xor_b64 s[80:81], exec, s[80:81]
; %bb.293:                              ;   in Loop: Header=BB124_153 Depth=1
	v_bfe_u32 v90, v91, 16, 1
	v_add3_u32 v90, v91, v90, s98
                                        ; implicit-def: $vgpr91
; %bb.294:                              ;   in Loop: Header=BB124_153 Depth=1
	s_andn2_saveexec_b64 s[80:81], s[80:81]
; %bb.295:                              ;   in Loop: Header=BB124_153 Depth=1
	v_or_b32_e32 v90, 0x10000, v91
	v_cmp_eq_u32_sdwa vcc, v91, v23 src0_sel:WORD_0 src1_sel:DWORD
	s_nop 1
	v_cndmask_b32_e32 v90, v90, v91, vcc
; %bb.296:                              ;   in Loop: Header=BB124_153 Depth=1
	s_or_b64 exec, exec, s[80:81]
	v_perm_b32 v22, v90, v22, s99
	s_andn2_b64 vcc, exec, s[56:57]
	v_mov_b32_e32 v90, 0
	v_mov_b32_e32 v91, 0
	ds_write_b32 v110, v22 offset:3232
	s_cbranch_vccnz .LBB124_299
; %bb.297:                              ;   in Loop: Header=BB124_153 Depth=1
	ds_read_b32 v22, v109 offset:52
	v_mov_b32_e32 v91, 0
	v_mov_b32_e32 v90, 0
	s_waitcnt lgkmcnt(0)
	v_cmp_gt_i32_e32 vcc, 0, v22
	s_cbranch_vccnz .LBB124_299
; %bb.298:                              ;   in Loop: Header=BB124_153 Depth=1
	v_mul_lo_u32 v22, v22, s73
	v_readlane_b32 s80, v113, 43
	s_nop 1
	v_add_u32_e32 v22, s80, v22
	v_add_u32_e32 v90, v22, v112
	v_ashrrev_i32_e32 v91, 31, v90
	v_lshl_add_u64 v[90:91], v[90:91], 2, v[20:21]
	global_load_dwordx2 v[90:91], v[90:91], off
.LBB124_299:                            ;   in Loop: Header=BB124_153 Depth=1
	s_waitcnt vmcnt(0)
	v_and_b32_e32 v22, 0x7f800000, v90
	v_cmp_ne_u32_e32 vcc, s97, v22
                                        ; implicit-def: $vgpr22
	s_and_saveexec_b64 s[80:81], vcc
	s_xor_b64 s[80:81], exec, s[80:81]
; %bb.300:                              ;   in Loop: Header=BB124_153 Depth=1
	v_bfe_u32 v22, v90, 16, 1
	v_add3_u32 v22, v90, v22, s98
; %bb.301:                              ;   in Loop: Header=BB124_153 Depth=1
	s_andn2_saveexec_b64 s[80:81], s[80:81]
; %bb.302:                              ;   in Loop: Header=BB124_153 Depth=1
	v_or_b32_e32 v22, 0x10000, v90
	v_cmp_eq_u32_sdwa vcc, v90, v23 src0_sel:WORD_0 src1_sel:DWORD
	s_nop 1
	v_cndmask_b32_e32 v22, v22, v90, vcc
; %bb.303:                              ;   in Loop: Header=BB124_153 Depth=1
	s_or_b64 exec, exec, s[80:81]
	v_and_b32_e32 v90, 0x7f800000, v91
	v_cmp_ne_u32_e32 vcc, s97, v90
                                        ; implicit-def: $vgpr90
	s_and_saveexec_b64 s[80:81], vcc
	s_xor_b64 s[80:81], exec, s[80:81]
; %bb.304:                              ;   in Loop: Header=BB124_153 Depth=1
	v_bfe_u32 v90, v91, 16, 1
	v_add3_u32 v90, v91, v90, s98
                                        ; implicit-def: $vgpr91
; %bb.305:                              ;   in Loop: Header=BB124_153 Depth=1
	s_andn2_saveexec_b64 s[80:81], s[80:81]
	s_cbranch_execz .LBB124_152
; %bb.306:                              ;   in Loop: Header=BB124_153 Depth=1
	v_or_b32_e32 v90, 0x10000, v91
	v_cmp_eq_u32_sdwa vcc, v91, v23 src0_sel:WORD_0 src1_sel:DWORD
	s_nop 1
	v_cndmask_b32_e32 v90, v90, v91, vcc
	s_branch .LBB124_152
.LBB124_307:
	s_or_b64 exec, exec, s[66:67]
	v_readlane_b32 s44, v113, 30
	v_readlane_b32 s12, v113, 34
	;; [unrolled: 1-line block ×8, first 2 shown]
.LBB124_308:
	v_readlane_b32 s0, v113, 28
	v_readlane_b32 s1, v113, 29
	s_or_b64 exec, exec, s[0:1]
	s_movk_i32 s0, 0x100
	v_lshlrev_b32_e32 v0, 2, v106
	v_add3_u32 v0, s0, v108, v0
	v_and_b32_e32 v2, 0x3f0, v16
	v_add_u32_e32 v3, v0, v2
	ds_write2_b32 v3, a12, a13 offset0:16 offset1:17
	v_or_b32_e32 v3, 12, v16
	v_add_u32_e32 v1, 64, v0
	v_and_b32_e32 v3, 0x3fc, v3
	v_add_u32_e32 v2, v1, v2
	v_add_u32_e32 v0, v0, v3
	ds_write_b32 v2, a14 offset:8
	ds_write_b32 v0, a15 offset:64
	ds_write2_b32 v2, a8, a9 offset0:16 offset1:17
	ds_write_b32 v2, a10 offset:72
	v_add_u32_e32 v0, v1, v3
	ds_write_b32 v0, a11 offset:64
	ds_write2_b32 v2, a4, a5 offset0:32 offset1:33
	ds_write_b32 v2, a6 offset:136
	ds_write_b32 v0, a7 offset:128
	ds_write2_b32 v2, a0, a1 offset0:48 offset1:49
	ds_write_b32 v2, a2 offset:200
	ds_write_b32 v0, a3 offset:192
	v_mov_b32_e32 v0, 0x100
	v_lshl_add_u32 v3, v16, 2, v0
	s_movk_i32 s0, 0x108
	v_mad_u32_u24 v1, v17, s0, v3
	ds_read_b32 v4, v1 offset:64
	v_cmp_gt_u32_e32 vcc, 14, v17
	v_mov_b32_e32 v5, -1
	s_and_saveexec_b64 s[0:1], vcc
	s_cbranch_execz .LBB124_310
; %bb.309:
	v_lshl_add_u32 v0, v17, 2, v0
	ds_read_b32 v5, v0
.LBB124_310:
	s_or_b64 exec, exec, s[0:1]
	s_mul_hi_i32 s1, s14, s33
	s_mul_i32 s0, s14, s33
	s_lshl_b64 s[0:1], s[0:1], 2
	v_readlane_b32 s2, v113, 26
	v_mul_hi_i32 v1, v92, s69
	v_mul_lo_u32 v0, v92, s69
	v_readlane_b32 s3, v113, 27
	s_add_u32 s0, s2, s0
	s_addc_u32 s1, s3, s1
	v_lshlrev_b64 v[0:1], 2, v[0:1]
	s_waitcnt lgkmcnt(0)
	v_cmp_lt_i32_e32 vcc, -1, v5
	v_mul_u32_u24_e32 v6, 0x108, v17
	v_add_u32_e32 v2, s8, v16
	v_lshl_add_u64 v[0:1], s[0:1], 0, v[0:1]
	s_and_b64 s[2:3], vcc, s[44:45]
	s_and_saveexec_b64 s[0:1], s[2:3]
	s_cbranch_execz .LBB124_312
; %bb.311:
	v_add_f32_e32 v7, 0, v4
	v_mul_lo_u32 v4, v5, s74
	v_mul_lo_u32 v5, v17, s69
	v_add3_u32 v4, v2, v5, v4
	v_mov_b32_e32 v5, 0
	v_lshl_add_u64 v[4:5], v[4:5], 2, v[0:1]
	global_store_dword v[4:5], v7, off
.LBB124_312:
	s_or_b64 exec, exec, s[0:1]
	v_add_u32_e32 v3, v6, v3
	ds_read_b32 v4, v3 offset:328
	v_cmp_gt_u32_e32 vcc, 13, v17
	v_mov_b32_e32 v5, -1
	s_and_saveexec_b64 s[0:1], vcc
	s_cbranch_execz .LBB124_314
; %bb.313:
	v_mov_b32_e32 v5, 0x100
	v_lshl_add_u32 v5, v17, 2, v5
	ds_read_b32 v5, v5 offset:4
.LBB124_314:
	s_or_b64 exec, exec, s[0:1]
	v_readlane_b32 s0, v113, 0
	s_waitcnt lgkmcnt(0)
	v_cmp_lt_i32_e32 vcc, -1, v5
	v_readlane_b32 s1, v113, 1
	s_and_b64 s[2:3], vcc, s[0:1]
	s_and_saveexec_b64 s[0:1], s[2:3]
	s_cbranch_execz .LBB124_316
; %bb.315:
	v_add_f32_e32 v6, 0, v4
	v_mul_lo_u32 v4, v5, s74
	v_mul_lo_u32 v5, v93, s69
	v_add3_u32 v4, v2, v5, v4
	v_mov_b32_e32 v5, 0
	v_lshl_add_u64 v[4:5], v[4:5], 2, v[0:1]
	global_store_dword v[4:5], v6, off
.LBB124_316:
	s_or_b64 exec, exec, s[0:1]
	ds_read_b32 v4, v3 offset:592
	v_cmp_gt_u32_e32 vcc, 12, v17
	v_mov_b32_e32 v5, -1
	s_and_saveexec_b64 s[0:1], vcc
	s_cbranch_execz .LBB124_318
; %bb.317:
	v_mov_b32_e32 v5, 0x100
	v_lshl_add_u32 v5, v17, 2, v5
	ds_read_b32 v5, v5 offset:8
.LBB124_318:
	s_or_b64 exec, exec, s[0:1]
	v_readlane_b32 s0, v113, 2
	s_waitcnt lgkmcnt(0)
	v_cmp_lt_i32_e32 vcc, -1, v5
	v_readlane_b32 s1, v113, 3
	s_and_b64 s[2:3], vcc, s[0:1]
	s_and_saveexec_b64 s[0:1], s[2:3]
	s_cbranch_execz .LBB124_320
; %bb.319:
	v_add_f32_e32 v6, 0, v4
	v_mul_lo_u32 v4, v5, s74
	v_mul_lo_u32 v5, v94, s69
	v_add3_u32 v4, v2, v5, v4
	v_mov_b32_e32 v5, 0
	v_lshl_add_u64 v[4:5], v[4:5], 2, v[0:1]
	global_store_dword v[4:5], v6, off
.LBB124_320:
	s_or_b64 exec, exec, s[0:1]
	;; [unrolled: 28-line block ×12, first 2 shown]
	ds_read_b32 v3, v3 offset:3496
	v_cmp_eq_u32_e32 vcc, 0, v17
	v_mov_b32_e32 v4, -1
	s_and_saveexec_b64 s[0:1], vcc
	s_cbranch_execz .LBB124_362
; %bb.361:
	v_mov_b32_e32 v4, 0x100
	ds_read_b32 v4, v4 offset:52
.LBB124_362:
	s_or_b64 exec, exec, s[0:1]
	v_readlane_b32 s0, v113, 24
	s_waitcnt lgkmcnt(0)
	v_cmp_lt_i32_e32 vcc, -1, v4
	v_readlane_b32 s1, v113, 25
	s_and_b64 s[0:1], vcc, s[0:1]
	s_and_saveexec_b64 s[2:3], s[0:1]
	s_cbranch_execz .LBB124_364
; %bb.363:
	v_add_f32_e32 v5, 0, v3
	v_mul_lo_u32 v3, v4, s74
	v_mul_lo_u32 v4, v105, s69
	v_add3_u32 v2, v2, v4, v3
	v_mov_b32_e32 v3, 0
	v_lshl_add_u64 v[0:1], v[2:3], 2, v[0:1]
	global_store_dword v[0:1], v5, off
.LBB124_364:
	s_endpgm
	.section	.rodata,"a",@progbits
	.p2align	6, 0x0
	.amdhsa_kernel _ZL9mul_mat_fI15__hip_bfloat162Li64ELi14ELi1ELb1EEvPKT_PKfPKiPfiiiiiiiiiiiiiiii
		.amdhsa_group_segment_fixed_size 256
		.amdhsa_private_segment_fixed_size 0
		.amdhsa_kernarg_size 352
		.amdhsa_user_sgpr_count 2
		.amdhsa_user_sgpr_dispatch_ptr 0
		.amdhsa_user_sgpr_queue_ptr 0
		.amdhsa_user_sgpr_kernarg_segment_ptr 1
		.amdhsa_user_sgpr_dispatch_id 0
		.amdhsa_user_sgpr_kernarg_preload_length 0
		.amdhsa_user_sgpr_kernarg_preload_offset 0
		.amdhsa_user_sgpr_private_segment_size 0
		.amdhsa_uses_dynamic_stack 0
		.amdhsa_enable_private_segment 0
		.amdhsa_system_sgpr_workgroup_id_x 1
		.amdhsa_system_sgpr_workgroup_id_y 1
		.amdhsa_system_sgpr_workgroup_id_z 1
		.amdhsa_system_sgpr_workgroup_info 0
		.amdhsa_system_vgpr_workitem_id 2
		.amdhsa_next_free_vgpr 144
		.amdhsa_next_free_sgpr 100
		.amdhsa_accum_offset 120
		.amdhsa_reserve_vcc 1
		.amdhsa_float_round_mode_32 0
		.amdhsa_float_round_mode_16_64 0
		.amdhsa_float_denorm_mode_32 3
		.amdhsa_float_denorm_mode_16_64 3
		.amdhsa_dx10_clamp 1
		.amdhsa_ieee_mode 1
		.amdhsa_fp16_overflow 0
		.amdhsa_tg_split 0
		.amdhsa_exception_fp_ieee_invalid_op 0
		.amdhsa_exception_fp_denorm_src 0
		.amdhsa_exception_fp_ieee_div_zero 0
		.amdhsa_exception_fp_ieee_overflow 0
		.amdhsa_exception_fp_ieee_underflow 0
		.amdhsa_exception_fp_ieee_inexact 0
		.amdhsa_exception_int_div_zero 0
	.end_amdhsa_kernel
	.section	.text._ZL9mul_mat_fI15__hip_bfloat162Li64ELi14ELi1ELb1EEvPKT_PKfPKiPfiiiiiiiiiiiiiiii,"axG",@progbits,_ZL9mul_mat_fI15__hip_bfloat162Li64ELi14ELi1ELb1EEvPKT_PKfPKiPfiiiiiiiiiiiiiiii,comdat
.Lfunc_end124:
	.size	_ZL9mul_mat_fI15__hip_bfloat162Li64ELi14ELi1ELb1EEvPKT_PKfPKiPfiiiiiiiiiiiiiiii, .Lfunc_end124-_ZL9mul_mat_fI15__hip_bfloat162Li64ELi14ELi1ELb1EEvPKT_PKfPKiPfiiiiiiiiiiiiiiii
                                        ; -- End function
	.section	.AMDGPU.csdata,"",@progbits
; Kernel info:
; codeLenInByte = 15144
; NumSgprs: 106
; NumVgprs: 118
; NumAgprs: 24
; TotalNumVgprs: 144
; ScratchSize: 0
; MemoryBound: 0
; FloatMode: 240
; IeeeMode: 1
; LDSByteSize: 256 bytes/workgroup (compile time only)
; SGPRBlocks: 13
; VGPRBlocks: 17
; NumSGPRsForWavesPerEU: 106
; NumVGPRsForWavesPerEU: 144
; AccumOffset: 120
; Occupancy: 3
; WaveLimiterHint : 0
; COMPUTE_PGM_RSRC2:SCRATCH_EN: 0
; COMPUTE_PGM_RSRC2:USER_SGPR: 2
; COMPUTE_PGM_RSRC2:TRAP_HANDLER: 0
; COMPUTE_PGM_RSRC2:TGID_X_EN: 1
; COMPUTE_PGM_RSRC2:TGID_Y_EN: 1
; COMPUTE_PGM_RSRC2:TGID_Z_EN: 1
; COMPUTE_PGM_RSRC2:TIDIG_COMP_CNT: 2
; COMPUTE_PGM_RSRC3_GFX90A:ACCUM_OFFSET: 29
; COMPUTE_PGM_RSRC3_GFX90A:TG_SPLIT: 0
	.section	.text._ZL9mul_mat_fI15__hip_bfloat162Li64ELi14ELi1ELb0EEvPKT_PKfPKiPfiiiiiiiiiiiiiiii,"axG",@progbits,_ZL9mul_mat_fI15__hip_bfloat162Li64ELi14ELi1ELb0EEvPKT_PKfPKiPfiiiiiiiiiiiiiiii,comdat
	.globl	_ZL9mul_mat_fI15__hip_bfloat162Li64ELi14ELi1ELb0EEvPKT_PKfPKiPfiiiiiiiiiiiiiiii ; -- Begin function _ZL9mul_mat_fI15__hip_bfloat162Li64ELi14ELi1ELb0EEvPKT_PKfPKiPfiiiiiiiiiiiiiiii
	.p2align	8
	.type	_ZL9mul_mat_fI15__hip_bfloat162Li64ELi14ELi1ELb0EEvPKT_PKfPKiPfiiiiiiiiiiiiiiii,@function
_ZL9mul_mat_fI15__hip_bfloat162Li64ELi14ELi1ELb0EEvPKT_PKfPKiPfiiiiiiiiiiiiiiii: ; @_ZL9mul_mat_fI15__hip_bfloat162Li64ELi14ELi1ELb0EEvPKT_PKfPKiPfiiiiiiiiiiiiiiii
; %bb.0:
	s_load_dword s5, s[0:1], 0x20
	s_load_dwordx4 s[16:19], s[0:1], 0x2c
	v_bfe_u32 v92, v0, 10, 10
	v_lshlrev_b32_e32 v94, 6, v92
	v_and_b32_e32 v93, 0x3ff, v0
	v_or_b32_e32 v95, v94, v93
	s_mov_b32 s20, 0
	s_waitcnt lgkmcnt(0)
	s_ashr_i32 s19, s4, 31
	v_cmp_le_i32_e32 vcc, s5, v95
	v_and_b32_e32 v0, 15, v93
                                        ; implicit-def: $vgpr96
	s_and_saveexec_b64 s[6:7], vcc
	s_xor_b64 s[6:7], exec, s[6:7]
; %bb.1:
	v_mul_u32_u24_e32 v96, 0x108, v0
                                        ; implicit-def: $vgpr95
                                        ; implicit-def: $vgpr0
; %bb.2:
	s_or_saveexec_b64 s[24:25], s[6:7]
	s_load_dwordx8 s[8:15], s[0:1], 0x40
	s_load_dwordx2 s[6:7], s[0:1], 0x18
	s_lshl_b32 s27, s2, 6
	v_accvgpr_write_b32 a0, s20
	v_accvgpr_write_b32 a1, s20
	;; [unrolled: 1-line block ×16, first 2 shown]
	v_lshlrev_b32_e32 v16, 2, v93
	s_xor_b64 exec, exec, s[24:25]
	s_cbranch_execz .LBB125_118
; %bb.3:
	s_waitcnt lgkmcnt(0)
	s_abs_i32 s2, s8
	v_cvt_f32_u32_e32 v1, s2
                                        ; implicit-def: $vgpr104 : SGPR spill to VGPR lane
	s_abs_i32 s26, s4
	v_writelane_b32 v104, s6, 0
	v_mul_u32_u24_e32 v96, 0x108, v0
	v_rcp_iflag_f32_e32 v1, v1
	v_writelane_b32 v104, s7, 1
	s_abs_i32 s6, s12
	v_cvt_f32_u32_e32 v2, s6
	v_mul_f32_e32 v1, 0x4f7ffffe, v1
	v_cvt_u32_f32_e32 v1, v1
	s_sub_i32 s7, 0, s2
	v_rcp_iflag_f32_e32 v2, v2
	s_sub_i32 s20, 0, s6
	v_mul_lo_u32 v3, s7, v1
	v_mul_hi_u32 v3, v1, v3
	v_mul_f32_e32 v2, 0x4f7ffffe, v2
	v_cvt_u32_f32_e32 v2, v2
	s_abs_i32 s7, s3
	v_add_u32_e32 v1, v1, v3
	v_mul_hi_u32 v1, s7, v1
	v_mul_lo_u32 v4, s20, v2
	v_mul_lo_u32 v3, v1, s2
	v_mul_hi_u32 v4, v2, v4
	v_sub_u32_e32 v3, s7, v3
	v_add_u32_e32 v2, v2, v4
	v_subrev_u32_e32 v5, s2, v3
	v_cmp_le_u32_e32 vcc, s2, v3
	v_mul_hi_u32 v2, s26, v2
	v_add_u32_e32 v4, 1, v1
	v_cndmask_b32_e32 v3, v3, v5, vcc
	v_cndmask_b32_e32 v1, v1, v4, vcc
	v_cmp_le_u32_e32 vcc, s2, v3
	v_mul_lo_u32 v3, v2, s6
	v_add_u32_e32 v4, 1, v1
	v_sub_u32_e32 v3, s26, v3
	s_load_dwordx4 s[20:23], s[0:1], 0x0
	s_ashr_i32 s0, s3, 31
	s_ashr_i32 s1, s8, 31
	v_cndmask_b32_e32 v1, v1, v4, vcc
	v_add_u32_e32 v4, 1, v2
	v_subrev_u32_e32 v5, s6, v3
	v_cmp_le_u32_e32 vcc, s6, v3
	s_xor_b32 s0, s0, s1
	s_ashr_i32 s8, s12, 31
	v_cndmask_b32_e32 v2, v2, v4, vcc
	v_cndmask_b32_e32 v3, v3, v5, vcc
	v_xor_b32_e32 v1, s0, v1
	v_add_u32_e32 v4, 1, v2
	v_cmp_le_u32_e32 vcc, s6, v3
	v_subrev_u32_e32 v1, s0, v1
	s_xor_b32 s0, s19, s8
	v_cndmask_b32_e32 v2, v2, v4, vcc
	v_xor_b32_e32 v2, s0, v2
	v_subrev_u32_e32 v2, s0, v2
	v_mul_lo_u32 v4, v1, s9
	s_mul_i32 s0, s27, s16
	v_ashrrev_i32_e32 v5, 31, v4
	s_ashr_i32 s1, s0, 31
	v_mul_hi_i32 v3, v2, s13
	v_mul_lo_u32 v2, v2, s13
	s_mul_i32 s8, s3, s10
	s_lshl_b64 s[0:1], s[0:1], 2
	v_lshlrev_b64 v[4:5], 2, v[4:5]
	s_movk_i32 s2, 0x1080
	v_lshrrev_b32_e32 v0, 1, v93
	v_lshlrev_b64 v[2:3], 2, v[2:3]
	s_mul_hi_i32 s7, s14, s4
	s_mul_i32 s6, s14, s4
	v_lshl_add_u64 v[4:5], v[4:5], 0, s[0:1]
	s_ashr_i32 s9, s8, 31
	v_mad_u32_u24 v1, v92, s2, 0
	v_and_b32_e32 v0, 0x1f8, v0
	s_lshl_b64 s[6:7], s[6:7], 2
	s_lshl_b64 s[0:1], s[8:9], 2
	v_add_u32_e32 v97, v1, v16
	v_add3_u32 v98, v1, v96, v0
	v_lshlrev_b32_e32 v20, 8, v92
	v_mov_b32_e32 v21, 0
	v_lshl_add_u64 v[0:1], v[4:5], 0, v[2:3]
	s_waitcnt lgkmcnt(0)
	s_add_u32 s22, s22, s0
	v_lshl_add_u64 v[0:1], v[0:1], 0, v[20:21]
	v_mov_b32_e32 v17, v21
	s_addc_u32 s23, s23, s1
	v_lshl_add_u64 v[0:1], v[0:1], 0, v[16:17]
	v_lshlrev_b32_e32 v20, 9, v92
	s_add_u32 s0, s22, s6
	v_lshl_add_u64 v[22:23], s[20:21], 0, v[0:1]
	v_lshl_add_u64 v[0:1], s[6:7], 0, v[20:21]
	v_lshlrev_b32_e32 v20, 3, v93
	v_lshl_add_u64 v[6:7], s[20:21], 0, v[2:3]
	s_addc_u32 s1, s23, s7
	s_ashr_i32 s9, s16, 31
	s_mov_b32 s8, s16
	s_ashr_i32 s13, s17, 31
	s_mov_b32 s12, s17
	v_lshl_add_u64 v[0:1], v[0:1], 0, v[20:21]
	v_lshl_add_u64 v[18:19], v[4:5], 0, v[6:7]
	s_lshl_b64 s[8:9], s[8:9], 2
	s_lshl_b64 s[12:13], s[12:13], 3
	v_lshl_add_u64 v[24:25], s[22:23], 0, v[0:1]
	s_mul_i32 s10, s16, 63
	s_lshl_b32 s14, s17, 1
	s_mul_i32 s19, s17, 3
	s_lshl_b32 s28, s17, 2
	s_mul_i32 s29, s17, 5
	s_mul_i32 s30, s17, 6
	s_mul_i32 s31, s17, 7
	s_lshl_b32 s33, s17, 3
	s_mul_i32 s34, s17, 9
	s_mul_i32 s35, s17, 10
	;; [unrolled: 1-line block ×5, first 2 shown]
	s_lshl_b32 s39, s16, 1
	s_mul_i32 s40, s16, 3
	s_lshl_b32 s41, s16, 2
	s_mul_i32 s42, s16, 5
	s_mul_i32 s43, s16, 6
	;; [unrolled: 1-line block ×3, first 2 shown]
	s_lshl_b32 s45, s16, 3
	s_mul_i32 s46, s16, 9
	s_mul_i32 s47, s16, 10
	;; [unrolled: 1-line block ×7, first 2 shown]
	s_lshl_b32 s53, s16, 4
	s_mul_i32 s54, s16, 17
	s_mul_i32 s55, s16, 18
	;; [unrolled: 1-line block ×15, first 2 shown]
	s_lshl_b32 s69, s16, 5
	s_mul_i32 s70, s16, 33
	s_mul_i32 s71, s16, 34
	;; [unrolled: 1-line block ×11, first 2 shown]
	v_accvgpr_write_b32 a15, 0
	v_accvgpr_write_b32 a14, 0
	;; [unrolled: 1-line block ×16, first 2 shown]
	s_mul_i32 s81, s16, 44
	s_mul_i32 s82, s16, 45
	;; [unrolled: 1-line block ×19, first 2 shown]
	s_mov_b32 s6, 0x7f800000
	s_movk_i32 s7, 0x7fff
	s_mov_b32 s2, 0x7060302
	s_mov_b64 s[16:17], 0
	s_mov_b64 s[20:21], 0x100
	;; [unrolled: 1-line block ×3, first 2 shown]
	v_writelane_b32 v104, s27, 2
	s_branch .LBB125_5
.LBB125_4:                              ;   in Loop: Header=BB125_5 Depth=1
	s_or_b64 exec, exec, s[26:27]
	v_perm_b32 v17, v20, v17, s2
	v_add_u32_e32 v20, 0xc00, v97
	ds_write2_b32 v20, v17, v21 offset0:90 offset1:156
	ds_write_b32 v97, v21 offset:3960
	ds_read2_b64 v[100:103], v98 offset1:4
	v_accvgpr_write_b32 a0, v0
	v_accvgpr_write_b32 a4, v4
	v_accvgpr_write_b32 a8, v8
	v_accvgpr_write_b32 a12, v12
	v_accvgpr_write_b32 a1, v1
	v_accvgpr_write_b32 a2, v2
	v_accvgpr_write_b32 a3, v3
	v_accvgpr_write_b32 a5, v5
	v_accvgpr_write_b32 a6, v6
	v_accvgpr_write_b32 a7, v7
	v_accvgpr_write_b32 a9, v9
	v_accvgpr_write_b32 a10, v10
	v_accvgpr_write_b32 a11, v11
	v_accvgpr_write_b32 a13, v13
	v_accvgpr_write_b32 a14, v14
	v_accvgpr_write_b32 a15, v15
	s_waitcnt lgkmcnt(0)
	v_mfma_f32_16x16x16_bf16 a[0:3], v[44:45], v[100:101], a[0:3]
	ds_read2_b64 v[0:3], v98 offset0:8 offset1:12
	v_add_u32_e32 v95, 64, v95
	v_cmp_le_i32_e32 vcc, s5, v95
	v_mfma_f32_16x16x16_bf16 a[4:7], v[58:59], v[100:101], a[4:7]
	v_lshl_add_u64 v[22:23], v[22:23], 0, s[20:21]
	v_lshl_add_u64 v[24:25], v[24:25], 0, s[22:23]
	s_or_b64 s[16:17], vcc, s[16:17]
	v_mfma_f32_16x16x16_bf16 a[8:11], v[74:75], v[100:101], a[8:11]
	v_mfma_f32_16x16x16_bf16 a[12:15], v[88:89], v[100:101], a[12:15]
	;; [unrolled: 1-line block ×6, first 2 shown]
	s_waitcnt lgkmcnt(0)
	v_mfma_f32_16x16x16_bf16 a[0:3], v[36:37], v[0:1], a[0:3]
	v_mfma_f32_16x16x16_bf16 a[4:7], v[52:53], v[0:1], a[4:7]
	;; [unrolled: 1-line block ×8, first 2 shown]
	ds_read2_b64 v[0:3], v98 offset0:16 offset1:20
	s_waitcnt lgkmcnt(0)
	v_mfma_f32_16x16x16_bf16 a[0:3], v[32:33], v[0:1], a[0:3]
	v_mfma_f32_16x16x16_bf16 a[4:7], v[48:49], v[0:1], a[4:7]
	;; [unrolled: 1-line block ×8, first 2 shown]
	ds_read2_b64 v[0:3], v98 offset0:24 offset1:28
	s_waitcnt lgkmcnt(0)
	v_mfma_f32_16x16x16_bf16 a[0:3], v[28:29], v[0:1], a[0:3]
	v_mfma_f32_16x16x16_bf16 a[4:7], v[42:43], v[0:1], a[4:7]
	;; [unrolled: 1-line block ×8, first 2 shown]
	s_andn2_b64 exec, exec, s[16:17]
	s_cbranch_execz .LBB125_117
.LBB125_5:                              ; =>This Inner Loop Header: Depth=1
	v_lshl_add_u64 v[0:1], v[22:23], 0, s[8:9]
	global_load_dword v17, v[22:23], off
	global_load_dword v20, v[0:1], off
	v_add_u32_e32 v0, s39, v95
	v_ashrrev_i32_e32 v1, 31, v0
	v_add_u32_e32 v2, s40, v95
	v_add_u32_e32 v4, s41, v95
	;; [unrolled: 1-line block ×6, first 2 shown]
	v_lshl_add_u64 v[0:1], v[0:1], 2, v[18:19]
	v_ashrrev_i32_e32 v3, 31, v2
	v_ashrrev_i32_e32 v5, 31, v4
	;; [unrolled: 1-line block ×6, first 2 shown]
	v_lshl_add_u64 v[2:3], v[2:3], 2, v[18:19]
	v_lshl_add_u64 v[4:5], v[4:5], 2, v[18:19]
	;; [unrolled: 1-line block ×6, first 2 shown]
	global_load_dword v42, v[0:1], off
	global_load_dword v43, v[2:3], off
	;; [unrolled: 1-line block ×7, first 2 shown]
	v_add_u32_e32 v12, s46, v95
	v_ashrrev_i32_e32 v13, 31, v12
	v_add_u32_e32 v26, s47, v95
	v_add_u32_e32 v40, s54, v95
	v_lshl_add_u64 v[12:13], v[12:13], 2, v[18:19]
	v_add_u32_e32 v28, s48, v95
	v_add_u32_e32 v30, s49, v95
	;; [unrolled: 1-line block ×6, first 2 shown]
	v_ashrrev_i32_e32 v27, 31, v26
	v_ashrrev_i32_e32 v41, 31, v40
	global_load_dword v49, v[12:13], off
	v_ashrrev_i32_e32 v29, 31, v28
	v_ashrrev_i32_e32 v31, 31, v30
	;; [unrolled: 1-line block ×6, first 2 shown]
	v_lshl_add_u64 v[26:27], v[26:27], 2, v[18:19]
	v_lshl_add_u64 v[40:41], v[40:41], 2, v[18:19]
	;; [unrolled: 1-line block ×8, first 2 shown]
	v_add_u32_e32 v12, s55, v95
	v_ashrrev_i32_e32 v13, 31, v12
	v_lshl_add_u64 v[12:13], v[12:13], 2, v[18:19]
	v_accvgpr_read_b32 v3, a15
	v_accvgpr_read_b32 v2, a14
	;; [unrolled: 1-line block ×14, first 2 shown]
	s_waitcnt vmcnt(9)
	ds_write_b32 v97, v17
	s_waitcnt vmcnt(8)
	ds_write_b32 v97, v20 offset:264
	s_waitcnt vmcnt(7)
	ds_write_b32 v97, v42 offset:528
	;; [unrolled: 2-line block ×8, first 2 shown]
	global_load_dword v17, v[26:27], off
	global_load_dword v20, v[28:29], off
	;; [unrolled: 1-line block ×7, first 2 shown]
	s_nop 0
	global_load_dword v40, v[40:41], off
	v_add_u32_e32 v26, s56, v95
	v_add_u32_e32 v28, s57, v95
	;; [unrolled: 1-line block ×7, first 2 shown]
	v_ashrrev_i32_e32 v27, 31, v26
	v_ashrrev_i32_e32 v29, 31, v28
	v_ashrrev_i32_e32 v31, 31, v30
	v_ashrrev_i32_e32 v33, 31, v32
	v_ashrrev_i32_e32 v35, 31, v34
	v_ashrrev_i32_e32 v37, 31, v36
	v_ashrrev_i32_e32 v39, 31, v38
	v_lshl_add_u64 v[26:27], v[26:27], 2, v[18:19]
	v_lshl_add_u64 v[28:29], v[28:29], 2, v[18:19]
	v_lshl_add_u64 v[30:31], v[30:31], 2, v[18:19]
	v_lshl_add_u64 v[32:33], v[32:33], 2, v[18:19]
	v_lshl_add_u64 v[34:35], v[34:35], 2, v[18:19]
	v_lshl_add_u64 v[36:37], v[36:37], 2, v[18:19]
	v_lshl_add_u64 v[38:39], v[38:39], 2, v[18:19]
	global_load_dword v41, v[12:13], off
	global_load_dword v47, v[26:27], off
	global_load_dword v48, v[28:29], off
	global_load_dword v50, v[30:31], off
	global_load_dword v51, v[32:33], off
	global_load_dword v52, v[34:35], off
	global_load_dword v53, v[36:37], off
	global_load_dword v54, v[38:39], off
	v_add_u32_e32 v12, s63, v95
	v_ashrrev_i32_e32 v13, 31, v12
	v_add_u32_e32 v26, s64, v95
	v_add_u32_e32 v28, s65, v95
	v_add_u32_e32 v30, s66, v95
	v_add_u32_e32 v32, s67, v95
	v_add_u32_e32 v34, s68, v95
	v_add_u32_e32 v36, s69, v95
	v_add_u32_e32 v38, s70, v95
	v_lshl_add_u64 v[12:13], v[12:13], 2, v[18:19]
	v_ashrrev_i32_e32 v27, 31, v26
	v_ashrrev_i32_e32 v29, 31, v28
	v_ashrrev_i32_e32 v31, 31, v30
	v_ashrrev_i32_e32 v33, 31, v32
	v_ashrrev_i32_e32 v35, 31, v34
	v_ashrrev_i32_e32 v37, 31, v36
	v_ashrrev_i32_e32 v39, 31, v38
	v_lshl_add_u64 v[26:27], v[26:27], 2, v[18:19]
	v_lshl_add_u64 v[28:29], v[28:29], 2, v[18:19]
	v_lshl_add_u64 v[30:31], v[30:31], 2, v[18:19]
	v_lshl_add_u64 v[32:33], v[32:33], 2, v[18:19]
	v_lshl_add_u64 v[34:35], v[34:35], 2, v[18:19]
	v_lshl_add_u64 v[36:37], v[36:37], 2, v[18:19]
	v_lshl_add_u64 v[38:39], v[38:39], 2, v[18:19]
	global_load_dword v55, v[12:13], off
	global_load_dword v56, v[26:27], off
	global_load_dword v57, v[28:29], off
	global_load_dword v58, v[30:31], off
	global_load_dword v59, v[32:33], off
	global_load_dword v60, v[34:35], off
	global_load_dword v61, v[36:37], off
	global_load_dword v62, v[38:39], off
	v_add_u32_e32 v12, s71, v95
	v_ashrrev_i32_e32 v13, 31, v12
	v_add_u32_e32 v26, s72, v95
	v_add_u32_e32 v28, s73, v95
	v_add_u32_e32 v30, s74, v95
	v_add_u32_e32 v32, s75, v95
	v_add_u32_e32 v34, s76, v95
	v_add_u32_e32 v36, s77, v95
	v_add_u32_e32 v38, s78, v95
	v_lshl_add_u64 v[12:13], v[12:13], 2, v[18:19]
	;; [unrolled: 32-line block ×4, first 2 shown]
	v_ashrrev_i32_e32 v27, 31, v26
	v_ashrrev_i32_e32 v29, 31, v28
	;; [unrolled: 1-line block ×7, first 2 shown]
	v_lshl_add_u64 v[26:27], v[26:27], 2, v[18:19]
	v_lshl_add_u64 v[28:29], v[28:29], 2, v[18:19]
	v_lshl_add_u64 v[30:31], v[30:31], 2, v[18:19]
	v_lshl_add_u64 v[32:33], v[32:33], 2, v[18:19]
	v_lshl_add_u64 v[34:35], v[34:35], 2, v[18:19]
	v_lshl_add_u64 v[36:37], v[36:37], 2, v[18:19]
	v_lshl_add_u64 v[38:39], v[38:39], 2, v[18:19]
	global_load_dword v79, v[12:13], off
	global_load_dword v80, v[26:27], off
	;; [unrolled: 1-line block ×8, first 2 shown]
	v_add_u32_e32 v12, s95, v95
	v_ashrrev_i32_e32 v13, 31, v12
	v_add_u32_e32 v26, s96, v95
	v_add_u32_e32 v28, s97, v95
	;; [unrolled: 1-line block ×5, first 2 shown]
	v_lshl_add_u64 v[12:13], v[12:13], 2, v[18:19]
	v_ashrrev_i32_e32 v27, 31, v26
	v_ashrrev_i32_e32 v29, 31, v28
	;; [unrolled: 1-line block ×5, first 2 shown]
	v_lshl_add_u64 v[26:27], v[26:27], 2, v[18:19]
	v_lshl_add_u64 v[28:29], v[28:29], 2, v[18:19]
	;; [unrolled: 1-line block ×5, first 2 shown]
	global_load_dword v12, v[12:13], off
	s_nop 0
	global_load_dword v13, v[26:27], off
	global_load_dword v87, v[28:29], off
	;; [unrolled: 1-line block ×5, first 2 shown]
	s_waitcnt vmcnt(54)
	ds_write_b32 v97, v49 offset:2376
	s_waitcnt vmcnt(53)
	ds_write_b32 v97, v17 offset:2640
	s_waitcnt vmcnt(52)
	ds_write_b32 v97, v20 offset:2904
	s_waitcnt vmcnt(51)
	ds_write_b32 v97, v42 offset:3168
	s_waitcnt vmcnt(50)
	ds_write_b32 v97, v43 offset:3432
	s_waitcnt vmcnt(49)
	ds_write_b32 v97, v44 offset:3696
	s_waitcnt vmcnt(48)
	ds_write_b32 v97, v45 offset:3960
	global_load_dwordx2 v[90:91], v[24:25], off
	ds_read_b64 v[44:45], v98
	ds_read_b64 v[38:39], v98 offset:32
	ds_read_b64 v[36:37], v98 offset:64
	ds_read_b64 v[34:35], v98 offset:96
	ds_read_b64 v[32:33], v98 offset:128
	ds_read_b64 v[30:31], v98 offset:160
	ds_read_b64 v[28:29], v98 offset:192
	ds_read_b64 v[26:27], v98 offset:224
	s_waitcnt vmcnt(48)
	ds_write_b32 v97, v46
	s_waitcnt vmcnt(47)
	ds_write_b32 v97, v40 offset:264
	s_waitcnt vmcnt(46)
	ds_write_b32 v97, v41 offset:528
	s_waitcnt vmcnt(45)
	ds_write_b32 v97, v47 offset:792
	s_waitcnt vmcnt(44)
	ds_write_b32 v97, v48 offset:1056
	s_waitcnt vmcnt(43)
	ds_write_b32 v97, v50 offset:1320
	s_waitcnt vmcnt(42)
	ds_write_b32 v97, v51 offset:1584
	s_waitcnt vmcnt(41)
	ds_write_b32 v97, v52 offset:1848
	s_waitcnt vmcnt(40)
	ds_write_b32 v97, v53 offset:2112
	s_waitcnt vmcnt(39)
	ds_write_b32 v97, v54 offset:2376
	s_waitcnt vmcnt(38)
	ds_write_b32 v97, v55 offset:2640
	s_waitcnt vmcnt(37)
	ds_write_b32 v97, v56 offset:2904
	s_waitcnt vmcnt(36)
	ds_write_b32 v97, v57 offset:3168
	s_waitcnt vmcnt(35)
	ds_write_b32 v97, v58 offset:3432
	s_waitcnt vmcnt(34)
	ds_write_b32 v97, v59 offset:3696
	s_waitcnt vmcnt(33)
	ds_write_b32 v97, v60 offset:3960
	ds_read_b64 v[58:59], v98
	ds_read_b64 v[56:57], v98 offset:32
	ds_read_b64 v[52:53], v98 offset:64
	ds_read_b64 v[50:51], v98 offset:96
	ds_read_b64 v[48:49], v98 offset:128
	ds_read_b64 v[46:47], v98 offset:160
	ds_read_b64 v[42:43], v98 offset:192
	ds_read_b64 v[40:41], v98 offset:224
	s_waitcnt vmcnt(32)
	ds_write_b32 v97, v61
	s_waitcnt vmcnt(31)
	ds_write_b32 v97, v62 offset:264
	s_waitcnt vmcnt(30)
	ds_write_b32 v97, v63 offset:528
	s_waitcnt vmcnt(29)
	ds_write_b32 v97, v64 offset:792
	s_waitcnt vmcnt(28)
	ds_write_b32 v97, v65 offset:1056
	s_waitcnt vmcnt(27)
	ds_write_b32 v97, v66 offset:1320
	s_waitcnt vmcnt(26)
	ds_write_b32 v97, v67 offset:1584
	s_waitcnt vmcnt(25)
	ds_write_b32 v97, v68 offset:1848
	s_waitcnt vmcnt(24)
	ds_write_b32 v97, v69 offset:2112
	s_waitcnt vmcnt(23)
	ds_write_b32 v97, v70 offset:2376
	s_waitcnt vmcnt(22)
	ds_write_b32 v97, v71 offset:2640
	s_waitcnt vmcnt(21)
	ds_write_b32 v97, v72 offset:2904
	s_waitcnt vmcnt(20)
	ds_write_b32 v97, v73 offset:3168
	s_waitcnt vmcnt(19)
	ds_write_b32 v97, v74 offset:3432
	s_waitcnt vmcnt(18)
	ds_write_b32 v97, v75 offset:3696
	s_waitcnt vmcnt(17)
	ds_write_b32 v97, v76 offset:3960
	;; [unrolled: 40-line block ×3, first 2 shown]
	ds_read_b64 v[88:89], v98
	ds_read_b64 v[86:87], v98 offset:32
	ds_read_b64 v[84:85], v98 offset:64
	ds_read_b64 v[82:83], v98 offset:96
	ds_read_b64 v[80:81], v98 offset:128
	ds_read_b64 v[78:79], v98 offset:160
	ds_read_b64 v[76:77], v98 offset:192
	ds_read_b64 v[68:69], v98 offset:224
	s_waitcnt vmcnt(0)
	v_and_b32_e32 v17, 0x7f800000, v90
	v_accvgpr_read_b32 v13, a1
	v_accvgpr_read_b32 v12, a0
	v_cmp_ne_u32_e32 vcc, s6, v17
                                        ; implicit-def: $vgpr17
	s_and_saveexec_b64 s[26:27], vcc
	s_xor_b64 s[26:27], exec, s[26:27]
; %bb.6:                                ;   in Loop: Header=BB125_5 Depth=1
	v_bfe_u32 v17, v90, 16, 1
	v_add3_u32 v17, v90, v17, s7
; %bb.7:                                ;   in Loop: Header=BB125_5 Depth=1
	s_andn2_saveexec_b64 s[26:27], s[26:27]
; %bb.8:                                ;   in Loop: Header=BB125_5 Depth=1
	v_or_b32_e32 v17, 0x10000, v90
	v_cmp_eq_u32_sdwa vcc, v90, v21 src0_sel:WORD_0 src1_sel:DWORD
	s_nop 1
	v_cndmask_b32_e32 v17, v17, v90, vcc
; %bb.9:                                ;   in Loop: Header=BB125_5 Depth=1
	s_or_b64 exec, exec, s[26:27]
	v_and_b32_e32 v20, 0x7f800000, v91
	v_cmp_ne_u32_e32 vcc, s6, v20
                                        ; implicit-def: $vgpr20
	s_and_saveexec_b64 s[26:27], vcc
	s_xor_b64 s[26:27], exec, s[26:27]
; %bb.10:                               ;   in Loop: Header=BB125_5 Depth=1
	v_bfe_u32 v20, v91, 16, 1
	v_add3_u32 v20, v91, v20, s7
                                        ; implicit-def: $vgpr90_vgpr91
; %bb.11:                               ;   in Loop: Header=BB125_5 Depth=1
	s_andn2_saveexec_b64 s[26:27], s[26:27]
; %bb.12:                               ;   in Loop: Header=BB125_5 Depth=1
	v_or_b32_e32 v20, 0x10000, v91
	v_cmp_eq_u32_sdwa vcc, v91, v21 src0_sel:WORD_0 src1_sel:DWORD
	s_nop 1
	v_cndmask_b32_e32 v20, v20, v91, vcc
; %bb.13:                               ;   in Loop: Header=BB125_5 Depth=1
	s_or_b64 exec, exec, s[26:27]
	v_lshl_add_u64 v[90:91], v[24:25], 0, s[12:13]
	global_load_dwordx2 v[90:91], v[90:91], off
	v_perm_b32 v17, v20, v17, s2
	ds_write_b32 v97, v17
	s_waitcnt vmcnt(0)
	v_and_b32_e32 v17, 0x7f800000, v90
	v_cmp_ne_u32_e32 vcc, s6, v17
                                        ; implicit-def: $vgpr17
	s_and_saveexec_b64 s[26:27], vcc
	s_xor_b64 s[26:27], exec, s[26:27]
; %bb.14:                               ;   in Loop: Header=BB125_5 Depth=1
	v_bfe_u32 v17, v90, 16, 1
	v_add3_u32 v17, v90, v17, s7
; %bb.15:                               ;   in Loop: Header=BB125_5 Depth=1
	s_andn2_saveexec_b64 s[26:27], s[26:27]
; %bb.16:                               ;   in Loop: Header=BB125_5 Depth=1
	v_or_b32_e32 v17, 0x10000, v90
	v_cmp_eq_u32_sdwa vcc, v90, v21 src0_sel:WORD_0 src1_sel:DWORD
	s_nop 1
	v_cndmask_b32_e32 v17, v17, v90, vcc
; %bb.17:                               ;   in Loop: Header=BB125_5 Depth=1
	s_or_b64 exec, exec, s[26:27]
	v_and_b32_e32 v20, 0x7f800000, v91
	v_cmp_ne_u32_e32 vcc, s6, v20
                                        ; implicit-def: $vgpr20
	s_and_saveexec_b64 s[26:27], vcc
	s_xor_b64 s[26:27], exec, s[26:27]
; %bb.18:                               ;   in Loop: Header=BB125_5 Depth=1
	v_bfe_u32 v20, v91, 16, 1
	v_add3_u32 v20, v91, v20, s7
                                        ; implicit-def: $vgpr90_vgpr91
; %bb.19:                               ;   in Loop: Header=BB125_5 Depth=1
	s_andn2_saveexec_b64 s[26:27], s[26:27]
; %bb.20:                               ;   in Loop: Header=BB125_5 Depth=1
	v_or_b32_e32 v20, 0x10000, v91
	v_cmp_eq_u32_sdwa vcc, v91, v21 src0_sel:WORD_0 src1_sel:DWORD
	s_nop 1
	v_cndmask_b32_e32 v20, v20, v91, vcc
; %bb.21:                               ;   in Loop: Header=BB125_5 Depth=1
	s_or_b64 exec, exec, s[26:27]
	v_add_u32_e32 v90, s14, v95
	v_ashrrev_i32_e32 v91, 31, v90
	v_lshl_add_u64 v[90:91], v[90:91], 3, s[0:1]
	global_load_dwordx2 v[90:91], v[90:91], off
	v_perm_b32 v17, v20, v17, s2
	ds_write_b32 v97, v17 offset:264
	s_waitcnt vmcnt(0)
	v_and_b32_e32 v17, 0x7f800000, v90
	v_cmp_ne_u32_e32 vcc, s6, v17
                                        ; implicit-def: $vgpr17
	s_and_saveexec_b64 s[26:27], vcc
	s_xor_b64 s[26:27], exec, s[26:27]
; %bb.22:                               ;   in Loop: Header=BB125_5 Depth=1
	v_bfe_u32 v17, v90, 16, 1
	v_add3_u32 v17, v90, v17, s7
; %bb.23:                               ;   in Loop: Header=BB125_5 Depth=1
	s_andn2_saveexec_b64 s[26:27], s[26:27]
; %bb.24:                               ;   in Loop: Header=BB125_5 Depth=1
	v_or_b32_e32 v17, 0x10000, v90
	v_cmp_eq_u32_sdwa vcc, v90, v21 src0_sel:WORD_0 src1_sel:DWORD
	s_nop 1
	v_cndmask_b32_e32 v17, v17, v90, vcc
; %bb.25:                               ;   in Loop: Header=BB125_5 Depth=1
	s_or_b64 exec, exec, s[26:27]
	v_and_b32_e32 v20, 0x7f800000, v91
	v_cmp_ne_u32_e32 vcc, s6, v20
                                        ; implicit-def: $vgpr20
	s_and_saveexec_b64 s[26:27], vcc
	s_xor_b64 s[26:27], exec, s[26:27]
; %bb.26:                               ;   in Loop: Header=BB125_5 Depth=1
	v_bfe_u32 v20, v91, 16, 1
	v_add3_u32 v20, v91, v20, s7
                                        ; implicit-def: $vgpr90_vgpr91
; %bb.27:                               ;   in Loop: Header=BB125_5 Depth=1
	s_andn2_saveexec_b64 s[26:27], s[26:27]
; %bb.28:                               ;   in Loop: Header=BB125_5 Depth=1
	v_or_b32_e32 v20, 0x10000, v91
	v_cmp_eq_u32_sdwa vcc, v91, v21 src0_sel:WORD_0 src1_sel:DWORD
	s_nop 1
	v_cndmask_b32_e32 v20, v20, v91, vcc
; %bb.29:                               ;   in Loop: Header=BB125_5 Depth=1
	s_or_b64 exec, exec, s[26:27]
	v_add_u32_e32 v90, s19, v95
	v_ashrrev_i32_e32 v91, 31, v90
	v_lshl_add_u64 v[90:91], v[90:91], 3, s[0:1]
	global_load_dwordx2 v[90:91], v[90:91], off
	v_perm_b32 v17, v20, v17, s2
	ds_write_b32 v97, v17 offset:528
	;; [unrolled: 42-line block ×10, first 2 shown]
	s_waitcnt vmcnt(0)
	v_and_b32_e32 v17, 0x7f800000, v90
	v_cmp_ne_u32_e32 vcc, s6, v17
                                        ; implicit-def: $vgpr17
	s_and_saveexec_b64 s[26:27], vcc
	s_xor_b64 s[26:27], exec, s[26:27]
; %bb.94:                               ;   in Loop: Header=BB125_5 Depth=1
	v_bfe_u32 v17, v90, 16, 1
	v_add3_u32 v17, v90, v17, s7
; %bb.95:                               ;   in Loop: Header=BB125_5 Depth=1
	s_andn2_saveexec_b64 s[26:27], s[26:27]
; %bb.96:                               ;   in Loop: Header=BB125_5 Depth=1
	v_or_b32_e32 v17, 0x10000, v90
	v_cmp_eq_u32_sdwa vcc, v90, v21 src0_sel:WORD_0 src1_sel:DWORD
	s_nop 1
	v_cndmask_b32_e32 v17, v17, v90, vcc
; %bb.97:                               ;   in Loop: Header=BB125_5 Depth=1
	s_or_b64 exec, exec, s[26:27]
	v_and_b32_e32 v20, 0x7f800000, v91
	v_cmp_ne_u32_e32 vcc, s6, v20
                                        ; implicit-def: $vgpr20
	s_and_saveexec_b64 s[26:27], vcc
	s_xor_b64 s[26:27], exec, s[26:27]
; %bb.98:                               ;   in Loop: Header=BB125_5 Depth=1
	v_bfe_u32 v20, v91, 16, 1
	v_add3_u32 v20, v91, v20, s7
                                        ; implicit-def: $vgpr90_vgpr91
; %bb.99:                               ;   in Loop: Header=BB125_5 Depth=1
	s_andn2_saveexec_b64 s[26:27], s[26:27]
; %bb.100:                              ;   in Loop: Header=BB125_5 Depth=1
	v_or_b32_e32 v20, 0x10000, v91
	v_cmp_eq_u32_sdwa vcc, v91, v21 src0_sel:WORD_0 src1_sel:DWORD
	s_nop 1
	v_cndmask_b32_e32 v20, v20, v91, vcc
; %bb.101:                              ;   in Loop: Header=BB125_5 Depth=1
	s_or_b64 exec, exec, s[26:27]
	v_add_u32_e32 v90, s37, v95
	v_ashrrev_i32_e32 v91, 31, v90
	v_lshl_add_u64 v[90:91], v[90:91], 3, s[0:1]
	global_load_dwordx2 v[90:91], v[90:91], off
	v_perm_b32 v17, v20, v17, s2
	ds_write_b32 v97, v17 offset:2904
	s_waitcnt vmcnt(0)
	v_and_b32_e32 v17, 0x7f800000, v90
	v_cmp_ne_u32_e32 vcc, s6, v17
                                        ; implicit-def: $vgpr17
	s_and_saveexec_b64 s[26:27], vcc
	s_xor_b64 s[26:27], exec, s[26:27]
; %bb.102:                              ;   in Loop: Header=BB125_5 Depth=1
	v_bfe_u32 v17, v90, 16, 1
	v_add3_u32 v17, v90, v17, s7
; %bb.103:                              ;   in Loop: Header=BB125_5 Depth=1
	s_andn2_saveexec_b64 s[26:27], s[26:27]
; %bb.104:                              ;   in Loop: Header=BB125_5 Depth=1
	v_or_b32_e32 v17, 0x10000, v90
	v_cmp_eq_u32_sdwa vcc, v90, v21 src0_sel:WORD_0 src1_sel:DWORD
	s_nop 1
	v_cndmask_b32_e32 v17, v17, v90, vcc
; %bb.105:                              ;   in Loop: Header=BB125_5 Depth=1
	s_or_b64 exec, exec, s[26:27]
	v_and_b32_e32 v20, 0x7f800000, v91
	v_cmp_ne_u32_e32 vcc, s6, v20
                                        ; implicit-def: $vgpr20
	s_and_saveexec_b64 s[26:27], vcc
	s_xor_b64 s[26:27], exec, s[26:27]
; %bb.106:                              ;   in Loop: Header=BB125_5 Depth=1
	v_bfe_u32 v20, v91, 16, 1
	v_add3_u32 v20, v91, v20, s7
                                        ; implicit-def: $vgpr90_vgpr91
; %bb.107:                              ;   in Loop: Header=BB125_5 Depth=1
	s_andn2_saveexec_b64 s[26:27], s[26:27]
; %bb.108:                              ;   in Loop: Header=BB125_5 Depth=1
	v_or_b32_e32 v20, 0x10000, v91
	v_cmp_eq_u32_sdwa vcc, v91, v21 src0_sel:WORD_0 src1_sel:DWORD
	s_nop 1
	v_cndmask_b32_e32 v20, v20, v91, vcc
; %bb.109:                              ;   in Loop: Header=BB125_5 Depth=1
	s_or_b64 exec, exec, s[26:27]
	v_add_u32_e32 v90, s38, v95
	v_ashrrev_i32_e32 v91, 31, v90
	v_lshl_add_u64 v[90:91], v[90:91], 3, s[0:1]
	global_load_dwordx2 v[90:91], v[90:91], off
	v_perm_b32 v17, v20, v17, s2
	ds_write_b32 v97, v17 offset:3168
	s_waitcnt vmcnt(0)
	v_and_b32_e32 v17, 0x7f800000, v90
	v_cmp_ne_u32_e32 vcc, s6, v17
                                        ; implicit-def: $vgpr17
	s_and_saveexec_b64 s[26:27], vcc
	s_xor_b64 s[26:27], exec, s[26:27]
; %bb.110:                              ;   in Loop: Header=BB125_5 Depth=1
	v_bfe_u32 v17, v90, 16, 1
	v_add3_u32 v17, v90, v17, s7
; %bb.111:                              ;   in Loop: Header=BB125_5 Depth=1
	s_andn2_saveexec_b64 s[26:27], s[26:27]
; %bb.112:                              ;   in Loop: Header=BB125_5 Depth=1
	v_or_b32_e32 v17, 0x10000, v90
	v_cmp_eq_u32_sdwa vcc, v90, v21 src0_sel:WORD_0 src1_sel:DWORD
	s_nop 1
	v_cndmask_b32_e32 v17, v17, v90, vcc
; %bb.113:                              ;   in Loop: Header=BB125_5 Depth=1
	s_or_b64 exec, exec, s[26:27]
	v_and_b32_e32 v20, 0x7f800000, v91
	v_cmp_ne_u32_e32 vcc, s6, v20
                                        ; implicit-def: $vgpr20
	s_and_saveexec_b64 s[26:27], vcc
	s_xor_b64 s[26:27], exec, s[26:27]
; %bb.114:                              ;   in Loop: Header=BB125_5 Depth=1
	v_bfe_u32 v20, v91, 16, 1
	v_add3_u32 v20, v91, v20, s7
                                        ; implicit-def: $vgpr90_vgpr91
; %bb.115:                              ;   in Loop: Header=BB125_5 Depth=1
	s_andn2_saveexec_b64 s[26:27], s[26:27]
	s_cbranch_execz .LBB125_4
; %bb.116:                              ;   in Loop: Header=BB125_5 Depth=1
	v_or_b32_e32 v20, 0x10000, v91
	v_cmp_eq_u32_sdwa vcc, v91, v21 src0_sel:WORD_0 src1_sel:DWORD
	s_nop 1
	v_cndmask_b32_e32 v20, v20, v91, vcc
	s_branch .LBB125_4
.LBB125_117:
	s_or_b64 exec, exec, s[16:17]
	v_readlane_b32 s6, v104, 0
	v_readlane_b32 s27, v104, 2
	;; [unrolled: 1-line block ×3, first 2 shown]
.LBB125_118:
	s_or_b64 exec, exec, s[24:25]
	v_lshlrev_b32_e32 v0, 2, v94
	v_or_b32_e32 v2, 12, v93
	v_add3_u32 v0, 0, v96, v0
	v_and_b32_e32 v1, 0x3f0, v93
	v_and_b32_e32 v2, 0x3fc, v2
	v_add_u32_e32 v1, v0, v1
	v_add_u32_e32 v0, v0, v2
	s_waitcnt lgkmcnt(0)
	s_mul_hi_i32 s1, s15, s4
	s_mul_i32 s0, s15, s4
	ds_write2_b32 v1, a12, a13 offset1:1
	ds_write_b32 v1, a14 offset:8
	ds_write_b32 v0, a15
	ds_write2_b32 v1, a8, a9 offset0:16 offset1:17
	ds_write_b32 v1, a10 offset:72
	ds_write_b32 v0, a11 offset:64
	ds_write2_b32 v1, a4, a5 offset0:32 offset1:33
	ds_write_b32 v1, a6 offset:136
	ds_write_b32 v0, a7 offset:128
	;; [unrolled: 3-line block ×3, first 2 shown]
	v_mul_u32_u24_e32 v0, 0x108, v92
	s_lshl_b64 s[0:1], s[0:1], 2
	v_add3_u32 v6, 0, v16, v0
	s_add_u32 s2, s6, s0
	s_mul_i32 s0, s3, s11
	ds_read2_b32 v[0:1], v6 offset1:66
	s_addc_u32 s4, s7, s1
	s_ashr_i32 s1, s0, 31
	s_lshl_b64 s[0:1], s[0:1], 2
	s_add_u32 s0, s2, s0
	v_mul_lo_u32 v2, v92, s18
	s_addc_u32 s1, s4, s1
	v_add3_u32 v2, s27, v93, v2
	v_mov_b32_e32 v3, 0
	s_waitcnt lgkmcnt(0)
	v_add_f32_e32 v0, 0, v0
	v_lshl_add_u64 v[4:5], v[2:3], 2, s[0:1]
	global_store_dword v[4:5], v0, off
	ds_read2_b32 v[4:5], v6 offset0:132 offset1:198
	v_add_u32_e32 v2, s18, v2
	v_add_f32_e32 v7, 0, v1
	v_lshl_add_u64 v[0:1], v[2:3], 2, s[0:1]
	v_add_u32_e32 v2, s18, v2
	global_store_dword v[0:1], v7, off
	s_waitcnt lgkmcnt(0)
	v_add_f32_e32 v4, 0, v4
	v_lshl_add_u64 v[0:1], v[2:3], 2, s[0:1]
	v_add_u32_e32 v7, 0x400, v6
	global_store_dword v[0:1], v4, off
	ds_read2_b32 v[0:1], v7 offset0:8 offset1:74
	v_add_u32_e32 v2, s18, v2
	v_add_f32_e32 v8, 0, v5
	v_lshl_add_u64 v[4:5], v[2:3], 2, s[0:1]
	v_add_u32_e32 v2, s18, v2
	global_store_dword v[4:5], v8, off
	s_waitcnt lgkmcnt(0)
	v_add_f32_e32 v0, 0, v0
	v_lshl_add_u64 v[4:5], v[2:3], 2, s[0:1]
	global_store_dword v[4:5], v0, off
	ds_read2_b32 v[4:5], v7 offset0:140 offset1:206
	v_add_u32_e32 v2, s18, v2
	v_add_f32_e32 v7, 0, v1
	v_lshl_add_u64 v[0:1], v[2:3], 2, s[0:1]
	v_add_u32_e32 v2, s18, v2
	global_store_dword v[0:1], v7, off
	s_waitcnt lgkmcnt(0)
	v_add_f32_e32 v4, 0, v4
	v_lshl_add_u64 v[0:1], v[2:3], 2, s[0:1]
	v_add_u32_e32 v7, 0x800, v6
	global_store_dword v[0:1], v4, off
	ds_read2_b32 v[0:1], v7 offset0:16 offset1:82
	v_add_u32_e32 v2, s18, v2
	v_add_f32_e32 v8, 0, v5
	v_lshl_add_u64 v[4:5], v[2:3], 2, s[0:1]
	v_add_u32_e32 v2, s18, v2
	global_store_dword v[4:5], v8, off
	s_waitcnt lgkmcnt(0)
	v_add_f32_e32 v0, 0, v0
	v_lshl_add_u64 v[4:5], v[2:3], 2, s[0:1]
	global_store_dword v[4:5], v0, off
	ds_read2_b32 v[4:5], v7 offset0:148 offset1:214
	v_add_u32_e32 v2, s18, v2
	v_add_f32_e32 v7, 0, v1
	v_lshl_add_u64 v[0:1], v[2:3], 2, s[0:1]
	v_add_u32_e32 v2, s18, v2
	global_store_dword v[0:1], v7, off
	s_waitcnt lgkmcnt(0)
	v_add_f32_e32 v4, 0, v4
	v_lshl_add_u64 v[0:1], v[2:3], 2, s[0:1]
	global_store_dword v[0:1], v4, off
	v_add_u32_e32 v0, 0xc00, v6
	ds_read2_b32 v[0:1], v0 offset0:24 offset1:90
	v_add_u32_e32 v2, s18, v2
	v_add_f32_e32 v6, 0, v5
	v_lshl_add_u64 v[4:5], v[2:3], 2, s[0:1]
	v_add_u32_e32 v2, s18, v2
	global_store_dword v[4:5], v6, off
	s_waitcnt lgkmcnt(0)
	v_add_f32_e32 v0, 0, v0
	v_lshl_add_u64 v[4:5], v[2:3], 2, s[0:1]
	v_add_u32_e32 v2, s18, v2
	global_store_dword v[4:5], v0, off
	v_add_f32_e32 v4, 0, v1
	v_lshl_add_u64 v[0:1], v[2:3], 2, s[0:1]
	global_store_dword v[0:1], v4, off
	s_endpgm
	.section	.rodata,"a",@progbits
	.p2align	6, 0x0
	.amdhsa_kernel _ZL9mul_mat_fI15__hip_bfloat162Li64ELi14ELi1ELb0EEvPKT_PKfPKiPfiiiiiiiiiiiiiiii
		.amdhsa_group_segment_fixed_size 0
		.amdhsa_private_segment_fixed_size 0
		.amdhsa_kernarg_size 96
		.amdhsa_user_sgpr_count 2
		.amdhsa_user_sgpr_dispatch_ptr 0
		.amdhsa_user_sgpr_queue_ptr 0
		.amdhsa_user_sgpr_kernarg_segment_ptr 1
		.amdhsa_user_sgpr_dispatch_id 0
		.amdhsa_user_sgpr_kernarg_preload_length 0
		.amdhsa_user_sgpr_kernarg_preload_offset 0
		.amdhsa_user_sgpr_private_segment_size 0
		.amdhsa_uses_dynamic_stack 0
		.amdhsa_enable_private_segment 0
		.amdhsa_system_sgpr_workgroup_id_x 1
		.amdhsa_system_sgpr_workgroup_id_y 1
		.amdhsa_system_sgpr_workgroup_id_z 1
		.amdhsa_system_sgpr_workgroup_info 0
		.amdhsa_system_vgpr_workitem_id 1
		.amdhsa_next_free_vgpr 132
		.amdhsa_next_free_sgpr 100
		.amdhsa_accum_offset 108
		.amdhsa_reserve_vcc 1
		.amdhsa_float_round_mode_32 0
		.amdhsa_float_round_mode_16_64 0
		.amdhsa_float_denorm_mode_32 3
		.amdhsa_float_denorm_mode_16_64 3
		.amdhsa_dx10_clamp 1
		.amdhsa_ieee_mode 1
		.amdhsa_fp16_overflow 0
		.amdhsa_tg_split 0
		.amdhsa_exception_fp_ieee_invalid_op 0
		.amdhsa_exception_fp_denorm_src 0
		.amdhsa_exception_fp_ieee_div_zero 0
		.amdhsa_exception_fp_ieee_overflow 0
		.amdhsa_exception_fp_ieee_underflow 0
		.amdhsa_exception_fp_ieee_inexact 0
		.amdhsa_exception_int_div_zero 0
	.end_amdhsa_kernel
	.section	.text._ZL9mul_mat_fI15__hip_bfloat162Li64ELi14ELi1ELb0EEvPKT_PKfPKiPfiiiiiiiiiiiiiiii,"axG",@progbits,_ZL9mul_mat_fI15__hip_bfloat162Li64ELi14ELi1ELb0EEvPKT_PKfPKiPfiiiiiiiiiiiiiiii,comdat
.Lfunc_end125:
	.size	_ZL9mul_mat_fI15__hip_bfloat162Li64ELi14ELi1ELb0EEvPKT_PKfPKiPfiiiiiiiiiiiiiiii, .Lfunc_end125-_ZL9mul_mat_fI15__hip_bfloat162Li64ELi14ELi1ELb0EEvPKT_PKfPKiPfiiiiiiiiiiiiiiii
                                        ; -- End function
	.section	.AMDGPU.csdata,"",@progbits
; Kernel info:
; codeLenInByte = 7608
; NumSgprs: 106
; NumVgprs: 105
; NumAgprs: 24
; TotalNumVgprs: 132
; ScratchSize: 0
; MemoryBound: 0
; FloatMode: 240
; IeeeMode: 1
; LDSByteSize: 0 bytes/workgroup (compile time only)
; SGPRBlocks: 13
; VGPRBlocks: 16
; NumSGPRsForWavesPerEU: 106
; NumVGPRsForWavesPerEU: 132
; AccumOffset: 108
; Occupancy: 3
; WaveLimiterHint : 0
; COMPUTE_PGM_RSRC2:SCRATCH_EN: 0
; COMPUTE_PGM_RSRC2:USER_SGPR: 2
; COMPUTE_PGM_RSRC2:TRAP_HANDLER: 0
; COMPUTE_PGM_RSRC2:TGID_X_EN: 1
; COMPUTE_PGM_RSRC2:TGID_Y_EN: 1
; COMPUTE_PGM_RSRC2:TGID_Z_EN: 1
; COMPUTE_PGM_RSRC2:TIDIG_COMP_CNT: 1
; COMPUTE_PGM_RSRC3_GFX90A:ACCUM_OFFSET: 26
; COMPUTE_PGM_RSRC3_GFX90A:TG_SPLIT: 0
	.section	.text._ZL13mul_mat_f_idsI15__hip_bfloat162Li64ELi14ELi2EEvPKT_PKfPKiS7_S7_Pfiiiiiiiiiiiiii15HIP_vector_typeIjLj3EESA_,"axG",@progbits,_ZL13mul_mat_f_idsI15__hip_bfloat162Li64ELi14ELi2EEvPKT_PKfPKiS7_S7_Pfiiiiiiiiiiiiii15HIP_vector_typeIjLj3EESA_,comdat
	.globl	_ZL13mul_mat_f_idsI15__hip_bfloat162Li64ELi14ELi2EEvPKT_PKfPKiS7_S7_Pfiiiiiiiiiiiiii15HIP_vector_typeIjLj3EESA_ ; -- Begin function _ZL13mul_mat_f_idsI15__hip_bfloat162Li64ELi14ELi2EEvPKT_PKfPKiS7_S7_Pfiiiiiiiiiiiiii15HIP_vector_typeIjLj3EESA_
	.p2align	8
	.type	_ZL13mul_mat_f_idsI15__hip_bfloat162Li64ELi14ELi2EEvPKT_PKfPKiS7_S7_Pfiiiiiiiiiiiiii15HIP_vector_typeIjLj3EESA_,@function
_ZL13mul_mat_f_idsI15__hip_bfloat162Li64ELi14ELi2EEvPKT_PKfPKiS7_S7_Pfiiiiiiiiiiiiii15HIP_vector_typeIjLj3EESA_: ; @_ZL13mul_mat_f_idsI15__hip_bfloat162Li64ELi14ELi2EEvPKT_PKfPKiS7_S7_Pfiiiiiiiiiiiiii15HIP_vector_typeIjLj3EESA_
; %bb.0:
	s_load_dwordx2 s[6:7], s[0:1], 0x20
	s_mov_b32 s34, s3
	s_ashr_i32 s35, s3, 31
	s_lshl_b64 s[8:9], s[34:35], 2
	s_waitcnt lgkmcnt(0)
	s_add_u32 s6, s6, s8
	s_addc_u32 s7, s7, s9
	s_load_dwordx2 s[26:27], s[6:7], 0x0
	s_waitcnt lgkmcnt(0)
	s_sub_i32 s33, s27, s26
	s_add_i32 s3, s33, 13
	s_mul_hi_i32 s5, s3, 0x92492493
	s_add_i32 s5, s5, s3
	s_lshr_b32 s3, s5, 31
	s_ashr_i32 s5, s5, 3
	s_add_i32 s5, s5, s3
	s_cmp_ge_i32 s4, s5
	s_cbranch_scc1 .LBB126_182
; %bb.1:
	v_bfe_u32 v16, v0, 10, 10
	v_lshlrev_b32_e32 v114, 6, v16
	v_and_b32_e32 v17, 0x3ff, v0
	s_load_dwordx4 s[12:15], s[0:1], 0x30
	s_load_dwordx2 s[20:21], s[0:1], 0x40
	s_load_dwordx4 s[8:11], s[0:1], 0x4c
	s_load_dwordx4 s[16:19], s[0:1], 0x68
	s_load_dwordx2 s[24:25], s[0:1], 0x78
	v_add_u32_e32 v116, v114, v17
	s_ashr_i32 s27, s26, 31
	s_waitcnt lgkmcnt(0)
	v_cmp_le_i32_e32 vcc, s12, v116
	v_and_b32_e32 v115, 15, v17
                                        ; implicit-def: $sgpr3
	s_and_saveexec_b64 s[6:7], vcc
	s_xor_b64 s[6:7], exec, s[6:7]
; %bb.2:
	v_and_b32_e32 v115, 15, v17
	s_mov_b32 s3, 0
                                        ; implicit-def: $vgpr116
; %bb.3:
	s_or_saveexec_b64 s[22:23], s[6:7]
	s_load_dwordx2 s[6:7], s[0:1], 0x18
                                        ; implicit-def: $vgpr119 : SGPR spill to VGPR lane
	s_lshl_b32 s11, s2, 6
	s_mul_i32 s2, s4, 14
	v_accvgpr_write_b32 a0, s3
	v_accvgpr_write_b32 a1, s3
	s_waitcnt lgkmcnt(0)
	v_writelane_b32 v119, s6, 0
	v_accvgpr_write_b32 a2, s3
	v_accvgpr_write_b32 a3, s3
	v_writelane_b32 v119, s7, 1
	s_load_dwordx2 s[6:7], s[0:1], 0x28
	v_accvgpr_write_b32 a4, s3
	v_accvgpr_write_b32 a5, s3
	;; [unrolled: 1-line block ×4, first 2 shown]
	s_waitcnt lgkmcnt(0)
	v_writelane_b32 v119, s6, 2
	v_accvgpr_write_b32 a8, s3
	v_accvgpr_write_b32 a9, s3
	v_writelane_b32 v119, s7, 3
	v_accvgpr_write_b32 a10, s3
	v_accvgpr_write_b32 a11, s3
	;; [unrolled: 1-line block ×6, first 2 shown]
	v_writelane_b32 v119, s22, 4
	s_nop 1
	v_writelane_b32 v119, s23, 5
	s_xor_b64 exec, exec, s[22:23]
	s_cbranch_execz .LBB126_161
; %bb.4:
	v_writelane_b32 v119, s24, 6
	s_load_dwordx4 s[4:7], s[0:1], 0x0
	s_load_dwordx2 s[22:23], s[0:1], 0x10
	v_writelane_b32 v119, s25, 7
	s_mul_i32 s0, s34, s8
	s_mul_i32 s24, s11, s15
	s_ashr_i32 s1, s0, 31
	s_ashr_i32 s25, s24, 31
	s_lshl_b64 s[24:25], s[24:25], 2
	s_lshl_b64 s[0:1], s[0:1], 2
	s_add_u32 s24, s0, s24
	v_writelane_b32 v119, s11, 8
	s_addc_u32 s25, s1, s25
	s_waitcnt lgkmcnt(0)
	s_add_u32 s0, s24, s4
	v_writelane_b32 v119, s26, 9
	s_addc_u32 s1, s25, s5
	s_movk_i32 s3, 0x1080
	v_writelane_b32 v119, s27, 10
	s_lshl_b64 s[26:27], s[26:27], 2
	s_add_u32 s8, s22, s26
	s_addc_u32 s11, s23, s27
	s_cmp_lt_i32 s2, s33
	v_mad_u32_u24 v1, v16, s3, 0
	s_cselect_b64 s[34:35], -1, 0
	s_ashr_i32 s3, s2, 31
	s_lshl_b64 s[22:23], s[2:3], 2
	s_add_u32 s36, s8, s22
	s_addc_u32 s37, s11, s23
	s_or_b32 s3, s2, 1
	s_cmp_lt_i32 s3, s33
	v_lshrrev_b32_e32 v3, 1, v17
	s_cselect_b64 s[38:39], -1, 0
	s_add_i32 s3, s2, 2
	v_mov_b32_e32 v19, 0
	v_lshlrev_b32_e32 v0, 2, v17
	v_mul_u32_u24_e32 v2, 0x108, v115
	v_and_b32_e32 v3, 0x1f8, v3
	s_cmp_lt_i32 s3, s33
	v_lshlrev_b32_e32 v18, 8, v16
	v_add_u32_e32 v117, v1, v0
	v_add3_u32 v118, v1, v2, v3
	s_cselect_b64 s[40:41], -1, 0
	s_add_i32 s3, s2, 3
	v_lshl_add_u64 v[2:3], s[24:25], 0, v[18:19]
	v_mov_b32_e32 v1, v19
	s_cmp_lt_i32 s3, s33
	v_lshl_add_u64 v[0:1], v[2:3], 0, v[0:1]
	s_cselect_b64 s[42:43], -1, 0
	s_add_i32 s3, s2, 4
	v_lshl_add_u64 v[20:21], s[4:5], 0, v[0:1]
	s_mul_i32 s4, s15, 3
	s_cmp_lt_i32 s3, s33
	v_writelane_b32 v119, s4, 11
	s_mul_i32 s4, s15, 5
	s_cselect_b64 s[44:45], -1, 0
	s_add_i32 s3, s2, 5
	v_writelane_b32 v119, s4, 12
	s_mul_i32 s4, s15, 6
	s_cmp_lt_i32 s3, s33
	v_writelane_b32 v119, s4, 13
	s_mul_i32 s4, s15, 7
	s_cselect_b64 s[46:47], -1, 0
	s_add_i32 s3, s2, 6
	v_writelane_b32 v119, s4, 14
	;; [unrolled: 7-line block ×9, first 2 shown]
	s_mul_i32 s4, s15, 24
	s_cmp_lt_i32 s3, s33
	v_writelane_b32 v119, s4, 29
	s_mul_i32 s4, s15, 25
	s_cselect_b64 s[62:63], -1, 0
	s_ashr_i32 s23, s15, 31
	s_mov_b32 s22, s15
	v_writelane_b32 v119, s4, 30
	s_mul_i32 s4, s15, 26
	s_lshl_b64 s[64:65], s[22:23], 2
	s_lshl_b32 s3, s15, 1
	s_lshl_b32 s70, s15, 2
	;; [unrolled: 1-line block ×4, first 2 shown]
	v_writelane_b32 v119, s4, 31
	s_mul_i32 s93, s15, 27
	v_accvgpr_write_b32 a15, 0
	v_accvgpr_write_b32 a14, 0
	;; [unrolled: 1-line block ×16, first 2 shown]
	s_mul_i32 s94, s15, 28
	s_mul_i32 s95, s15, 29
	;; [unrolled: 1-line block ×4, first 2 shown]
	s_lshl_b32 s98, s15, 5
	s_mul_i32 s99, s15, 33
	s_mul_i32 s24, s15, 34
	;; [unrolled: 1-line block ×31, first 2 shown]
	s_mov_b32 s90, 0x7f800000
	s_movk_i32 s91, 0x7fff
	s_mov_b32 s92, 0x7060302
	s_mov_b64 s[4:5], 0
	s_mov_b64 s[66:67], 0x200
	s_branch .LBB126_6
.LBB126_5:                              ;   in Loop: Header=BB126_6 Depth=1
	s_or_b64 exec, exec, s[68:69]
	v_perm_b32 v18, v86, v18, s92
	v_add_u32_e32 v86, 0xc00, v117
	ds_write2_b32 v86, v18, v19 offset0:90 offset1:156
	ds_write_b32 v117, v19 offset:3960
	ds_read2_b64 v[86:89], v118 offset1:4
	v_accvgpr_write_b32 a0, v12
	v_accvgpr_write_b32 a4, v8
	;; [unrolled: 1-line block ×16, first 2 shown]
	s_waitcnt lgkmcnt(0)
	v_mfma_f32_16x16x16_bf16 a[0:3], v[28:29], v[86:87], a[0:3]
	ds_read2_b64 v[0:3], v118 offset0:8 offset1:12
	v_add_u32_e32 v116, 0x80, v116
	v_cmp_le_i32_e32 vcc, s12, v116
	v_mfma_f32_16x16x16_bf16 a[4:7], v[54:55], v[86:87], a[4:7]
	v_lshl_add_u64 v[20:21], v[20:21], 0, s[66:67]
	s_or_b64 s[4:5], vcc, s[4:5]
	v_mfma_f32_16x16x16_bf16 a[8:11], v[68:69], v[86:87], a[8:11]
	v_mfma_f32_16x16x16_bf16 a[12:15], v[84:85], v[86:87], a[12:15]
	;; [unrolled: 1-line block ×6, first 2 shown]
	s_waitcnt lgkmcnt(0)
	v_mfma_f32_16x16x16_bf16 a[0:3], v[24:25], v[0:1], a[0:3]
	v_mfma_f32_16x16x16_bf16 a[4:7], v[48:49], v[0:1], a[4:7]
	;; [unrolled: 1-line block ×8, first 2 shown]
	ds_read2_b64 v[0:3], v118 offset0:16 offset1:20
	s_waitcnt lgkmcnt(0)
	v_mfma_f32_16x16x16_bf16 a[0:3], v[36:37], v[0:1], a[0:3]
	v_mfma_f32_16x16x16_bf16 a[4:7], v[44:45], v[0:1], a[4:7]
	;; [unrolled: 1-line block ×8, first 2 shown]
	ds_read2_b64 v[0:3], v118 offset0:24 offset1:28
	s_waitcnt lgkmcnt(0)
	v_mfma_f32_16x16x16_bf16 a[0:3], v[32:33], v[0:1], a[0:3]
	v_mfma_f32_16x16x16_bf16 a[4:7], v[40:41], v[0:1], a[4:7]
	;; [unrolled: 1-line block ×8, first 2 shown]
	s_andn2_b64 exec, exec, s[4:5]
	s_cbranch_execz .LBB126_160
.LBB126_6:                              ; =>This Inner Loop Header: Depth=1
	v_readlane_b32 s68, v119, 11
	v_lshl_add_u64 v[0:1], v[20:21], 0, s[64:65]
	global_load_dword v18, v[20:21], off
	global_load_dword v22, v[0:1], off
	v_add_u32_e32 v2, s68, v116
	v_readlane_b32 s68, v119, 12
	v_add_u32_e32 v0, s3, v116
	v_add_u32_e32 v12, s74, v116
	;; [unrolled: 1-line block ×3, first 2 shown]
	v_readlane_b32 s68, v119, 13
	v_ashrrev_i32_e32 v1, 31, v0
	v_add_u32_e32 v4, s70, v116
	v_add_u32_e32 v8, s68, v116
	v_readlane_b32 s68, v119, 14
	v_ashrrev_i32_e32 v13, 31, v12
	v_lshl_add_u64 v[0:1], v[0:1], 2, s[0:1]
	v_add_u32_e32 v10, s68, v116
	v_readlane_b32 s68, v119, 15
	v_ashrrev_i32_e32 v3, 31, v2
	v_ashrrev_i32_e32 v5, 31, v4
	v_add_u32_e32 v14, s68, v116
	v_ashrrev_i32_e32 v7, 31, v6
	v_ashrrev_i32_e32 v9, 31, v8
	;; [unrolled: 1-line block ×3, first 2 shown]
	v_lshl_add_u64 v[12:13], v[12:13], 2, s[0:1]
	v_ashrrev_i32_e32 v15, 31, v14
	v_readlane_b32 s68, v119, 16
	v_lshl_add_u64 v[2:3], v[2:3], 2, s[0:1]
	v_lshl_add_u64 v[4:5], v[4:5], 2, s[0:1]
	;; [unrolled: 1-line block ×6, first 2 shown]
	global_load_dword v23, v[0:1], off
	global_load_dword v24, v[2:3], off
	;; [unrolled: 1-line block ×6, first 2 shown]
	s_nop 0
	global_load_dword v12, v[12:13], off
	s_nop 0
	global_load_dword v13, v[14:15], off
	v_add_u32_e32 v0, s68, v116
	v_readlane_b32 s68, v119, 17
	v_ashrrev_i32_e32 v1, 31, v0
	v_lshl_add_u64 v[0:1], v[0:1], 2, s[0:1]
	v_add_u32_e32 v2, s68, v116
	v_readlane_b32 s68, v119, 18
	v_ashrrev_i32_e32 v3, 31, v2
	v_lshl_add_u64 v[2:3], v[2:3], 2, s[0:1]
	;; [unrolled: 4-line block ×5, first 2 shown]
	v_add_u32_e32 v10, s68, v116
	v_ashrrev_i32_e32 v11, 31, v10
	v_lshl_add_u64 v[10:11], v[10:11], 2, s[0:1]
	global_load_dword v14, v[0:1], off
	global_load_dword v15, v[2:3], off
	s_nop 0
	global_load_dword v4, v[4:5], off
	s_nop 0
	;; [unrolled: 2-line block ×3, first 2 shown]
	global_load_dword v6, v[8:9], off
	global_load_dword v7, v[10:11], off
	v_add_u32_e32 v0, s82, v116
	v_readlane_b32 s68, v119, 22
	v_ashrrev_i32_e32 v1, 31, v0
	v_lshl_add_u64 v[0:1], v[0:1], 2, s[0:1]
	v_add_u32_e32 v2, s68, v116
	v_ashrrev_i32_e32 v3, 31, v2
	v_readlane_b32 s68, v119, 23
	v_lshl_add_u64 v[2:3], v[2:3], 2, s[0:1]
	global_load_dword v38, v[0:1], off
	global_load_dword v39, v[2:3], off
	v_add_u32_e32 v0, s68, v116
	v_readlane_b32 s68, v119, 24
	v_ashrrev_i32_e32 v1, 31, v0
	v_lshl_add_u64 v[0:1], v[0:1], 2, s[0:1]
	v_add_u32_e32 v2, s68, v116
	v_readlane_b32 s68, v119, 25
	v_ashrrev_i32_e32 v3, 31, v2
	v_lshl_add_u64 v[2:3], v[2:3], 2, s[0:1]
	s_andn2_b64 vcc, exec, s[34:35]
	v_mov_b32_e32 v112, 0
	v_mov_b32_e32 v113, 0
	s_waitcnt vmcnt(17)
	ds_write_b32 v117, v18
	s_waitcnt vmcnt(16)
	ds_write_b32 v117, v22 offset:264
	s_waitcnt vmcnt(15)
	ds_write_b32 v117, v23 offset:528
	;; [unrolled: 2-line block ×15, first 2 shown]
	v_add_u32_e32 v4, s68, v116
	v_readlane_b32 s68, v119, 26
	v_ashrrev_i32_e32 v5, 31, v4
	ds_read_b64 v[28:29], v118
	ds_read_b64 v[26:27], v118 offset:32
	ds_read_b64 v[24:25], v118 offset:64
	ds_read_b64 v[22:23], v118 offset:96
	v_add_u32_e32 v6, s68, v116
	v_readlane_b32 s68, v119, 27
	v_ashrrev_i32_e32 v7, 31, v6
	v_lshl_add_u64 v[4:5], v[4:5], 2, s[0:1]
	v_add_u32_e32 v8, s68, v116
	v_readlane_b32 s68, v119, 28
	v_ashrrev_i32_e32 v9, 31, v8
	v_lshl_add_u64 v[6:7], v[6:7], 2, s[0:1]
	;; [unrolled: 4-line block ×4, first 2 shown]
	v_add_u32_e32 v14, s68, v116
	v_ashrrev_i32_e32 v15, 31, v14
	v_readlane_b32 s68, v119, 31
	v_lshl_add_u64 v[12:13], v[12:13], 2, s[0:1]
	v_lshl_add_u64 v[14:15], v[14:15], 2, s[0:1]
	global_load_dword v18, v[0:1], off
	global_load_dword v40, v[2:3], off
	global_load_dword v41, v[4:5], off
	global_load_dword v42, v[6:7], off
	global_load_dword v43, v[8:9], off
	global_load_dword v44, v[10:11], off
	global_load_dword v45, v[12:13], off
	global_load_dword v46, v[14:15], off
	v_add_u32_e32 v0, s68, v116
	v_ashrrev_i32_e32 v1, 31, v0
	v_add_u32_e32 v2, s93, v116
	v_add_u32_e32 v4, s94, v116
	v_add_u32_e32 v6, s95, v116
	v_add_u32_e32 v8, s96, v116
	v_add_u32_e32 v10, s97, v116
	v_add_u32_e32 v12, s98, v116
	v_add_u32_e32 v14, s99, v116
	v_lshl_add_u64 v[0:1], v[0:1], 2, s[0:1]
	v_ashrrev_i32_e32 v3, 31, v2
	v_ashrrev_i32_e32 v5, 31, v4
	v_ashrrev_i32_e32 v7, 31, v6
	v_ashrrev_i32_e32 v9, 31, v8
	v_ashrrev_i32_e32 v11, 31, v10
	v_ashrrev_i32_e32 v13, 31, v12
	v_ashrrev_i32_e32 v15, 31, v14
	v_lshl_add_u64 v[2:3], v[2:3], 2, s[0:1]
	v_lshl_add_u64 v[4:5], v[4:5], 2, s[0:1]
	v_lshl_add_u64 v[6:7], v[6:7], 2, s[0:1]
	v_lshl_add_u64 v[8:9], v[8:9], 2, s[0:1]
	v_lshl_add_u64 v[10:11], v[10:11], 2, s[0:1]
	v_lshl_add_u64 v[12:13], v[12:13], 2, s[0:1]
	v_lshl_add_u64 v[14:15], v[14:15], 2, s[0:1]
	global_load_dword v47, v[0:1], off
	global_load_dword v48, v[2:3], off
	global_load_dword v49, v[4:5], off
	global_load_dword v50, v[6:7], off
	global_load_dword v51, v[8:9], off
	global_load_dword v52, v[10:11], off
	global_load_dword v53, v[12:13], off
	global_load_dword v56, v[14:15], off
	v_add_u32_e32 v0, s24, v116
	v_ashrrev_i32_e32 v1, 31, v0
	v_add_u32_e32 v2, s25, v116
	v_add_u32_e32 v4, s28, v116
	v_add_u32_e32 v6, s29, v116
	v_add_u32_e32 v8, s11, v116
	v_add_u32_e32 v10, s22, v116
	v_add_u32_e32 v12, s23, v116
	v_add_u32_e32 v14, s30, v116
	v_lshl_add_u64 v[0:1], v[0:1], 2, s[0:1]
	v_ashrrev_i32_e32 v3, 31, v2
	v_ashrrev_i32_e32 v5, 31, v4
	v_ashrrev_i32_e32 v7, 31, v6
	v_ashrrev_i32_e32 v9, 31, v8
	v_ashrrev_i32_e32 v11, 31, v10
	v_ashrrev_i32_e32 v13, 31, v12
	v_ashrrev_i32_e32 v15, 31, v14
	v_lshl_add_u64 v[2:3], v[2:3], 2, s[0:1]
	v_lshl_add_u64 v[4:5], v[4:5], 2, s[0:1]
	v_lshl_add_u64 v[6:7], v[6:7], 2, s[0:1]
	v_lshl_add_u64 v[8:9], v[8:9], 2, s[0:1]
	v_lshl_add_u64 v[10:11], v[10:11], 2, s[0:1]
	;; [unrolled: 32-line block ×4, first 2 shown]
	v_lshl_add_u64 v[12:13], v[12:13], 2, s[0:1]
	v_lshl_add_u64 v[14:15], v[14:15], 2, s[0:1]
	global_load_dword v73, v[0:1], off
	global_load_dword v74, v[2:3], off
	;; [unrolled: 1-line block ×8, first 2 shown]
	v_add_u32_e32 v0, s85, v116
	v_ashrrev_i32_e32 v1, 31, v0
	v_add_u32_e32 v2, s86, v116
	v_add_u32_e32 v4, s87, v116
	;; [unrolled: 1-line block ×5, first 2 shown]
	v_lshl_add_u64 v[0:1], v[0:1], 2, s[0:1]
	v_ashrrev_i32_e32 v3, 31, v2
	v_ashrrev_i32_e32 v5, 31, v4
	;; [unrolled: 1-line block ×5, first 2 shown]
	v_lshl_add_u64 v[2:3], v[2:3], 2, s[0:1]
	v_lshl_add_u64 v[4:5], v[4:5], 2, s[0:1]
	;; [unrolled: 1-line block ×5, first 2 shown]
	global_load_dword v81, v[0:1], off
	global_load_dword v82, v[2:3], off
	;; [unrolled: 1-line block ×6, first 2 shown]
	ds_read_b64 v[36:37], v118 offset:128
	ds_read_b64 v[34:35], v118 offset:160
	ds_read_b64 v[32:33], v118 offset:192
	ds_read_b64 v[30:31], v118 offset:224
	s_waitcnt vmcnt(47)
	ds_write_b32 v117, v38
	s_waitcnt vmcnt(46)
	ds_write_b32 v117, v39 offset:264
	s_waitcnt vmcnt(45)
	ds_write_b32 v117, v18 offset:528
	s_waitcnt vmcnt(44)
	ds_write_b32 v117, v40 offset:792
	s_waitcnt vmcnt(43)
	ds_write_b32 v117, v41 offset:1056
	s_waitcnt vmcnt(42)
	ds_write_b32 v117, v42 offset:1320
	s_waitcnt vmcnt(41)
	ds_write_b32 v117, v43 offset:1584
	s_waitcnt vmcnt(40)
	ds_write_b32 v117, v44 offset:1848
	s_waitcnt vmcnt(39)
	ds_write_b32 v117, v45 offset:2112
	s_waitcnt vmcnt(38)
	ds_write_b32 v117, v46 offset:2376
	s_waitcnt vmcnt(37)
	ds_write_b32 v117, v47 offset:2640
	s_waitcnt vmcnt(36)
	ds_write_b32 v117, v48 offset:2904
	s_waitcnt vmcnt(35)
	ds_write_b32 v117, v49 offset:3168
	s_waitcnt vmcnt(34)
	ds_write_b32 v117, v50 offset:3432
	s_waitcnt vmcnt(33)
	ds_write_b32 v117, v51 offset:3696
	s_waitcnt vmcnt(32)
	ds_write_b32 v117, v52 offset:3960
	ds_read_b64 v[54:55], v118
	ds_read_b64 v[50:51], v118 offset:32
	ds_read_b64 v[48:49], v118 offset:64
	ds_read_b64 v[46:47], v118 offset:96
	ds_read_b64 v[44:45], v118 offset:128
	ds_read_b64 v[42:43], v118 offset:160
	ds_read_b64 v[40:41], v118 offset:192
	ds_read_b64 v[38:39], v118 offset:224
	s_waitcnt vmcnt(31)
	ds_write_b32 v117, v53
	s_waitcnt vmcnt(30)
	ds_write_b32 v117, v56 offset:264
	s_waitcnt vmcnt(29)
	ds_write_b32 v117, v57 offset:528
	s_waitcnt vmcnt(28)
	ds_write_b32 v117, v58 offset:792
	s_waitcnt vmcnt(27)
	ds_write_b32 v117, v59 offset:1056
	s_waitcnt vmcnt(26)
	ds_write_b32 v117, v60 offset:1320
	s_waitcnt vmcnt(25)
	ds_write_b32 v117, v61 offset:1584
	s_waitcnt vmcnt(24)
	ds_write_b32 v117, v62 offset:1848
	s_waitcnt vmcnt(23)
	ds_write_b32 v117, v63 offset:2112
	s_waitcnt vmcnt(22)
	ds_write_b32 v117, v64 offset:2376
	s_waitcnt vmcnt(21)
	ds_write_b32 v117, v65 offset:2640
	s_waitcnt vmcnt(20)
	ds_write_b32 v117, v66 offset:2904
	s_waitcnt vmcnt(19)
	ds_write_b32 v117, v67 offset:3168
	s_waitcnt vmcnt(18)
	ds_write_b32 v117, v68 offset:3432
	s_waitcnt vmcnt(17)
	ds_write_b32 v117, v69 offset:3696
	s_waitcnt vmcnt(16)
	ds_write_b32 v117, v70 offset:3960
	ds_read_b64 v[68:69], v118
	ds_read_b64 v[66:67], v118 offset:32
	ds_read_b64 v[64:65], v118 offset:64
	ds_read_b64 v[62:63], v118 offset:96
	;; [unrolled: 40-line block ×3, first 2 shown]
	ds_read_b64 v[80:81], v118 offset:128
	ds_read_b64 v[76:77], v118 offset:160
	;; [unrolled: 1-line block ×4, first 2 shown]
	v_accvgpr_read_b32 v3, a15
	v_accvgpr_read_b32 v2, a14
	;; [unrolled: 1-line block ×16, first 2 shown]
	s_cbranch_vccnz .LBB126_9
; %bb.7:                                ;   in Loop: Header=BB126_6 Depth=1
	s_load_dword s68, s[36:37], 0x0
	v_mov_b32_e32 v113, 0
	v_mov_b32_e32 v112, 0
	s_waitcnt lgkmcnt(0)
	s_mul_hi_u32 s69, s68, s16
	s_add_i32 s69, s68, s69
	s_lshr_b32 s69, s69, s17
	s_cmp_ge_i32 s69, s13
	s_cbranch_scc1 .LBB126_9
; %bb.8:                                ;   in Loop: Header=BB126_6 Depth=1
	s_mul_i32 vcc_lo, s69, s18
	s_sub_i32 s68, s68, vcc_lo
	s_mul_i32 s69, s69, s20
	s_mul_i32 s68, s68, s9
	v_add_u32_e32 v18, s69, v116
	v_lshl_add_u32 v86, v18, 1, s68
	v_ashrrev_i32_e32 v87, 31, v86
	v_lshl_add_u64 v[86:87], v[86:87], 2, s[6:7]
	global_load_dwordx2 v[112:113], v[86:87], off
.LBB126_9:                              ;   in Loop: Header=BB126_6 Depth=1
	s_andn2_b64 vcc, exec, s[38:39]
	v_mov_b32_e32 v106, 0
	v_mov_b32_e32 v110, 0
	v_mov_b32_e32 v111, 0
	s_cbranch_vccnz .LBB126_12
; %bb.10:                               ;   in Loop: Header=BB126_6 Depth=1
	s_load_dword s68, s[36:37], 0x4
	v_mov_b32_e32 v111, 0
	v_mov_b32_e32 v110, 0
	s_waitcnt lgkmcnt(0)
	s_mul_hi_u32 s69, s68, s16
	s_add_i32 s69, s68, s69
	s_lshr_b32 s69, s69, s17
	s_cmp_ge_i32 s69, s13
	s_cbranch_scc1 .LBB126_12
; %bb.11:                               ;   in Loop: Header=BB126_6 Depth=1
	s_mul_i32 vcc_lo, s69, s18
	s_sub_i32 s68, s68, vcc_lo
	s_mul_i32 s69, s69, s20
	s_mul_i32 s68, s68, s9
	v_add_u32_e32 v18, s69, v116
	v_lshl_add_u32 v86, v18, 1, s68
	v_ashrrev_i32_e32 v87, 31, v86
	v_lshl_add_u64 v[86:87], v[86:87], 2, s[6:7]
	global_load_dwordx2 v[110:111], v[86:87], off
.LBB126_12:                             ;   in Loop: Header=BB126_6 Depth=1
	s_andn2_b64 vcc, exec, s[40:41]
	v_mov_b32_e32 v107, 0
	s_cbranch_vccnz .LBB126_15
; %bb.13:                               ;   in Loop: Header=BB126_6 Depth=1
	s_load_dword s68, s[36:37], 0x8
	v_mov_b32_e32 v107, 0
	v_mov_b32_e32 v106, 0
	s_waitcnt lgkmcnt(0)
	s_mul_hi_u32 s69, s68, s16
	s_add_i32 s69, s68, s69
	s_lshr_b32 s69, s69, s17
	s_cmp_ge_i32 s69, s13
	s_cbranch_scc1 .LBB126_15
; %bb.14:                               ;   in Loop: Header=BB126_6 Depth=1
	s_mul_i32 vcc_lo, s69, s18
	s_sub_i32 s68, s68, vcc_lo
	s_mul_i32 s69, s69, s20
	s_mul_i32 s68, s68, s9
	v_add_u32_e32 v18, s69, v116
	v_lshl_add_u32 v86, v18, 1, s68
	v_ashrrev_i32_e32 v87, 31, v86
	v_lshl_add_u64 v[86:87], v[86:87], 2, s[6:7]
	global_load_dwordx2 v[106:107], v[86:87], off
.LBB126_15:                             ;   in Loop: Header=BB126_6 Depth=1
	s_andn2_b64 vcc, exec, s[42:43]
	v_mov_b32_e32 v102, 0
	v_mov_b32_e32 v108, 0
	v_mov_b32_e32 v109, 0
	s_cbranch_vccnz .LBB126_18
; %bb.16:                               ;   in Loop: Header=BB126_6 Depth=1
	s_load_dword s68, s[36:37], 0xc
	v_mov_b32_e32 v109, 0
	v_mov_b32_e32 v108, 0
	s_waitcnt lgkmcnt(0)
	s_mul_hi_u32 s69, s68, s16
	s_add_i32 s69, s68, s69
	s_lshr_b32 s69, s69, s17
	s_cmp_ge_i32 s69, s13
	s_cbranch_scc1 .LBB126_18
; %bb.17:                               ;   in Loop: Header=BB126_6 Depth=1
	s_mul_i32 vcc_lo, s69, s18
	s_sub_i32 s68, s68, vcc_lo
	s_mul_i32 s69, s69, s20
	s_mul_i32 s68, s68, s9
	v_add_u32_e32 v18, s69, v116
	v_lshl_add_u32 v86, v18, 1, s68
	v_ashrrev_i32_e32 v87, 31, v86
	v_lshl_add_u64 v[86:87], v[86:87], 2, s[6:7]
	global_load_dwordx2 v[108:109], v[86:87], off
.LBB126_18:                             ;   in Loop: Header=BB126_6 Depth=1
	s_andn2_b64 vcc, exec, s[44:45]
	v_mov_b32_e32 v103, 0
	s_cbranch_vccnz .LBB126_21
; %bb.19:                               ;   in Loop: Header=BB126_6 Depth=1
	s_load_dword s68, s[36:37], 0x10
	v_mov_b32_e32 v103, 0
	v_mov_b32_e32 v102, 0
	s_waitcnt lgkmcnt(0)
	s_mul_hi_u32 s69, s68, s16
	s_add_i32 s69, s68, s69
	s_lshr_b32 s69, s69, s17
	s_cmp_ge_i32 s69, s13
	s_cbranch_scc1 .LBB126_21
; %bb.20:                               ;   in Loop: Header=BB126_6 Depth=1
	s_mul_i32 vcc_lo, s69, s18
	s_sub_i32 s68, s68, vcc_lo
	s_mul_i32 s69, s69, s20
	s_mul_i32 s68, s68, s9
	v_add_u32_e32 v18, s69, v116
	v_lshl_add_u32 v86, v18, 1, s68
	v_ashrrev_i32_e32 v87, 31, v86
	v_lshl_add_u64 v[86:87], v[86:87], 2, s[6:7]
	global_load_dwordx2 v[102:103], v[86:87], off
.LBB126_21:                             ;   in Loop: Header=BB126_6 Depth=1
	;; [unrolled: 50-line block ×6, first 2 shown]
	s_andn2_b64 vcc, exec, s[62:63]
	v_mov_b32_e32 v88, 0
	v_mov_b32_e32 v89, 0
	s_cbranch_vccnz .LBB126_48
; %bb.46:                               ;   in Loop: Header=BB126_6 Depth=1
	s_load_dword s68, s[36:37], 0x34
	v_mov_b32_e32 v89, 0
	v_mov_b32_e32 v88, 0
	s_waitcnt lgkmcnt(0)
	s_mul_hi_u32 s69, s68, s16
	s_add_i32 s69, s68, s69
	s_lshr_b32 s69, s69, s17
	s_cmp_ge_i32 s69, s13
	s_cbranch_scc1 .LBB126_48
; %bb.47:                               ;   in Loop: Header=BB126_6 Depth=1
	s_mul_i32 vcc_lo, s69, s18
	s_sub_i32 s68, s68, vcc_lo
	s_mul_i32 s69, s69, s20
	s_mul_i32 s68, s68, s9
	v_add_u32_e32 v18, s69, v116
	v_lshl_add_u32 v88, v18, 1, s68
	v_ashrrev_i32_e32 v89, 31, v88
	v_lshl_add_u64 v[88:89], v[88:89], 2, s[6:7]
	global_load_dwordx2 v[88:89], v[88:89], off
.LBB126_48:                             ;   in Loop: Header=BB126_6 Depth=1
	s_waitcnt vmcnt(0)
	v_and_b32_e32 v18, 0x7f800000, v112
	v_cmp_ne_u32_e32 vcc, s90, v18
                                        ; implicit-def: $vgpr18
	s_and_saveexec_b64 s[68:69], vcc
	s_xor_b64 s[68:69], exec, s[68:69]
; %bb.49:                               ;   in Loop: Header=BB126_6 Depth=1
	v_bfe_u32 v18, v112, 16, 1
	v_add3_u32 v18, v112, v18, s91
; %bb.50:                               ;   in Loop: Header=BB126_6 Depth=1
	s_andn2_saveexec_b64 s[68:69], s[68:69]
; %bb.51:                               ;   in Loop: Header=BB126_6 Depth=1
	v_or_b32_e32 v18, 0x10000, v112
	v_cmp_eq_u32_sdwa vcc, v112, v19 src0_sel:WORD_0 src1_sel:DWORD
	s_nop 1
	v_cndmask_b32_e32 v18, v18, v112, vcc
; %bb.52:                               ;   in Loop: Header=BB126_6 Depth=1
	s_or_b64 exec, exec, s[68:69]
	v_and_b32_e32 v112, 0x7f800000, v113
	v_cmp_ne_u32_e32 vcc, s90, v112
                                        ; implicit-def: $vgpr112
	s_and_saveexec_b64 s[68:69], vcc
	s_xor_b64 s[68:69], exec, s[68:69]
; %bb.53:                               ;   in Loop: Header=BB126_6 Depth=1
	v_bfe_u32 v112, v113, 16, 1
	v_add3_u32 v112, v113, v112, s91
                                        ; implicit-def: $vgpr113
; %bb.54:                               ;   in Loop: Header=BB126_6 Depth=1
	s_andn2_saveexec_b64 s[68:69], s[68:69]
; %bb.55:                               ;   in Loop: Header=BB126_6 Depth=1
	v_or_b32_e32 v112, 0x10000, v113
	v_cmp_eq_u32_sdwa vcc, v113, v19 src0_sel:WORD_0 src1_sel:DWORD
	s_nop 1
	v_cndmask_b32_e32 v112, v112, v113, vcc
; %bb.56:                               ;   in Loop: Header=BB126_6 Depth=1
	s_or_b64 exec, exec, s[68:69]
	v_perm_b32 v18, v112, v18, s92
	ds_write_b32 v117, v18
	v_and_b32_e32 v18, 0x7f800000, v110
	v_cmp_ne_u32_e32 vcc, s90, v18
                                        ; implicit-def: $vgpr18
	s_and_saveexec_b64 s[68:69], vcc
	s_xor_b64 s[68:69], exec, s[68:69]
; %bb.57:                               ;   in Loop: Header=BB126_6 Depth=1
	v_bfe_u32 v18, v110, 16, 1
	v_add3_u32 v18, v110, v18, s91
; %bb.58:                               ;   in Loop: Header=BB126_6 Depth=1
	s_andn2_saveexec_b64 s[68:69], s[68:69]
; %bb.59:                               ;   in Loop: Header=BB126_6 Depth=1
	v_or_b32_e32 v18, 0x10000, v110
	v_cmp_eq_u32_sdwa vcc, v110, v19 src0_sel:WORD_0 src1_sel:DWORD
	s_nop 1
	v_cndmask_b32_e32 v18, v18, v110, vcc
; %bb.60:                               ;   in Loop: Header=BB126_6 Depth=1
	s_or_b64 exec, exec, s[68:69]
	v_and_b32_e32 v110, 0x7f800000, v111
	v_cmp_ne_u32_e32 vcc, s90, v110
                                        ; implicit-def: $vgpr110
	s_and_saveexec_b64 s[68:69], vcc
	s_xor_b64 s[68:69], exec, s[68:69]
; %bb.61:                               ;   in Loop: Header=BB126_6 Depth=1
	v_bfe_u32 v110, v111, 16, 1
	v_add3_u32 v110, v111, v110, s91
                                        ; implicit-def: $vgpr111
; %bb.62:                               ;   in Loop: Header=BB126_6 Depth=1
	s_andn2_saveexec_b64 s[68:69], s[68:69]
; %bb.63:                               ;   in Loop: Header=BB126_6 Depth=1
	v_or_b32_e32 v110, 0x10000, v111
	v_cmp_eq_u32_sdwa vcc, v111, v19 src0_sel:WORD_0 src1_sel:DWORD
	s_nop 1
	v_cndmask_b32_e32 v110, v110, v111, vcc
; %bb.64:                               ;   in Loop: Header=BB126_6 Depth=1
	s_or_b64 exec, exec, s[68:69]
	v_perm_b32 v18, v110, v18, s92
	ds_write_b32 v117, v18 offset:264
	v_and_b32_e32 v18, 0x7f800000, v106
	v_cmp_ne_u32_e32 vcc, s90, v18
                                        ; implicit-def: $vgpr18
	s_and_saveexec_b64 s[68:69], vcc
	s_xor_b64 s[68:69], exec, s[68:69]
; %bb.65:                               ;   in Loop: Header=BB126_6 Depth=1
	v_bfe_u32 v18, v106, 16, 1
	v_add3_u32 v18, v106, v18, s91
; %bb.66:                               ;   in Loop: Header=BB126_6 Depth=1
	s_andn2_saveexec_b64 s[68:69], s[68:69]
; %bb.67:                               ;   in Loop: Header=BB126_6 Depth=1
	v_or_b32_e32 v18, 0x10000, v106
	v_cmp_eq_u32_sdwa vcc, v106, v19 src0_sel:WORD_0 src1_sel:DWORD
	s_nop 1
	v_cndmask_b32_e32 v18, v18, v106, vcc
; %bb.68:                               ;   in Loop: Header=BB126_6 Depth=1
	s_or_b64 exec, exec, s[68:69]
	v_and_b32_e32 v106, 0x7f800000, v107
	v_cmp_ne_u32_e32 vcc, s90, v106
                                        ; implicit-def: $vgpr106
	s_and_saveexec_b64 s[68:69], vcc
	s_xor_b64 s[68:69], exec, s[68:69]
; %bb.69:                               ;   in Loop: Header=BB126_6 Depth=1
	v_bfe_u32 v106, v107, 16, 1
	v_add3_u32 v106, v107, v106, s91
                                        ; implicit-def: $vgpr107
; %bb.70:                               ;   in Loop: Header=BB126_6 Depth=1
	s_andn2_saveexec_b64 s[68:69], s[68:69]
; %bb.71:                               ;   in Loop: Header=BB126_6 Depth=1
	v_or_b32_e32 v106, 0x10000, v107
	v_cmp_eq_u32_sdwa vcc, v107, v19 src0_sel:WORD_0 src1_sel:DWORD
	s_nop 1
	v_cndmask_b32_e32 v106, v106, v107, vcc
; %bb.72:                               ;   in Loop: Header=BB126_6 Depth=1
	s_or_b64 exec, exec, s[68:69]
	v_perm_b32 v18, v106, v18, s92
	ds_write_b32 v117, v18 offset:528
	v_and_b32_e32 v18, 0x7f800000, v108
	v_cmp_ne_u32_e32 vcc, s90, v18
                                        ; implicit-def: $vgpr18
	s_and_saveexec_b64 s[68:69], vcc
	s_xor_b64 s[68:69], exec, s[68:69]
; %bb.73:                               ;   in Loop: Header=BB126_6 Depth=1
	v_bfe_u32 v18, v108, 16, 1
	v_add3_u32 v18, v108, v18, s91
; %bb.74:                               ;   in Loop: Header=BB126_6 Depth=1
	s_andn2_saveexec_b64 s[68:69], s[68:69]
; %bb.75:                               ;   in Loop: Header=BB126_6 Depth=1
	v_or_b32_e32 v18, 0x10000, v108
	v_cmp_eq_u32_sdwa vcc, v108, v19 src0_sel:WORD_0 src1_sel:DWORD
	s_nop 1
	v_cndmask_b32_e32 v18, v18, v108, vcc
; %bb.76:                               ;   in Loop: Header=BB126_6 Depth=1
	s_or_b64 exec, exec, s[68:69]
	v_and_b32_e32 v106, 0x7f800000, v109
	v_cmp_ne_u32_e32 vcc, s90, v106
                                        ; implicit-def: $vgpr106
	s_and_saveexec_b64 s[68:69], vcc
	s_xor_b64 s[68:69], exec, s[68:69]
; %bb.77:                               ;   in Loop: Header=BB126_6 Depth=1
	v_bfe_u32 v106, v109, 16, 1
	v_add3_u32 v106, v109, v106, s91
                                        ; implicit-def: $vgpr109
; %bb.78:                               ;   in Loop: Header=BB126_6 Depth=1
	s_andn2_saveexec_b64 s[68:69], s[68:69]
; %bb.79:                               ;   in Loop: Header=BB126_6 Depth=1
	v_or_b32_e32 v106, 0x10000, v109
	v_cmp_eq_u32_sdwa vcc, v109, v19 src0_sel:WORD_0 src1_sel:DWORD
	s_nop 1
	v_cndmask_b32_e32 v106, v106, v109, vcc
; %bb.80:                               ;   in Loop: Header=BB126_6 Depth=1
	s_or_b64 exec, exec, s[68:69]
	v_perm_b32 v18, v106, v18, s92
	ds_write_b32 v117, v18 offset:792
	v_and_b32_e32 v18, 0x7f800000, v102
	v_cmp_ne_u32_e32 vcc, s90, v18
                                        ; implicit-def: $vgpr18
	s_and_saveexec_b64 s[68:69], vcc
	s_xor_b64 s[68:69], exec, s[68:69]
; %bb.81:                               ;   in Loop: Header=BB126_6 Depth=1
	v_bfe_u32 v18, v102, 16, 1
	v_add3_u32 v18, v102, v18, s91
; %bb.82:                               ;   in Loop: Header=BB126_6 Depth=1
	s_andn2_saveexec_b64 s[68:69], s[68:69]
; %bb.83:                               ;   in Loop: Header=BB126_6 Depth=1
	v_or_b32_e32 v18, 0x10000, v102
	v_cmp_eq_u32_sdwa vcc, v102, v19 src0_sel:WORD_0 src1_sel:DWORD
	s_nop 1
	v_cndmask_b32_e32 v18, v18, v102, vcc
; %bb.84:                               ;   in Loop: Header=BB126_6 Depth=1
	s_or_b64 exec, exec, s[68:69]
	v_and_b32_e32 v102, 0x7f800000, v103
	v_cmp_ne_u32_e32 vcc, s90, v102
                                        ; implicit-def: $vgpr102
	s_and_saveexec_b64 s[68:69], vcc
	s_xor_b64 s[68:69], exec, s[68:69]
; %bb.85:                               ;   in Loop: Header=BB126_6 Depth=1
	v_bfe_u32 v102, v103, 16, 1
	v_add3_u32 v102, v103, v102, s91
                                        ; implicit-def: $vgpr103
; %bb.86:                               ;   in Loop: Header=BB126_6 Depth=1
	s_andn2_saveexec_b64 s[68:69], s[68:69]
; %bb.87:                               ;   in Loop: Header=BB126_6 Depth=1
	v_or_b32_e32 v102, 0x10000, v103
	v_cmp_eq_u32_sdwa vcc, v103, v19 src0_sel:WORD_0 src1_sel:DWORD
	s_nop 1
	v_cndmask_b32_e32 v102, v102, v103, vcc
; %bb.88:                               ;   in Loop: Header=BB126_6 Depth=1
	s_or_b64 exec, exec, s[68:69]
	v_perm_b32 v18, v102, v18, s92
	ds_write_b32 v117, v18 offset:1056
	v_and_b32_e32 v18, 0x7f800000, v104
	v_cmp_ne_u32_e32 vcc, s90, v18
                                        ; implicit-def: $vgpr18
	s_and_saveexec_b64 s[68:69], vcc
	s_xor_b64 s[68:69], exec, s[68:69]
; %bb.89:                               ;   in Loop: Header=BB126_6 Depth=1
	v_bfe_u32 v18, v104, 16, 1
	v_add3_u32 v18, v104, v18, s91
; %bb.90:                               ;   in Loop: Header=BB126_6 Depth=1
	s_andn2_saveexec_b64 s[68:69], s[68:69]
; %bb.91:                               ;   in Loop: Header=BB126_6 Depth=1
	v_or_b32_e32 v18, 0x10000, v104
	v_cmp_eq_u32_sdwa vcc, v104, v19 src0_sel:WORD_0 src1_sel:DWORD
	s_nop 1
	v_cndmask_b32_e32 v18, v18, v104, vcc
; %bb.92:                               ;   in Loop: Header=BB126_6 Depth=1
	s_or_b64 exec, exec, s[68:69]
	v_and_b32_e32 v102, 0x7f800000, v105
	v_cmp_ne_u32_e32 vcc, s90, v102
                                        ; implicit-def: $vgpr102
	s_and_saveexec_b64 s[68:69], vcc
	s_xor_b64 s[68:69], exec, s[68:69]
; %bb.93:                               ;   in Loop: Header=BB126_6 Depth=1
	v_bfe_u32 v102, v105, 16, 1
	v_add3_u32 v102, v105, v102, s91
                                        ; implicit-def: $vgpr105
; %bb.94:                               ;   in Loop: Header=BB126_6 Depth=1
	s_andn2_saveexec_b64 s[68:69], s[68:69]
; %bb.95:                               ;   in Loop: Header=BB126_6 Depth=1
	v_or_b32_e32 v102, 0x10000, v105
	v_cmp_eq_u32_sdwa vcc, v105, v19 src0_sel:WORD_0 src1_sel:DWORD
	s_nop 1
	v_cndmask_b32_e32 v102, v102, v105, vcc
; %bb.96:                               ;   in Loop: Header=BB126_6 Depth=1
	s_or_b64 exec, exec, s[68:69]
	v_perm_b32 v18, v102, v18, s92
	ds_write_b32 v117, v18 offset:1320
	v_and_b32_e32 v18, 0x7f800000, v98
	v_cmp_ne_u32_e32 vcc, s90, v18
                                        ; implicit-def: $vgpr18
	s_and_saveexec_b64 s[68:69], vcc
	s_xor_b64 s[68:69], exec, s[68:69]
; %bb.97:                               ;   in Loop: Header=BB126_6 Depth=1
	v_bfe_u32 v18, v98, 16, 1
	v_add3_u32 v18, v98, v18, s91
; %bb.98:                               ;   in Loop: Header=BB126_6 Depth=1
	s_andn2_saveexec_b64 s[68:69], s[68:69]
; %bb.99:                               ;   in Loop: Header=BB126_6 Depth=1
	v_or_b32_e32 v18, 0x10000, v98
	v_cmp_eq_u32_sdwa vcc, v98, v19 src0_sel:WORD_0 src1_sel:DWORD
	s_nop 1
	v_cndmask_b32_e32 v18, v18, v98, vcc
; %bb.100:                              ;   in Loop: Header=BB126_6 Depth=1
	s_or_b64 exec, exec, s[68:69]
	v_and_b32_e32 v98, 0x7f800000, v99
	v_cmp_ne_u32_e32 vcc, s90, v98
                                        ; implicit-def: $vgpr98
	s_and_saveexec_b64 s[68:69], vcc
	s_xor_b64 s[68:69], exec, s[68:69]
; %bb.101:                              ;   in Loop: Header=BB126_6 Depth=1
	v_bfe_u32 v98, v99, 16, 1
	v_add3_u32 v98, v99, v98, s91
                                        ; implicit-def: $vgpr99
; %bb.102:                              ;   in Loop: Header=BB126_6 Depth=1
	s_andn2_saveexec_b64 s[68:69], s[68:69]
; %bb.103:                              ;   in Loop: Header=BB126_6 Depth=1
	v_or_b32_e32 v98, 0x10000, v99
	v_cmp_eq_u32_sdwa vcc, v99, v19 src0_sel:WORD_0 src1_sel:DWORD
	s_nop 1
	v_cndmask_b32_e32 v98, v98, v99, vcc
; %bb.104:                              ;   in Loop: Header=BB126_6 Depth=1
	s_or_b64 exec, exec, s[68:69]
	v_perm_b32 v18, v98, v18, s92
	ds_write_b32 v117, v18 offset:1584
	v_and_b32_e32 v18, 0x7f800000, v100
	v_cmp_ne_u32_e32 vcc, s90, v18
                                        ; implicit-def: $vgpr18
	s_and_saveexec_b64 s[68:69], vcc
	s_xor_b64 s[68:69], exec, s[68:69]
; %bb.105:                              ;   in Loop: Header=BB126_6 Depth=1
	v_bfe_u32 v18, v100, 16, 1
	v_add3_u32 v18, v100, v18, s91
; %bb.106:                              ;   in Loop: Header=BB126_6 Depth=1
	s_andn2_saveexec_b64 s[68:69], s[68:69]
; %bb.107:                              ;   in Loop: Header=BB126_6 Depth=1
	v_or_b32_e32 v18, 0x10000, v100
	v_cmp_eq_u32_sdwa vcc, v100, v19 src0_sel:WORD_0 src1_sel:DWORD
	s_nop 1
	v_cndmask_b32_e32 v18, v18, v100, vcc
; %bb.108:                              ;   in Loop: Header=BB126_6 Depth=1
	s_or_b64 exec, exec, s[68:69]
	v_and_b32_e32 v98, 0x7f800000, v101
	v_cmp_ne_u32_e32 vcc, s90, v98
                                        ; implicit-def: $vgpr98
	s_and_saveexec_b64 s[68:69], vcc
	s_xor_b64 s[68:69], exec, s[68:69]
; %bb.109:                              ;   in Loop: Header=BB126_6 Depth=1
	v_bfe_u32 v98, v101, 16, 1
	v_add3_u32 v98, v101, v98, s91
                                        ; implicit-def: $vgpr101
; %bb.110:                              ;   in Loop: Header=BB126_6 Depth=1
	s_andn2_saveexec_b64 s[68:69], s[68:69]
; %bb.111:                              ;   in Loop: Header=BB126_6 Depth=1
	v_or_b32_e32 v98, 0x10000, v101
	v_cmp_eq_u32_sdwa vcc, v101, v19 src0_sel:WORD_0 src1_sel:DWORD
	s_nop 1
	v_cndmask_b32_e32 v98, v98, v101, vcc
; %bb.112:                              ;   in Loop: Header=BB126_6 Depth=1
	s_or_b64 exec, exec, s[68:69]
	v_perm_b32 v18, v98, v18, s92
	ds_write_b32 v117, v18 offset:1848
	v_and_b32_e32 v18, 0x7f800000, v94
	v_cmp_ne_u32_e32 vcc, s90, v18
                                        ; implicit-def: $vgpr18
	s_and_saveexec_b64 s[68:69], vcc
	s_xor_b64 s[68:69], exec, s[68:69]
; %bb.113:                              ;   in Loop: Header=BB126_6 Depth=1
	v_bfe_u32 v18, v94, 16, 1
	v_add3_u32 v18, v94, v18, s91
; %bb.114:                              ;   in Loop: Header=BB126_6 Depth=1
	s_andn2_saveexec_b64 s[68:69], s[68:69]
; %bb.115:                              ;   in Loop: Header=BB126_6 Depth=1
	v_or_b32_e32 v18, 0x10000, v94
	v_cmp_eq_u32_sdwa vcc, v94, v19 src0_sel:WORD_0 src1_sel:DWORD
	s_nop 1
	v_cndmask_b32_e32 v18, v18, v94, vcc
; %bb.116:                              ;   in Loop: Header=BB126_6 Depth=1
	s_or_b64 exec, exec, s[68:69]
	v_and_b32_e32 v94, 0x7f800000, v95
	v_cmp_ne_u32_e32 vcc, s90, v94
                                        ; implicit-def: $vgpr94
	s_and_saveexec_b64 s[68:69], vcc
	s_xor_b64 s[68:69], exec, s[68:69]
; %bb.117:                              ;   in Loop: Header=BB126_6 Depth=1
	v_bfe_u32 v94, v95, 16, 1
	v_add3_u32 v94, v95, v94, s91
                                        ; implicit-def: $vgpr95
; %bb.118:                              ;   in Loop: Header=BB126_6 Depth=1
	s_andn2_saveexec_b64 s[68:69], s[68:69]
; %bb.119:                              ;   in Loop: Header=BB126_6 Depth=1
	v_or_b32_e32 v94, 0x10000, v95
	v_cmp_eq_u32_sdwa vcc, v95, v19 src0_sel:WORD_0 src1_sel:DWORD
	s_nop 1
	v_cndmask_b32_e32 v94, v94, v95, vcc
; %bb.120:                              ;   in Loop: Header=BB126_6 Depth=1
	s_or_b64 exec, exec, s[68:69]
	v_perm_b32 v18, v94, v18, s92
	ds_write_b32 v117, v18 offset:2112
	v_and_b32_e32 v18, 0x7f800000, v96
	v_cmp_ne_u32_e32 vcc, s90, v18
                                        ; implicit-def: $vgpr18
	s_and_saveexec_b64 s[68:69], vcc
	s_xor_b64 s[68:69], exec, s[68:69]
; %bb.121:                              ;   in Loop: Header=BB126_6 Depth=1
	v_bfe_u32 v18, v96, 16, 1
	v_add3_u32 v18, v96, v18, s91
; %bb.122:                              ;   in Loop: Header=BB126_6 Depth=1
	s_andn2_saveexec_b64 s[68:69], s[68:69]
; %bb.123:                              ;   in Loop: Header=BB126_6 Depth=1
	v_or_b32_e32 v18, 0x10000, v96
	v_cmp_eq_u32_sdwa vcc, v96, v19 src0_sel:WORD_0 src1_sel:DWORD
	s_nop 1
	v_cndmask_b32_e32 v18, v18, v96, vcc
; %bb.124:                              ;   in Loop: Header=BB126_6 Depth=1
	s_or_b64 exec, exec, s[68:69]
	v_and_b32_e32 v94, 0x7f800000, v97
	v_cmp_ne_u32_e32 vcc, s90, v94
                                        ; implicit-def: $vgpr94
	s_and_saveexec_b64 s[68:69], vcc
	s_xor_b64 s[68:69], exec, s[68:69]
; %bb.125:                              ;   in Loop: Header=BB126_6 Depth=1
	v_bfe_u32 v94, v97, 16, 1
	v_add3_u32 v94, v97, v94, s91
                                        ; implicit-def: $vgpr97
; %bb.126:                              ;   in Loop: Header=BB126_6 Depth=1
	s_andn2_saveexec_b64 s[68:69], s[68:69]
; %bb.127:                              ;   in Loop: Header=BB126_6 Depth=1
	v_or_b32_e32 v94, 0x10000, v97
	v_cmp_eq_u32_sdwa vcc, v97, v19 src0_sel:WORD_0 src1_sel:DWORD
	s_nop 1
	v_cndmask_b32_e32 v94, v94, v97, vcc
; %bb.128:                              ;   in Loop: Header=BB126_6 Depth=1
	s_or_b64 exec, exec, s[68:69]
	v_perm_b32 v18, v94, v18, s92
	ds_write_b32 v117, v18 offset:2376
	v_and_b32_e32 v18, 0x7f800000, v90
	v_cmp_ne_u32_e32 vcc, s90, v18
                                        ; implicit-def: $vgpr18
	s_and_saveexec_b64 s[68:69], vcc
	s_xor_b64 s[68:69], exec, s[68:69]
; %bb.129:                              ;   in Loop: Header=BB126_6 Depth=1
	v_bfe_u32 v18, v90, 16, 1
	v_add3_u32 v18, v90, v18, s91
; %bb.130:                              ;   in Loop: Header=BB126_6 Depth=1
	s_andn2_saveexec_b64 s[68:69], s[68:69]
; %bb.131:                              ;   in Loop: Header=BB126_6 Depth=1
	v_or_b32_e32 v18, 0x10000, v90
	v_cmp_eq_u32_sdwa vcc, v90, v19 src0_sel:WORD_0 src1_sel:DWORD
	s_nop 1
	v_cndmask_b32_e32 v18, v18, v90, vcc
; %bb.132:                              ;   in Loop: Header=BB126_6 Depth=1
	s_or_b64 exec, exec, s[68:69]
	v_and_b32_e32 v90, 0x7f800000, v91
	v_cmp_ne_u32_e32 vcc, s90, v90
                                        ; implicit-def: $vgpr90
	s_and_saveexec_b64 s[68:69], vcc
	s_xor_b64 s[68:69], exec, s[68:69]
; %bb.133:                              ;   in Loop: Header=BB126_6 Depth=1
	v_bfe_u32 v90, v91, 16, 1
	v_add3_u32 v90, v91, v90, s91
                                        ; implicit-def: $vgpr91
; %bb.134:                              ;   in Loop: Header=BB126_6 Depth=1
	s_andn2_saveexec_b64 s[68:69], s[68:69]
; %bb.135:                              ;   in Loop: Header=BB126_6 Depth=1
	v_or_b32_e32 v90, 0x10000, v91
	v_cmp_eq_u32_sdwa vcc, v91, v19 src0_sel:WORD_0 src1_sel:DWORD
	s_nop 1
	v_cndmask_b32_e32 v90, v90, v91, vcc
; %bb.136:                              ;   in Loop: Header=BB126_6 Depth=1
	s_or_b64 exec, exec, s[68:69]
	v_perm_b32 v18, v90, v18, s92
	ds_write_b32 v117, v18 offset:2640
	v_and_b32_e32 v18, 0x7f800000, v92
	v_cmp_ne_u32_e32 vcc, s90, v18
                                        ; implicit-def: $vgpr18
	s_and_saveexec_b64 s[68:69], vcc
	s_xor_b64 s[68:69], exec, s[68:69]
; %bb.137:                              ;   in Loop: Header=BB126_6 Depth=1
	v_bfe_u32 v18, v92, 16, 1
	v_add3_u32 v18, v92, v18, s91
; %bb.138:                              ;   in Loop: Header=BB126_6 Depth=1
	s_andn2_saveexec_b64 s[68:69], s[68:69]
; %bb.139:                              ;   in Loop: Header=BB126_6 Depth=1
	v_or_b32_e32 v18, 0x10000, v92
	v_cmp_eq_u32_sdwa vcc, v92, v19 src0_sel:WORD_0 src1_sel:DWORD
	s_nop 1
	v_cndmask_b32_e32 v18, v18, v92, vcc
; %bb.140:                              ;   in Loop: Header=BB126_6 Depth=1
	s_or_b64 exec, exec, s[68:69]
	v_and_b32_e32 v90, 0x7f800000, v93
	v_cmp_ne_u32_e32 vcc, s90, v90
                                        ; implicit-def: $vgpr90
	s_and_saveexec_b64 s[68:69], vcc
	s_xor_b64 s[68:69], exec, s[68:69]
; %bb.141:                              ;   in Loop: Header=BB126_6 Depth=1
	v_bfe_u32 v90, v93, 16, 1
	v_add3_u32 v90, v93, v90, s91
                                        ; implicit-def: $vgpr93
; %bb.142:                              ;   in Loop: Header=BB126_6 Depth=1
	s_andn2_saveexec_b64 s[68:69], s[68:69]
; %bb.143:                              ;   in Loop: Header=BB126_6 Depth=1
	v_or_b32_e32 v90, 0x10000, v93
	v_cmp_eq_u32_sdwa vcc, v93, v19 src0_sel:WORD_0 src1_sel:DWORD
	s_nop 1
	v_cndmask_b32_e32 v90, v90, v93, vcc
; %bb.144:                              ;   in Loop: Header=BB126_6 Depth=1
	s_or_b64 exec, exec, s[68:69]
	v_perm_b32 v18, v90, v18, s92
	ds_write_b32 v117, v18 offset:2904
	v_and_b32_e32 v18, 0x7f800000, v86
	v_cmp_ne_u32_e32 vcc, s90, v18
                                        ; implicit-def: $vgpr18
	s_and_saveexec_b64 s[68:69], vcc
	s_xor_b64 s[68:69], exec, s[68:69]
; %bb.145:                              ;   in Loop: Header=BB126_6 Depth=1
	v_bfe_u32 v18, v86, 16, 1
	v_add3_u32 v18, v86, v18, s91
; %bb.146:                              ;   in Loop: Header=BB126_6 Depth=1
	s_andn2_saveexec_b64 s[68:69], s[68:69]
; %bb.147:                              ;   in Loop: Header=BB126_6 Depth=1
	v_or_b32_e32 v18, 0x10000, v86
	v_cmp_eq_u32_sdwa vcc, v86, v19 src0_sel:WORD_0 src1_sel:DWORD
	s_nop 1
	v_cndmask_b32_e32 v18, v18, v86, vcc
; %bb.148:                              ;   in Loop: Header=BB126_6 Depth=1
	s_or_b64 exec, exec, s[68:69]
	v_and_b32_e32 v86, 0x7f800000, v87
	v_cmp_ne_u32_e32 vcc, s90, v86
                                        ; implicit-def: $vgpr86
	s_and_saveexec_b64 s[68:69], vcc
	s_xor_b64 s[68:69], exec, s[68:69]
; %bb.149:                              ;   in Loop: Header=BB126_6 Depth=1
	v_bfe_u32 v86, v87, 16, 1
	v_add3_u32 v86, v87, v86, s91
                                        ; implicit-def: $vgpr87
; %bb.150:                              ;   in Loop: Header=BB126_6 Depth=1
	s_andn2_saveexec_b64 s[68:69], s[68:69]
; %bb.151:                              ;   in Loop: Header=BB126_6 Depth=1
	v_or_b32_e32 v86, 0x10000, v87
	v_cmp_eq_u32_sdwa vcc, v87, v19 src0_sel:WORD_0 src1_sel:DWORD
	s_nop 1
	v_cndmask_b32_e32 v86, v86, v87, vcc
; %bb.152:                              ;   in Loop: Header=BB126_6 Depth=1
	s_or_b64 exec, exec, s[68:69]
	v_perm_b32 v18, v86, v18, s92
	ds_write_b32 v117, v18 offset:3168
	v_and_b32_e32 v18, 0x7f800000, v88
	v_cmp_ne_u32_e32 vcc, s90, v18
                                        ; implicit-def: $vgpr18
	s_and_saveexec_b64 s[68:69], vcc
	s_xor_b64 s[68:69], exec, s[68:69]
; %bb.153:                              ;   in Loop: Header=BB126_6 Depth=1
	v_bfe_u32 v18, v88, 16, 1
	v_add3_u32 v18, v88, v18, s91
; %bb.154:                              ;   in Loop: Header=BB126_6 Depth=1
	s_andn2_saveexec_b64 s[68:69], s[68:69]
; %bb.155:                              ;   in Loop: Header=BB126_6 Depth=1
	v_or_b32_e32 v18, 0x10000, v88
	v_cmp_eq_u32_sdwa vcc, v88, v19 src0_sel:WORD_0 src1_sel:DWORD
	s_nop 1
	v_cndmask_b32_e32 v18, v18, v88, vcc
; %bb.156:                              ;   in Loop: Header=BB126_6 Depth=1
	s_or_b64 exec, exec, s[68:69]
	v_and_b32_e32 v86, 0x7f800000, v89
	v_cmp_ne_u32_e32 vcc, s90, v86
                                        ; implicit-def: $vgpr86
	s_and_saveexec_b64 s[68:69], vcc
	s_xor_b64 s[68:69], exec, s[68:69]
; %bb.157:                              ;   in Loop: Header=BB126_6 Depth=1
	v_bfe_u32 v86, v89, 16, 1
	v_add3_u32 v86, v89, v86, s91
                                        ; implicit-def: $vgpr89
; %bb.158:                              ;   in Loop: Header=BB126_6 Depth=1
	s_andn2_saveexec_b64 s[68:69], s[68:69]
	s_cbranch_execz .LBB126_5
; %bb.159:                              ;   in Loop: Header=BB126_6 Depth=1
	v_or_b32_e32 v86, 0x10000, v89
	v_cmp_eq_u32_sdwa vcc, v89, v19 src0_sel:WORD_0 src1_sel:DWORD
	s_nop 1
	v_cndmask_b32_e32 v86, v86, v89, vcc
	s_branch .LBB126_5
.LBB126_160:
	s_or_b64 exec, exec, s[4:5]
	v_readlane_b32 s24, v119, 6
	v_readlane_b32 s26, v119, 9
	;; [unrolled: 1-line block ×5, first 2 shown]
.LBB126_161:
	v_readlane_b32 s0, v119, 4
	v_readlane_b32 s1, v119, 5
	s_or_b64 exec, exec, s[0:1]
	s_lshl_b64 s[0:1], s[26:27], 2
	v_readlane_b32 s4, v119, 0
	v_mul_u32_u24_e32 v0, 0x208, v115
	v_lshlrev_b32_e32 v1, 2, v114
	v_or_b32_e32 v2, 12, v17
	v_readlane_b32 s5, v119, 1
	s_add_u32 s4, s4, s0
	v_add3_u32 v0, 0, v0, v1
	v_and_b32_e32 v1, 0x3f0, v17
	v_and_b32_e32 v2, 0x3fc, v2
	s_addc_u32 s5, s5, s1
	v_add_u32_e32 v1, v0, v1
	v_add_u32_e32 v0, v0, v2
	s_barrier
	ds_write2_b32 v1, a0, a1 offset1:1
	ds_write_b32 v1, a2 offset:8
	ds_write_b32 v0, a3
	ds_write2_b32 v1, a4, a5 offset0:16 offset1:17
	ds_write_b32 v1, a6 offset:72
	ds_write_b32 v0, a7 offset:64
	ds_write2_b32 v1, a8, a9 offset0:32 offset1:33
	ds_write_b32 v1, a10 offset:136
	ds_write_b32 v0, a11 offset:128
	;; [unrolled: 3-line block ×3, first 2 shown]
	s_cmp_gt_i32 s14, 0
	v_add_u32_e32 v0, s2, v16
	s_cselect_b64 s[6:7], -1, 0
	v_cmp_gt_i32_e64 s[0:1], s33, v0
	v_cmp_gt_u32_e32 vcc, 14, v16
	s_and_b64 s[0:1], s[6:7], s[0:1]
	v_lshl_add_u32 v3, v17, 2, 0
	v_add_u32_e32 v2, s11, v17
	v_mul_u32_u24_e32 v4, 0x208, v16
	s_and_b64 s[8:9], vcc, s[0:1]
	s_waitcnt lgkmcnt(0)
	s_barrier
	s_and_saveexec_b64 s[0:1], s[8:9]
	v_readlane_b32 s14, v119, 2
	v_readlane_b32 s15, v119, 3
	s_cbranch_execz .LBB126_164
; %bb.162:
	v_ashrrev_i32_e32 v1, 31, v0
	v_lshl_add_u64 v[6:7], v[0:1], 2, s[4:5]
	global_load_dword v1, v[6:7], off
	s_waitcnt vmcnt(0)
	v_mul_hi_u32 v5, v1, s19
	v_add_u32_e32 v5, v1, v5
	v_lshrrev_b32_e32 v5, s24, v5
	v_cmp_gt_i32_e32 vcc, s13, v5
	s_and_b64 exec, exec, vcc
	s_cbranch_execz .LBB126_164
; %bb.163:
	v_add_u32_e32 v6, v3, v4
	ds_read2st64_b32 v[6:7], v6 offset1:1
	v_mul_lo_u32 v8, v5, s25
	v_sub_u32_e32 v1, v1, v8
	v_mul_lo_u32 v5, v5, s21
	v_mul_lo_u32 v1, v1, s10
	s_waitcnt lgkmcnt(0)
	v_add_f32_e32 v6, 0, v6
	v_add_f32_e32 v8, v6, v7
	v_add3_u32 v6, v2, v5, v1
	v_mov_b32_e32 v7, 0
	v_lshl_add_u64 v[6:7], v[6:7], 2, s[14:15]
	global_store_dword v[6:7], v8, off
.LBB126_164:
	s_or_b64 exec, exec, s[0:1]
	v_add_u32_e32 v1, 2, v0
	v_cmp_gt_i32_e64 s[0:1], s33, v1
	v_cmp_gt_u32_e32 vcc, 12, v16
	s_and_b64 s[0:1], s[6:7], s[0:1]
	s_and_b64 s[8:9], vcc, s[0:1]
	s_and_saveexec_b64 s[0:1], s[8:9]
	s_cbranch_execz .LBB126_167
; %bb.165:
	s_ashr_i32 s3, s2, 31
	v_mov_b32_e32 v17, 0
	v_lshl_add_u64 v[6:7], v[16:17], 0, s[2:3]
	v_lshl_add_u64 v[6:7], v[6:7], 2, s[4:5]
	global_load_dword v1, v[6:7], off offset:8
	s_waitcnt vmcnt(0)
	v_mul_hi_u32 v5, v1, s19
	v_add_u32_e32 v5, v1, v5
	v_lshrrev_b32_e32 v5, s24, v5
	v_cmp_gt_i32_e32 vcc, s13, v5
	s_and_b64 exec, exec, vcc
	s_cbranch_execz .LBB126_167
; %bb.166:
	v_add_u32_e32 v6, v4, v3
	v_add_u32_e32 v6, 16, v6
	ds_read2st64_b32 v[6:7], v6 offset0:4 offset1:5
	v_mul_lo_u32 v8, v5, s25
	v_sub_u32_e32 v1, v1, v8
	v_mul_lo_u32 v5, v5, s21
	v_mul_lo_u32 v1, v1, s10
	s_waitcnt lgkmcnt(0)
	v_add_f32_e32 v6, 0, v6
	v_add_f32_e32 v8, v6, v7
	v_add3_u32 v6, v2, v5, v1
	v_mov_b32_e32 v7, v17
	v_lshl_add_u64 v[6:7], v[6:7], 2, s[14:15]
	global_store_dword v[6:7], v8, off
.LBB126_167:
	s_or_b64 exec, exec, s[0:1]
	v_add_u32_e32 v1, 4, v0
	v_cmp_gt_i32_e64 s[0:1], s33, v1
	v_cmp_gt_u32_e32 vcc, 10, v16
	s_and_b64 s[0:1], s[6:7], s[0:1]
	s_and_b64 s[8:9], vcc, s[0:1]
	s_and_saveexec_b64 s[0:1], s[8:9]
	s_cbranch_execz .LBB126_170
; %bb.168:
	s_ashr_i32 s3, s2, 31
	v_mov_b32_e32 v17, 0
	v_lshl_add_u64 v[6:7], v[16:17], 0, s[2:3]
	v_lshl_add_u64 v[6:7], v[6:7], 2, s[4:5]
	global_load_dword v1, v[6:7], off offset:16
	s_waitcnt vmcnt(0)
	v_mul_hi_u32 v5, v1, s19
	v_add_u32_e32 v5, v1, v5
	v_lshrrev_b32_e32 v5, s24, v5
	v_cmp_gt_i32_e32 vcc, s13, v5
	s_and_b64 exec, exec, vcc
	s_cbranch_execz .LBB126_170
; %bb.169:
	v_add_u32_e32 v6, v3, v4
	v_add_u32_e32 v6, 32, v6
	ds_read2st64_b32 v[6:7], v6 offset0:8 offset1:9
	v_mul_lo_u32 v8, v5, s25
	v_sub_u32_e32 v1, v1, v8
	v_mul_lo_u32 v5, v5, s21
	v_mul_lo_u32 v1, v1, s10
	s_waitcnt lgkmcnt(0)
	v_add_f32_e32 v6, 0, v6
	v_add_f32_e32 v8, v6, v7
	v_add3_u32 v6, v2, v5, v1
	v_mov_b32_e32 v7, v17
	v_lshl_add_u64 v[6:7], v[6:7], 2, s[14:15]
	global_store_dword v[6:7], v8, off
.LBB126_170:
	;; [unrolled: 37-line block ×5, first 2 shown]
	s_or_b64 exec, exec, s[0:1]
	v_add_u32_e32 v0, 12, v0
	v_cmp_gt_i32_e64 s[0:1], s33, v0
	v_cmp_gt_u32_e32 vcc, 2, v16
	s_and_b64 s[0:1], s[6:7], s[0:1]
	s_and_b64 s[0:1], vcc, s[0:1]
	s_and_saveexec_b64 s[6:7], s[0:1]
	s_cbranch_execz .LBB126_182
; %bb.180:
	s_ashr_i32 s3, s2, 31
	v_mov_b32_e32 v17, 0
	v_lshl_add_u64 v[0:1], v[16:17], 0, s[2:3]
	v_lshl_add_u64 v[0:1], v[0:1], 2, s[4:5]
	global_load_dword v0, v[0:1], off offset:48
	s_waitcnt vmcnt(0)
	v_mul_hi_u32 v1, v0, s19
	v_add_u32_e32 v1, v0, v1
	v_lshrrev_b32_e32 v1, s24, v1
	v_cmp_gt_i32_e32 vcc, s13, v1
	s_and_b64 exec, exec, vcc
	s_cbranch_execz .LBB126_182
; %bb.181:
	v_add_u32_e32 v3, v3, v4
	v_add_u32_e32 v3, 0x60, v3
	ds_read2st64_b32 v[4:5], v3 offset0:24 offset1:25
	v_mul_lo_u32 v3, v1, s25
	v_sub_u32_e32 v0, v0, v3
	v_mul_lo_u32 v1, v1, s21
	v_mul_lo_u32 v0, v0, s10
	s_waitcnt lgkmcnt(0)
	v_add_f32_e32 v3, 0, v4
	v_add3_u32 v16, v2, v1, v0
	v_add_f32_e32 v3, v3, v5
	v_lshl_add_u64 v[0:1], v[16:17], 2, s[14:15]
	global_store_dword v[0:1], v3, off
.LBB126_182:
	s_endpgm
	.section	.rodata,"a",@progbits
	.p2align	6, 0x0
	.amdhsa_kernel _ZL13mul_mat_f_idsI15__hip_bfloat162Li64ELi14ELi2EEvPKT_PKfPKiS7_S7_Pfiiiiiiiiiiiiii15HIP_vector_typeIjLj3EESA_
		.amdhsa_group_segment_fixed_size 0
		.amdhsa_private_segment_fixed_size 0
		.amdhsa_kernarg_size 128
		.amdhsa_user_sgpr_count 2
		.amdhsa_user_sgpr_dispatch_ptr 0
		.amdhsa_user_sgpr_queue_ptr 0
		.amdhsa_user_sgpr_kernarg_segment_ptr 1
		.amdhsa_user_sgpr_dispatch_id 0
		.amdhsa_user_sgpr_kernarg_preload_length 0
		.amdhsa_user_sgpr_kernarg_preload_offset 0
		.amdhsa_user_sgpr_private_segment_size 0
		.amdhsa_uses_dynamic_stack 0
		.amdhsa_enable_private_segment 0
		.amdhsa_system_sgpr_workgroup_id_x 1
		.amdhsa_system_sgpr_workgroup_id_y 1
		.amdhsa_system_sgpr_workgroup_id_z 1
		.amdhsa_system_sgpr_workgroup_info 0
		.amdhsa_system_vgpr_workitem_id 1
		.amdhsa_next_free_vgpr 136
		.amdhsa_next_free_sgpr 100
		.amdhsa_accum_offset 120
		.amdhsa_reserve_vcc 1
		.amdhsa_float_round_mode_32 0
		.amdhsa_float_round_mode_16_64 0
		.amdhsa_float_denorm_mode_32 3
		.amdhsa_float_denorm_mode_16_64 3
		.amdhsa_dx10_clamp 1
		.amdhsa_ieee_mode 1
		.amdhsa_fp16_overflow 0
		.amdhsa_tg_split 0
		.amdhsa_exception_fp_ieee_invalid_op 0
		.amdhsa_exception_fp_denorm_src 0
		.amdhsa_exception_fp_ieee_div_zero 0
		.amdhsa_exception_fp_ieee_overflow 0
		.amdhsa_exception_fp_ieee_underflow 0
		.amdhsa_exception_fp_ieee_inexact 0
		.amdhsa_exception_int_div_zero 0
	.end_amdhsa_kernel
	.section	.text._ZL13mul_mat_f_idsI15__hip_bfloat162Li64ELi14ELi2EEvPKT_PKfPKiS7_S7_Pfiiiiiiiiiiiiii15HIP_vector_typeIjLj3EESA_,"axG",@progbits,_ZL13mul_mat_f_idsI15__hip_bfloat162Li64ELi14ELi2EEvPKT_PKfPKiS7_S7_Pfiiiiiiiiiiiiii15HIP_vector_typeIjLj3EESA_,comdat
.Lfunc_end126:
	.size	_ZL13mul_mat_f_idsI15__hip_bfloat162Li64ELi14ELi2EEvPKT_PKfPKiS7_S7_Pfiiiiiiiiiiiiii15HIP_vector_typeIjLj3EESA_, .Lfunc_end126-_ZL13mul_mat_f_idsI15__hip_bfloat162Li64ELi14ELi2EEvPKT_PKfPKiS7_S7_Pfiiiiiiiiiiiiii15HIP_vector_typeIjLj3EESA_
                                        ; -- End function
	.section	.AMDGPU.csdata,"",@progbits
; Kernel info:
; codeLenInByte = 9868
; NumSgprs: 106
; NumVgprs: 120
; NumAgprs: 16
; TotalNumVgprs: 136
; ScratchSize: 0
; MemoryBound: 0
; FloatMode: 240
; IeeeMode: 1
; LDSByteSize: 0 bytes/workgroup (compile time only)
; SGPRBlocks: 13
; VGPRBlocks: 16
; NumSGPRsForWavesPerEU: 106
; NumVGPRsForWavesPerEU: 136
; AccumOffset: 120
; Occupancy: 3
; WaveLimiterHint : 1
; COMPUTE_PGM_RSRC2:SCRATCH_EN: 0
; COMPUTE_PGM_RSRC2:USER_SGPR: 2
; COMPUTE_PGM_RSRC2:TRAP_HANDLER: 0
; COMPUTE_PGM_RSRC2:TGID_X_EN: 1
; COMPUTE_PGM_RSRC2:TGID_Y_EN: 1
; COMPUTE_PGM_RSRC2:TGID_Z_EN: 1
; COMPUTE_PGM_RSRC2:TIDIG_COMP_CNT: 1
; COMPUTE_PGM_RSRC3_GFX90A:ACCUM_OFFSET: 29
; COMPUTE_PGM_RSRC3_GFX90A:TG_SPLIT: 0
	.section	.text._ZL9mul_mat_fI15__hip_bfloat162Li64ELi14ELi2ELb1EEvPKT_PKfPKiPfiiiiiiiiiiiiiiii,"axG",@progbits,_ZL9mul_mat_fI15__hip_bfloat162Li64ELi14ELi2ELb1EEvPKT_PKfPKiPfiiiiiiiiiiiiiiii,comdat
	.globl	_ZL9mul_mat_fI15__hip_bfloat162Li64ELi14ELi2ELb1EEvPKT_PKfPKiPfiiiiiiiiiiiiiiii ; -- Begin function _ZL9mul_mat_fI15__hip_bfloat162Li64ELi14ELi2ELb1EEvPKT_PKfPKiPfiiiiiiiiiiiiiiii
	.p2align	8
	.type	_ZL9mul_mat_fI15__hip_bfloat162Li64ELi14ELi2ELb1EEvPKT_PKfPKiPfiiiiiiiiiiiiiiii,@function
_ZL9mul_mat_fI15__hip_bfloat162Li64ELi14ELi2ELb1EEvPKT_PKfPKiPfiiiiiiiiiiiiiiii: ; @_ZL9mul_mat_fI15__hip_bfloat162Li64ELi14ELi2ELb1EEvPKT_PKfPKiPfiiiiiiiiiiiiiiii
; %bb.0:
	s_load_dwordx8 s[52:59], s[0:1], 0x20
	s_mov_b32 s28, s4
	s_load_dwordx2 s[8:9], s[0:1], 0x10
	v_and_b32_e32 v16, 0x3ff, v0
	v_bfe_u32 v17, v0, 10, 10
	s_waitcnt lgkmcnt(0)
	s_add_i32 s4, s53, 13
	s_mul_hi_i32 s5, s4, 0x92492493
	s_add_i32 s5, s5, s4
	s_lshr_b32 s4, s5, 31
	s_ashr_i32 s5, s5, 3
	s_add_i32 s5, s5, s4
	v_cvt_f32_u32_e32 v1, s5
	s_load_dword s4, s[0:1], 0x64
	s_add_u32 s18, s0, 0x60
	s_addc_u32 s19, s1, 0
	v_rcp_iflag_f32_e32 v1, v1
	s_sub_i32 s6, 0, s5
	v_mul_f32_e32 v1, 0x4f7ffffe, v1
	v_cvt_u32_f32_e32 v1, v1
	v_mul_lo_u32 v2, s6, v1
	v_mul_hi_u32 v2, v1, v2
	v_add_u32_e32 v1, v1, v2
	s_waitcnt lgkmcnt(0)
	v_mul_hi_u32 v1, s4, v1
	v_mul_lo_u32 v2, v1, s5
	v_sub_u32_e32 v2, s4, v2
	v_add_u32_e32 v3, 1, v1
	v_subrev_u32_e32 v4, s5, v2
	v_cmp_le_u32_e32 vcc, s5, v2
	s_nop 1
	v_cndmask_b32_e32 v1, v1, v3, vcc
	v_cndmask_b32_e32 v2, v2, v4, vcc
	v_add_u32_e32 v3, 1, v1
	v_cmp_le_u32_e32 vcc, s5, v2
	s_nop 1
	v_cndmask_b32_e32 v1, v1, v3, vcc
	v_cvt_f32_u32_e32 v2, v1
	v_sub_u32_e32 v3, 0, v1
	v_cmp_eq_u32_e32 vcc, 0, v16
	v_rcp_iflag_f32_e32 v2, v2
	s_nop 0
	v_mul_f32_e32 v2, 0x4f7ffffe, v2
	v_cvt_u32_f32_e32 v2, v2
	v_mul_lo_u32 v3, v3, v2
	v_mul_hi_u32 v3, v2, v3
	v_add_u32_e32 v2, v2, v3
	v_mul_hi_u32 v2, s3, v2
	s_and_saveexec_b64 s[6:7], vcc
	s_cbranch_execz .LBB127_2
; %bb.1:
	v_mov_b32_e32 v3, 0x100
	v_lshl_add_u32 v3, v17, 2, v3
	v_mov_b32_e32 v4, -1
	ds_write_b32 v3, v4
.LBB127_2:
	s_or_b64 exec, exec, s[6:7]
	v_mul_lo_u32 v3, v2, v1
	v_sub_u32_e32 v3, s3, v3
	v_add_u32_e32 v4, 1, v2
	v_sub_u32_e32 v5, v3, v1
	v_cmp_ge_u32_e64 s[6:7], v3, v1
	v_cmp_gt_i32_e64 s[14:15], s54, v16
	s_nop 0
	v_cndmask_b32_e64 v2, v2, v4, s[6:7]
	v_cndmask_b32_e64 v3, v3, v5, s[6:7]
	v_add_u32_e32 v4, 1, v2
	v_cmp_ge_u32_e64 s[6:7], v3, v1
	s_nop 1
	v_cndmask_b32_e64 v2, v2, v4, s[6:7]
	v_mul_lo_u32 v92, v2, 14
	v_mul_lo_u32 v1, v2, v1
	v_mul_hi_i32 v3, v92, s59
	v_mul_lo_u32 v2, v92, s59
	v_sub_u32_e32 v8, s3, v1
	v_lshlrev_b64 v[2:3], 2, v[2:3]
	v_add_u32_e32 v1, v17, v92
	v_lshl_add_u64 v[2:3], s[8:9], 0, v[2:3]
	v_cmp_gt_i32_e64 s[30:31], s53, v1
	v_mov_b32_e32 v1, 0
	s_and_saveexec_b64 s[10:11], s[30:31]
	s_cbranch_execz .LBB127_10
; %bb.3:
	v_mov_b32_e32 v1, 0
	s_and_saveexec_b64 s[12:13], s[14:15]
	s_cbranch_execz .LBB127_9
; %bb.4:
	v_mul_lo_u32 v4, v17, s59
	v_ashrrev_i32_e32 v5, 31, v4
	v_mov_b32_e32 v1, 0x100
	v_lshl_add_u64 v[4:5], v[4:5], 2, v[2:3]
	v_lshl_add_u32 v9, v17, 2, v1
	v_mul_lo_u32 v6, v16, s58
	s_lshl_b32 s3, s58, 6
	s_mov_b64 s[16:17], 0
	v_mov_b32_e32 v1, 0
	v_mov_b32_e32 v10, v16
	s_branch .LBB127_6
.LBB127_5:                              ;   in Loop: Header=BB127_6 Depth=1
	s_or_b64 exec, exec, s[20:21]
	v_add_u32_e32 v10, 64, v10
	v_cmp_le_i32_e64 s[8:9], s54, v10
	s_xor_b64 s[4:5], s[6:7], -1
	s_or_b64 s[4:5], s[4:5], s[8:9]
	s_and_b64 s[4:5], exec, s[4:5]
	s_or_b64 s[16:17], s[4:5], s[16:17]
	v_add_u32_e32 v6, s3, v6
	s_andn2_b64 exec, exec, s[16:17]
	s_cbranch_execz .LBB127_8
.LBB127_6:                              ; =>This Inner Loop Header: Depth=1
	v_ashrrev_i32_e32 v7, 31, v6
	v_lshl_add_u64 v[12:13], v[6:7], 2, v[4:5]
	global_load_dword v7, v[12:13], off
	s_waitcnt vmcnt(0)
	v_cmp_ne_u32_e64 s[6:7], v7, v8
	v_cmp_eq_u32_e64 s[8:9], v7, v8
	s_and_saveexec_b64 s[20:21], s[8:9]
	s_cbranch_execz .LBB127_5
; %bb.7:                                ;   in Loop: Header=BB127_6 Depth=1
	v_mov_b32_e32 v1, 1
	ds_write_b32 v9, v10
	s_branch .LBB127_5
.LBB127_8:
	s_or_b64 exec, exec, s[16:17]
.LBB127_9:
	s_or_b64 exec, exec, s[12:13]
.LBB127_10:
	s_or_b64 exec, exec, s[10:11]
	s_and_saveexec_b64 s[6:7], vcc
	s_cbranch_execz .LBB127_12
; %bb.11:
	v_mov_b32_e32 v4, 0x100
	v_lshl_add_u32 v4, v17, 2, v4
	v_mov_b32_e32 v5, -1
	ds_write_b32 v4, v5 offset:8
.LBB127_12:
	s_or_b64 exec, exec, s[6:7]
	v_add_u32_e32 v93, 2, v17
	v_add_u32_e32 v4, v93, v92
	v_cmp_gt_i32_e64 s[4:5], s53, v4
	s_mov_b64 s[10:11], exec
                                        ; implicit-def: $vgpr110 : SGPR spill to VGPR lane
	s_nop 0
	v_writelane_b32 v110, s4, 0
	s_nop 1
	v_writelane_b32 v110, s5, 1
	s_and_b64 s[4:5], s[10:11], s[4:5]
	s_mov_b64 exec, s[4:5]
	s_cbranch_execz .LBB127_20
; %bb.13:
	s_and_saveexec_b64 s[12:13], s[14:15]
	s_cbranch_execz .LBB127_19
; %bb.14:
	v_mul_lo_u32 v4, v93, s59
	v_ashrrev_i32_e32 v5, 31, v4
	v_mov_b32_e32 v6, 0x100
	v_lshl_add_u64 v[4:5], v[4:5], 2, v[2:3]
	v_lshl_add_u32 v9, v17, 2, v6
	v_mul_lo_u32 v6, v16, s58
	s_lshl_b32 s3, s58, 6
	s_mov_b64 s[16:17], 0
	v_mov_b32_e32 v10, v16
	s_branch .LBB127_16
.LBB127_15:                             ;   in Loop: Header=BB127_16 Depth=1
	s_or_b64 exec, exec, s[20:21]
	v_add_u32_e32 v10, 64, v10
	v_cmp_le_i32_e64 s[8:9], s54, v10
	s_xor_b64 s[4:5], s[6:7], -1
	s_or_b64 s[4:5], s[4:5], s[8:9]
	s_and_b64 s[4:5], exec, s[4:5]
	s_or_b64 s[16:17], s[4:5], s[16:17]
	v_add_u32_e32 v6, s3, v6
	s_andn2_b64 exec, exec, s[16:17]
	s_cbranch_execz .LBB127_18
.LBB127_16:                             ; =>This Inner Loop Header: Depth=1
	v_ashrrev_i32_e32 v7, 31, v6
	v_lshl_add_u64 v[12:13], v[6:7], 2, v[4:5]
	global_load_dword v7, v[12:13], off
	s_waitcnt vmcnt(0)
	v_cmp_ne_u32_e64 s[6:7], v7, v8
	v_cmp_eq_u32_e64 s[8:9], v7, v8
	s_and_saveexec_b64 s[20:21], s[8:9]
	s_cbranch_execz .LBB127_15
; %bb.17:                               ;   in Loop: Header=BB127_16 Depth=1
	v_mov_b32_e32 v1, 1
	ds_write_b32 v9, v10 offset:8
	s_branch .LBB127_15
.LBB127_18:
	s_or_b64 exec, exec, s[16:17]
.LBB127_19:
	s_or_b64 exec, exec, s[12:13]
.LBB127_20:
	s_or_b64 exec, exec, s[10:11]
	s_load_dwordx4 s[60:63], s[0:1], 0x44
	s_and_saveexec_b64 s[6:7], vcc
	s_cbranch_execz .LBB127_22
; %bb.21:
	v_mov_b32_e32 v4, 0x100
	v_lshl_add_u32 v4, v17, 2, v4
	v_mov_b32_e32 v5, -1
	ds_write_b32 v4, v5 offset:16
.LBB127_22:
	s_or_b64 exec, exec, s[6:7]
	v_add_u32_e32 v94, 4, v17
	v_add_u32_e32 v4, v94, v92
	v_cmp_gt_i32_e64 s[4:5], s53, v4
	s_mov_b64 s[10:11], exec
	s_nop 0
	v_writelane_b32 v110, s4, 2
	s_nop 1
	v_writelane_b32 v110, s5, 3
	s_and_b64 s[4:5], s[10:11], s[4:5]
	s_mov_b64 exec, s[4:5]
	s_cbranch_execz .LBB127_30
; %bb.23:
	s_and_saveexec_b64 s[12:13], s[14:15]
	s_cbranch_execz .LBB127_29
; %bb.24:
	v_mul_lo_u32 v4, v94, s59
	v_ashrrev_i32_e32 v5, 31, v4
	v_mov_b32_e32 v6, 0x100
	v_lshl_add_u64 v[4:5], v[4:5], 2, v[2:3]
	v_lshl_add_u32 v9, v17, 2, v6
	v_mul_lo_u32 v6, v16, s58
	s_lshl_b32 s3, s58, 6
	s_mov_b64 s[16:17], 0
	v_mov_b32_e32 v10, v16
	s_branch .LBB127_26
.LBB127_25:                             ;   in Loop: Header=BB127_26 Depth=1
	s_or_b64 exec, exec, s[20:21]
	v_add_u32_e32 v10, 64, v10
	v_cmp_le_i32_e64 s[8:9], s54, v10
	s_xor_b64 s[4:5], s[6:7], -1
	s_or_b64 s[4:5], s[4:5], s[8:9]
	s_and_b64 s[4:5], exec, s[4:5]
	s_or_b64 s[16:17], s[4:5], s[16:17]
	v_add_u32_e32 v6, s3, v6
	s_andn2_b64 exec, exec, s[16:17]
	s_cbranch_execz .LBB127_28
.LBB127_26:                             ; =>This Inner Loop Header: Depth=1
	v_ashrrev_i32_e32 v7, 31, v6
	v_lshl_add_u64 v[12:13], v[6:7], 2, v[4:5]
	global_load_dword v7, v[12:13], off
	s_waitcnt vmcnt(0)
	v_cmp_ne_u32_e64 s[6:7], v7, v8
	v_cmp_eq_u32_e64 s[8:9], v7, v8
	s_and_saveexec_b64 s[20:21], s[8:9]
	s_cbranch_execz .LBB127_25
; %bb.27:                               ;   in Loop: Header=BB127_26 Depth=1
	v_mov_b32_e32 v1, 1
	ds_write_b32 v9, v10 offset:16
	s_branch .LBB127_25
.LBB127_28:
	s_or_b64 exec, exec, s[16:17]
.LBB127_29:
	s_or_b64 exec, exec, s[12:13]
.LBB127_30:
	s_or_b64 exec, exec, s[10:11]
	s_waitcnt lgkmcnt(0)
	s_abs_i32 s3, s63
	s_and_saveexec_b64 s[6:7], vcc
	s_cbranch_execz .LBB127_32
; %bb.31:
	v_mov_b32_e32 v4, 0x100
	v_lshl_add_u32 v4, v17, 2, v4
	v_mov_b32_e32 v5, -1
	ds_write_b32 v4, v5 offset:24
.LBB127_32:
	s_or_b64 exec, exec, s[6:7]
	v_cvt_f32_u32_e32 v9, s3
	v_add_u32_e32 v95, 6, v17
	v_add_u32_e32 v4, v95, v92
	v_cmp_gt_i32_e64 s[4:5], s53, v4
	s_mov_b64 s[12:13], exec
	s_nop 0
	v_writelane_b32 v110, s4, 4
	s_nop 1
	v_writelane_b32 v110, s5, 5
	s_and_b64 s[4:5], s[12:13], s[4:5]
	s_mov_b64 exec, s[4:5]
	s_cbranch_execz .LBB127_40
; %bb.33:
	s_and_saveexec_b64 s[16:17], s[14:15]
	s_cbranch_execz .LBB127_39
; %bb.34:
	v_mul_lo_u32 v4, v95, s59
	v_ashrrev_i32_e32 v5, 31, v4
	v_mov_b32_e32 v6, 0x100
	v_lshl_add_u64 v[4:5], v[4:5], 2, v[2:3]
	v_lshl_add_u32 v10, v17, 2, v6
	v_mul_lo_u32 v6, v16, s58
	s_lshl_b32 s4, s58, 6
	s_mov_b64 s[20:21], 0
	v_mov_b32_e32 v11, v16
	s_branch .LBB127_36
.LBB127_35:                             ;   in Loop: Header=BB127_36 Depth=1
	s_or_b64 exec, exec, s[22:23]
	v_add_u32_e32 v11, 64, v11
	v_cmp_le_i32_e64 s[10:11], s54, v11
	s_xor_b64 s[6:7], s[8:9], -1
	s_or_b64 s[6:7], s[6:7], s[10:11]
	s_and_b64 s[6:7], exec, s[6:7]
	s_or_b64 s[20:21], s[6:7], s[20:21]
	v_add_u32_e32 v6, s4, v6
	s_andn2_b64 exec, exec, s[20:21]
	s_cbranch_execz .LBB127_38
.LBB127_36:                             ; =>This Inner Loop Header: Depth=1
	v_ashrrev_i32_e32 v7, 31, v6
	v_lshl_add_u64 v[12:13], v[6:7], 2, v[4:5]
	global_load_dword v7, v[12:13], off
	s_waitcnt vmcnt(0)
	v_cmp_ne_u32_e64 s[8:9], v7, v8
	v_cmp_eq_u32_e64 s[10:11], v7, v8
	s_and_saveexec_b64 s[22:23], s[10:11]
	s_cbranch_execz .LBB127_35
; %bb.37:                               ;   in Loop: Header=BB127_36 Depth=1
	v_mov_b32_e32 v1, 1
	ds_write_b32 v10, v11 offset:24
	s_branch .LBB127_35
.LBB127_38:
	s_or_b64 exec, exec, s[20:21]
.LBB127_39:
	s_or_b64 exec, exec, s[16:17]
.LBB127_40:
	s_or_b64 exec, exec, s[12:13]
	v_rcp_iflag_f32_e32 v4, v9
	s_and_saveexec_b64 s[8:9], vcc
	s_cbranch_execz .LBB127_42
; %bb.41:
	v_mov_b32_e32 v5, 0x100
	v_lshl_add_u32 v5, v17, 2, v5
	v_mov_b32_e32 v6, -1
	ds_write_b32 v5, v6 offset:32
.LBB127_42:
	s_or_b64 exec, exec, s[8:9]
	v_add_u32_e32 v96, 8, v17
	v_mul_f32_e32 v9, 0x4f7ffffe, v4
	v_add_u32_e32 v4, v96, v92
	v_cmp_gt_i32_e64 s[4:5], s53, v4
	s_mov_b64 s[16:17], exec
	s_nop 0
	v_writelane_b32 v110, s4, 6
	s_nop 1
	v_writelane_b32 v110, s5, 7
	s_and_b64 s[4:5], s[16:17], s[4:5]
	s_mov_b64 exec, s[4:5]
	s_cbranch_execz .LBB127_50
; %bb.43:
	s_and_saveexec_b64 s[20:21], s[14:15]
	s_cbranch_execz .LBB127_49
; %bb.44:
	v_mul_lo_u32 v4, v96, s59
	v_ashrrev_i32_e32 v5, 31, v4
	v_mov_b32_e32 v6, 0x100
	v_lshl_add_u64 v[4:5], v[4:5], 2, v[2:3]
	v_lshl_add_u32 v10, v17, 2, v6
	v_mul_lo_u32 v6, v16, s58
	s_lshl_b32 s4, s58, 6
	s_mov_b64 s[22:23], 0
	v_mov_b32_e32 v11, v16
	s_branch .LBB127_46
.LBB127_45:                             ;   in Loop: Header=BB127_46 Depth=1
	s_or_b64 exec, exec, s[24:25]
	v_add_u32_e32 v11, 64, v11
	v_cmp_le_i32_e64 s[12:13], s54, v11
	s_xor_b64 s[6:7], s[10:11], -1
	s_or_b64 s[6:7], s[6:7], s[12:13]
	s_and_b64 s[6:7], exec, s[6:7]
	s_or_b64 s[22:23], s[6:7], s[22:23]
	v_add_u32_e32 v6, s4, v6
	s_andn2_b64 exec, exec, s[22:23]
	s_cbranch_execz .LBB127_48
.LBB127_46:                             ; =>This Inner Loop Header: Depth=1
	v_ashrrev_i32_e32 v7, 31, v6
	v_lshl_add_u64 v[12:13], v[6:7], 2, v[4:5]
	global_load_dword v7, v[12:13], off
	s_waitcnt vmcnt(0)
	v_cmp_ne_u32_e64 s[10:11], v7, v8
	v_cmp_eq_u32_e64 s[12:13], v7, v8
	s_and_saveexec_b64 s[24:25], s[12:13]
	s_cbranch_execz .LBB127_45
; %bb.47:                               ;   in Loop: Header=BB127_46 Depth=1
	v_mov_b32_e32 v1, 1
	ds_write_b32 v10, v11 offset:32
	s_branch .LBB127_45
.LBB127_48:
	s_or_b64 exec, exec, s[22:23]
.LBB127_49:
	s_or_b64 exec, exec, s[20:21]
.LBB127_50:
	s_or_b64 exec, exec, s[16:17]
	v_cvt_u32_f32_e32 v9, v9
	s_sub_i32 s4, 0, s3
	s_and_saveexec_b64 s[10:11], vcc
	s_cbranch_execz .LBB127_52
; %bb.51:
	v_mov_b32_e32 v4, 0x100
	v_lshl_add_u32 v4, v17, 2, v4
	v_mov_b32_e32 v5, -1
	ds_write_b32 v4, v5 offset:40
.LBB127_52:
	s_or_b64 exec, exec, s[10:11]
	v_add_u32_e32 v97, 10, v17
	v_mul_lo_u32 v10, s4, v9
	v_add_u32_e32 v4, v97, v92
	v_cmp_gt_i32_e64 s[4:5], s53, v4
	s_mov_b64 s[20:21], exec
	s_nop 0
	v_writelane_b32 v110, s4, 8
	s_nop 1
	v_writelane_b32 v110, s5, 9
	s_and_b64 s[4:5], s[20:21], s[4:5]
	s_mov_b64 exec, s[4:5]
	s_cbranch_execz .LBB127_60
; %bb.53:
	s_and_saveexec_b64 s[22:23], s[14:15]
	s_cbranch_execz .LBB127_59
; %bb.54:
	v_mul_lo_u32 v4, v97, s59
	v_ashrrev_i32_e32 v5, 31, v4
	v_mov_b32_e32 v6, 0x100
	v_lshl_add_u64 v[4:5], v[4:5], 2, v[2:3]
	v_lshl_add_u32 v11, v17, 2, v6
	v_mul_lo_u32 v6, v16, s58
	s_lshl_b32 s4, s58, 6
	s_mov_b64 s[24:25], 0
	v_mov_b32_e32 v12, v16
	s_branch .LBB127_56
.LBB127_55:                             ;   in Loop: Header=BB127_56 Depth=1
	s_or_b64 exec, exec, s[26:27]
	v_add_u32_e32 v12, 64, v12
	v_cmp_le_i32_e64 s[16:17], s54, v12
	s_xor_b64 s[6:7], s[12:13], -1
	s_or_b64 s[6:7], s[6:7], s[16:17]
	s_and_b64 s[6:7], exec, s[6:7]
	s_or_b64 s[24:25], s[6:7], s[24:25]
	v_add_u32_e32 v6, s4, v6
	s_andn2_b64 exec, exec, s[24:25]
	s_cbranch_execz .LBB127_58
.LBB127_56:                             ; =>This Inner Loop Header: Depth=1
	v_ashrrev_i32_e32 v7, 31, v6
	v_lshl_add_u64 v[14:15], v[6:7], 2, v[4:5]
	global_load_dword v7, v[14:15], off
	s_waitcnt vmcnt(0)
	v_cmp_ne_u32_e64 s[12:13], v7, v8
	v_cmp_eq_u32_e64 s[16:17], v7, v8
	s_and_saveexec_b64 s[26:27], s[16:17]
	s_cbranch_execz .LBB127_55
; %bb.57:                               ;   in Loop: Header=BB127_56 Depth=1
	v_mov_b32_e32 v1, 1
	ds_write_b32 v11, v12 offset:40
	s_branch .LBB127_55
.LBB127_58:
	s_or_b64 exec, exec, s[24:25]
.LBB127_59:
	s_or_b64 exec, exec, s[22:23]
.LBB127_60:
	s_or_b64 exec, exec, s[20:21]
	v_mul_hi_u32 v4, v9, v10
	s_and_saveexec_b64 s[12:13], vcc
	s_cbranch_execz .LBB127_62
; %bb.61:
	v_mov_b32_e32 v5, 0x100
	v_lshl_add_u32 v5, v17, 2, v5
	v_mov_b32_e32 v6, -1
	ds_write_b32 v5, v6 offset:48
.LBB127_62:
	s_or_b64 exec, exec, s[12:13]
	s_load_dwordx4 s[36:39], s[0:1], 0x54
	v_add_u32_e32 v98, 12, v17
	s_abs_i32 s4, s28
	v_add_u32_e32 v6, v9, v4
	v_add_u32_e32 v4, v98, v92
	v_cmp_gt_i32_e64 s[6:7], s53, v4
	s_mov_b64 s[16:17], exec
	s_nop 0
	v_writelane_b32 v110, s6, 10
	s_nop 1
	v_writelane_b32 v110, s7, 11
	s_and_b64 s[6:7], s[16:17], s[6:7]
	s_mov_b64 exec, s[6:7]
	s_cbranch_execz .LBB127_70
; %bb.63:
	s_and_saveexec_b64 s[20:21], s[14:15]
	s_cbranch_execz .LBB127_69
; %bb.64:
	v_mul_lo_u32 v4, v98, s59
	v_ashrrev_i32_e32 v5, 31, v4
	v_lshl_add_u64 v[2:3], v[4:5], 2, v[2:3]
	v_mov_b32_e32 v4, 0x100
	v_lshl_add_u32 v7, v17, 2, v4
	v_mul_lo_u32 v4, v16, s58
	s_lshl_b32 s5, s58, 6
	s_mov_b64 s[22:23], 0
	v_mov_b32_e32 v9, v16
	s_branch .LBB127_66
.LBB127_65:                             ;   in Loop: Header=BB127_66 Depth=1
	s_or_b64 exec, exec, s[24:25]
	v_add_u32_e32 v9, 64, v9
	v_cmp_le_i32_e64 s[14:15], s54, v9
	s_xor_b64 s[6:7], vcc, -1
	s_or_b64 s[6:7], s[6:7], s[14:15]
	s_and_b64 s[6:7], exec, s[6:7]
	s_or_b64 s[22:23], s[6:7], s[22:23]
	v_add_u32_e32 v4, s5, v4
	s_andn2_b64 exec, exec, s[22:23]
	s_cbranch_execz .LBB127_68
.LBB127_66:                             ; =>This Inner Loop Header: Depth=1
	v_ashrrev_i32_e32 v5, 31, v4
	v_lshl_add_u64 v[10:11], v[4:5], 2, v[2:3]
	global_load_dword v5, v[10:11], off
	s_waitcnt vmcnt(0)
	v_cmp_ne_u32_e32 vcc, v5, v8
	v_cmp_eq_u32_e64 s[14:15], v5, v8
	s_and_saveexec_b64 s[24:25], s[14:15]
	s_cbranch_execz .LBB127_65
; %bb.67:                               ;   in Loop: Header=BB127_66 Depth=1
	v_mov_b32_e32 v1, 1
	ds_write_b32 v7, v9 offset:48
	s_branch .LBB127_65
.LBB127_68:
	s_or_b64 exec, exec, s[22:23]
.LBB127_69:
	s_or_b64 exec, exec, s[20:21]
.LBB127_70:
	s_or_b64 exec, exec, s[16:17]
	s_load_dwordx2 s[6:7], s[18:19], 0xc
	s_load_dwordx2 s[16:17], s[0:1], 0x8
	;; [unrolled: 1-line block ×3, first 2 shown]
	v_cmp_ne_u32_e32 vcc, 0, v1
	v_mul_hi_u32 v2, s4, v6
	s_waitcnt lgkmcnt(0)
	s_and_b32 s5, s7, 0xffff
	v_cndmask_b32_e64 v1, 0, 1, vcc
	v_writelane_b32 v110, s8, 12
	s_lshr_b32 s7, s6, 16
	v_or_b32_dpp v1, v1, v1 row_shl:1 row_mask:0xf bank_mask:0xf bound_ctrl:1
	s_and_b32 s6, s6, 0xffff
	v_writelane_b32 v110, s9, 13
	v_or_b32_dpp v1, v1, v1 row_shl:2 row_mask:0xf bank_mask:0xf bound_ctrl:1
	s_mul_i32 s8, s7, s6
	s_bfe_i32 s8, s8, 0x180000
	v_or_b32_dpp v1, v1, v1 row_shl:4 row_mask:0xf bank_mask:0xf bound_ctrl:1
	s_mul_i32 s5, s8, s5
	s_add_i32 s8, s5, 63
	v_or_b32_dpp v1, v1, v1 row_shl:8 row_mask:0xf bank_mask:0xf bound_ctrl:1
	s_bitcmp1_b32 exec_hi, 0
                                        ; kill: killed $sgpr18 killed $sgpr19
	s_nop 0
	v_mov_b32_dpp v3, v1 wave_shl:1 row_mask:0xf bank_mask:0xf bound_ctrl:1
	s_nop 1
	v_or_b32_dpp v1, v3, v1 row_mirror row_mask:0xf bank_mask:0xf bound_ctrl:1
	s_nop 0
	v_readlane_b32 s5, v1, 32
	s_cselect_b32 s5, s5, 0
	v_readlane_b32 s9, v1, 0
	s_or_b32 s5, s5, s9
	s_andn2_b32 s8, s8, 63
	s_cmp_lg_u32 s8, 64
	v_mov_b32_e32 v1, s5
	s_cbranch_scc0 .LBB127_77
; %bb.71:
	v_bfe_u32 v0, v0, 20, 10
	v_mbcnt_lo_u32_b32 v1, -1, 0
	v_mad_u32_u24 v0, v0, s7, v17
	v_mbcnt_hi_u32_b32 v3, -1, v1
	v_mad_u64_u32 v[0:1], s[6:7], v0, s6, v[16:17]
	v_lshrrev_b32_e32 v1, 6, v0
	v_or_b32_e32 v1, v3, v1
	v_cmp_eq_u32_e32 vcc, 0, v1
	s_and_saveexec_b64 s[14:15], vcc
	s_cbranch_execz .LBB127_73
; %bb.72:
	v_mov_b32_e32 v1, 0
	v_mov_b32_e32 v4, s5
	ds_write_b32 v1, v4
.LBB127_73:
	s_or_b64 exec, exec, s[14:15]
	v_cmp_eq_u32_e32 vcc, 0, v3
	v_cmp_lt_u32_e64 s[14:15], 63, v0
	s_and_b64 s[6:7], s[14:15], vcc
	s_waitcnt lgkmcnt(0)
	s_barrier
	s_and_saveexec_b64 s[14:15], s[6:7]
	s_cbranch_execz .LBB127_76
; %bb.74:
	v_mbcnt_lo_u32_b32 v0, exec_lo, 0
	v_mbcnt_hi_u32_b32 v0, exec_hi, v0
	v_cmp_eq_u32_e32 vcc, 0, v0
	s_and_b64 exec, exec, vcc
	s_cbranch_execz .LBB127_76
; %bb.75:
	v_mov_b32_e32 v0, 0
	v_mov_b32_e32 v1, s5
	ds_or_b32 v0, v1
.LBB127_76:
	s_or_b64 exec, exec, s[14:15]
	v_mov_b32_e32 v0, 0
	s_waitcnt lgkmcnt(0)
	s_barrier
	ds_read_b32 v1, v0
	s_waitcnt lgkmcnt(0)
	s_barrier
.LBB127_77:
	s_load_dwordx2 s[14:15], s[0:1], 0x0
	v_cmp_ne_u32_e32 vcc, 0, v1
	s_ashr_i32 s5, s28, 31
	s_ashr_i32 s6, s63, 31
	s_cbranch_vccz .LBB127_266
; %bb.78:
	v_lshlrev_b32_e32 v99, 6, v17
	v_add_u32_e32 v101, v99, v16
	v_cmp_le_i32_e32 vcc, s52, v101
	v_and_b32_e32 v100, 15, v16
                                        ; implicit-def: $sgpr7
	s_and_saveexec_b64 s[0:1], vcc
	s_xor_b64 s[0:1], exec, s[0:1]
; %bb.79:
	v_and_b32_e32 v100, 15, v16
	s_mov_b32 s7, 0
                                        ; implicit-def: $vgpr101
                                        ; implicit-def: $vgpr2
                                        ; implicit-def: $vgpr8
; %bb.80:
	s_or_saveexec_b64 s[0:1], s[0:1]
	s_lshl_b32 s8, s2, 6
	v_accvgpr_write_b32 a0, s7
	v_accvgpr_write_b32 a1, s7
	;; [unrolled: 1-line block ×16, first 2 shown]
	v_writelane_b32 v110, s0, 14
	s_nop 1
	v_writelane_b32 v110, s1, 15
	s_xor_b64 exec, exec, s[0:1]
	s_cbranch_execz .LBB127_238
; %bb.81:
	v_mul_lo_u32 v0, v2, s3
	v_sub_u32_e32 v0, s4, v0
	v_add_u32_e32 v1, 1, v2
	v_subrev_u32_e32 v3, s3, v0
	v_cmp_le_u32_e32 vcc, s3, v0
	s_xor_b32 s0, s5, s6
	v_writelane_b32 v110, s30, 16
	v_cndmask_b32_e32 v1, v2, v1, vcc
	v_cndmask_b32_e32 v0, v0, v3, vcc
	v_add_u32_e32 v2, 1, v1
	v_cmp_le_u32_e32 vcc, s3, v0
	v_writelane_b32 v110, s31, 17
	v_writelane_b32 v110, s8, 18
	v_cndmask_b32_e32 v0, v1, v2, vcc
	v_xor_b32_e32 v0, s0, v0
	v_subrev_u32_e32 v0, s0, v0
	v_mul_hi_i32 v1, v0, s36
	v_mul_lo_u32 v0, v0, s36
	v_mul_lo_u32 v2, v8, s60
	v_ashrrev_i32_e32 v3, 31, v2
	s_mul_i32 s0, s8, s55
	v_lshlrev_b64 v[0:1], 2, v[0:1]
	s_movk_i32 s2, 0x1080
	v_mov_b32_e32 v102, 0x100
	v_writelane_b32 v110, s28, 19
	s_waitcnt lgkmcnt(0)
	v_lshl_add_u64 v[4:5], s[14:15], 0, v[0:1]
	v_lshlrev_b64 v[2:3], 2, v[2:3]
	s_ashr_i32 s1, s0, 31
	v_mad_u32_u24 v6, v17, s2, v102
	s_mul_hi_i32 s3, s37, s28
	v_writelane_b32 v110, s36, 20
	s_mul_i32 s2, s37, s28
	v_lshl_add_u64 v[4:5], v[4:5], 0, v[2:3]
	s_lshl_b64 s[0:1], s[0:1], 2
	s_lshl_b64 s[2:3], s[2:3], 2
	v_lshl_add_u64 v[18:19], v[4:5], 0, s[0:1]
	v_writelane_b32 v110, s37, 21
	v_mul_hi_i32 v5, s56, v92
	v_mul_lo_u32 v4, s56, v92
	s_add_u32 s2, s16, s2
	v_writelane_b32 v110, s38, 22
	v_lshlrev_b64 v[4:5], 3, v[4:5]
	s_addc_u32 s3, s17, s3
	v_writelane_b32 v110, s39, 23
	v_lshl_add_u64 v[20:21], s[2:3], 0, v[4:5]
	s_lshl_b32 s2, s56, 3
	v_writelane_b32 v110, s2, 24
	s_mul_i32 s2, s56, 6
	v_writelane_b32 v110, s2, 25
	s_lshl_b32 s2, s56, 4
	v_writelane_b32 v110, s2, 26
	s_mul_i32 s2, s56, 10
	v_writelane_b32 v110, s2, 27
	s_mul_i32 s2, s56, 12
	v_writelane_b32 v110, s2, 28
	v_lshl_add_u64 v[0:1], v[0:1], 0, s[0:1]
	s_mul_i32 s0, s56, 26
	v_writelane_b32 v110, s0, 29
	s_mul_i32 s0, s56, 24
	v_writelane_b32 v110, s0, 30
	s_mul_i32 s0, s56, 22
	v_writelane_b32 v110, s0, 31
	s_mul_i32 s0, s56, 20
	v_writelane_b32 v110, s0, 32
	s_mul_i32 s0, s56, 18
	v_writelane_b32 v110, s0, 33
	s_mul_i32 s0, s56, 14
	v_writelane_b32 v110, s0, 34
	s_lshl_b32 s0, s56, 1
	v_writelane_b32 v110, s0, 35
	s_mul_i32 s0, s55, 3
	v_writelane_b32 v110, s0, 36
	s_mul_i32 s0, s55, 5
	;; [unrolled: 2-line block ×4, first 2 shown]
	v_lshrrev_b32_e32 v5, 1, v16
	v_writelane_b32 v110, s0, 39
	s_mul_i32 s0, s55, 9
	v_mul_u32_u24_e32 v4, 0x108, v100
	v_and_b32_e32 v5, 0x1f8, v5
	v_lshlrev_b32_e32 v22, 1, v16
	v_lshl_add_u64 v[0:1], v[0:1], 0, v[2:3]
	v_writelane_b32 v110, s0, 40
	s_mul_i32 s0, s55, 10
	v_lshl_add_u32 v103, v16, 2, v6
	v_add3_u32 v104, v6, v4, v5
	v_or_b32_e32 v4, 1, v92
	v_add_u32_e32 v5, 2, v92
	s_lshl_b32 s54, s56, 2
	v_add_u32_e32 v6, 3, v92
	v_add_u32_e32 v7, 4, v92
	v_add_u32_e32 v8, 5, v92
	v_add_u32_e32 v9, 6, v92
	v_add_u32_e32 v10, 7, v92
	v_add_u32_e32 v11, 8, v92
	v_add_u32_e32 v12, 9, v92
	v_add_u32_e32 v13, 10, v92
	v_add_u32_e32 v14, 11, v92
	v_add_u32_e32 v15, 12, v92
	v_add_u32_e32 v26, 13, v92
	s_ashr_i32 s3, s55, 31
	s_mov_b32 s2, s55
	v_lshl_add_u32 v105, v17, 7, v22
	v_lshlrev_b32_e32 v22, 2, v101
	v_mov_b32_e32 v23, 0
	v_lshl_add_u64 v[0:1], s[14:15], 0, v[0:1]
	v_writelane_b32 v110, s0, 41
	s_mul_i32 s0, s55, 11
	s_lshl_b64 s[2:3], s[2:3], 2
	v_lshl_add_u64 v[24:25], v[0:1], 0, v[22:23]
	s_lshl_b32 s76, s55, 1
	s_lshl_b32 s78, s55, 2
	;; [unrolled: 1-line block ×3, first 2 shown]
	v_writelane_b32 v110, s0, 42
	s_mul_i32 s86, s55, 12
	s_mul_i32 s87, s55, 13
	;; [unrolled: 1-line block ×4, first 2 shown]
	s_lshl_b32 s90, s55, 4
	s_mul_i32 s91, s55, 17
	s_mul_i32 s92, s55, 18
	;; [unrolled: 1-line block ×15, first 2 shown]
	s_lshl_b32 s69, s55, 5
	s_mul_i32 s70, s55, 33
	s_mul_i32 s71, s55, 34
	;; [unrolled: 1-line block ×10, first 2 shown]
	v_cmp_gt_i32_e64 s[14:15], s53, v92
	s_mul_i32 s48, s55, 43
	s_mul_i32 s49, s55, 44
	v_accvgpr_write_b32 a15, 0
	v_accvgpr_write_b32 a14, 0
	;; [unrolled: 1-line block ×16, first 2 shown]
	s_mul_i32 s46, s55, 45
	s_mul_i32 s47, s55, 46
	;; [unrolled: 1-line block ×19, first 2 shown]
	s_mov_b32 s83, 0x7f800000
	s_movk_i32 s84, 0x7fff
	s_mov_b32 s85, 0x7060302
	v_cmp_gt_i32_e64 s[16:17], s53, v4
	v_cmp_gt_i32_e64 s[18:19], s53, v5
	;; [unrolled: 1-line block ×13, first 2 shown]
	s_mov_b32 s53, s54
	s_mov_b64 s[54:55], 0
	s_mov_b64 s[58:59], 0x200
	s_branch .LBB127_83
.LBB127_82:                             ;   in Loop: Header=BB127_83 Depth=1
	s_or_b64 exec, exec, s[64:65]
	v_perm_b32 v22, v90, v22, s85
	v_add_u32_e32 v90, 0xc00, v103
	ds_write2_b32 v90, v22, v23 offset0:106 offset1:172
	ds_write_b32 v103, v23 offset:4024
	ds_read2_b64 v[106:109], v104 offset0:8 offset1:12
	v_accvgpr_write_b32 a0, v0
	v_accvgpr_write_b32 a4, v4
	;; [unrolled: 1-line block ×16, first 2 shown]
	s_waitcnt lgkmcnt(0)
	v_mfma_f32_16x16x16_bf16 a[0:3], v[32:33], v[106:107], a[0:3]
	ds_read2_b64 v[0:3], v104 offset0:16 offset1:20
	v_add_u32_e32 v101, 0x80, v101
	v_cmp_le_i32_e32 vcc, s52, v101
	v_mfma_f32_16x16x16_bf16 a[4:7], v[58:59], v[106:107], a[4:7]
	v_add_u32_e32 v105, 0x100, v105
	v_lshl_add_u64 v[24:25], v[24:25], 0, s[58:59]
	s_or_b64 s[54:55], vcc, s[54:55]
	v_mfma_f32_16x16x16_bf16 a[8:11], v[72:73], v[106:107], a[8:11]
	v_mfma_f32_16x16x16_bf16 a[12:15], v[88:89], v[106:107], a[12:15]
	;; [unrolled: 1-line block ×6, first 2 shown]
	s_waitcnt lgkmcnt(0)
	v_mfma_f32_16x16x16_bf16 a[0:3], v[28:29], v[0:1], a[0:3]
	v_mfma_f32_16x16x16_bf16 a[4:7], v[52:53], v[0:1], a[4:7]
	;; [unrolled: 1-line block ×8, first 2 shown]
	ds_read2_b64 v[0:3], v104 offset0:24 offset1:28
	s_waitcnt lgkmcnt(0)
	v_mfma_f32_16x16x16_bf16 a[0:3], v[40:41], v[0:1], a[0:3]
	v_mfma_f32_16x16x16_bf16 a[4:7], v[48:49], v[0:1], a[4:7]
	;; [unrolled: 1-line block ×8, first 2 shown]
	ds_read2_b64 v[0:3], v104 offset0:32 offset1:36
	s_waitcnt lgkmcnt(0)
	v_mfma_f32_16x16x16_bf16 a[0:3], v[36:37], v[0:1], a[0:3]
	v_mfma_f32_16x16x16_bf16 a[4:7], v[44:45], v[0:1], a[4:7]
	;; [unrolled: 1-line block ×8, first 2 shown]
	s_andn2_b64 exec, exec, s[54:55]
	s_cbranch_execz .LBB127_237
.LBB127_83:                             ; =>This Inner Loop Header: Depth=1
	v_readlane_b32 s64, v110, 36
	v_lshl_add_u64 v[0:1], v[24:25], 0, s[2:3]
	global_load_dword v22, v[24:25], off
	global_load_dword v26, v[0:1], off
	v_add_u32_e32 v2, s64, v101
	v_readlane_b32 s64, v110, 37
	v_add_u32_e32 v0, s76, v101
	v_add_u32_e32 v4, s78, v101
	;; [unrolled: 1-line block ×3, first 2 shown]
	v_readlane_b32 s64, v110, 38
	v_add_u32_e32 v12, s82, v101
	v_ashrrev_i32_e32 v1, 31, v0
	v_add_u32_e32 v8, s64, v101
	v_readlane_b32 s64, v110, 39
	v_ashrrev_i32_e32 v5, 31, v4
	v_ashrrev_i32_e32 v7, 31, v6
	v_add_u32_e32 v10, s64, v101
	v_readlane_b32 s64, v110, 40
	v_ashrrev_i32_e32 v13, 31, v12
	v_lshl_add_u64 v[0:1], v[0:1], 2, v[18:19]
	v_add_u32_e32 v14, s64, v101
	v_ashrrev_i32_e32 v3, 31, v2
	v_lshl_add_u64 v[4:5], v[4:5], 2, v[18:19]
	v_lshl_add_u64 v[6:7], v[6:7], 2, v[18:19]
	v_ashrrev_i32_e32 v9, 31, v8
	v_ashrrev_i32_e32 v11, 31, v10
	v_lshl_add_u64 v[12:13], v[12:13], 2, v[18:19]
	v_ashrrev_i32_e32 v15, 31, v14
	v_readlane_b32 s64, v110, 41
	v_lshl_add_u64 v[2:3], v[2:3], 2, v[18:19]
	v_lshl_add_u64 v[8:9], v[8:9], 2, v[18:19]
	;; [unrolled: 1-line block ×4, first 2 shown]
	global_load_dword v27, v[0:1], off
	global_load_dword v28, v[2:3], off
	global_load_dword v29, v[4:5], off
	global_load_dword v30, v[6:7], off
	global_load_dword v31, v[8:9], off
	global_load_dword v32, v[10:11], off
	s_nop 0
	global_load_dword v12, v[12:13], off
	s_nop 0
	global_load_dword v13, v[14:15], off
	v_add_u32_e32 v0, s64, v101
	v_readlane_b32 s64, v110, 42
	v_add_u32_e32 v4, s86, v101
	v_add_u32_e32 v6, s87, v101
	v_ashrrev_i32_e32 v1, 31, v0
	v_add_u32_e32 v2, s64, v101
	v_ashrrev_i32_e32 v5, 31, v4
	v_ashrrev_i32_e32 v7, 31, v6
	v_add_u32_e32 v8, s88, v101
	v_add_u32_e32 v10, s89, v101
	v_lshl_add_u64 v[0:1], v[0:1], 2, v[18:19]
	v_ashrrev_i32_e32 v3, 31, v2
	v_lshl_add_u64 v[4:5], v[4:5], 2, v[18:19]
	v_lshl_add_u64 v[6:7], v[6:7], 2, v[18:19]
	v_ashrrev_i32_e32 v9, 31, v8
	v_ashrrev_i32_e32 v11, 31, v10
	v_lshl_add_u64 v[2:3], v[2:3], 2, v[18:19]
	v_lshl_add_u64 v[8:9], v[8:9], 2, v[18:19]
	;; [unrolled: 1-line block ×3, first 2 shown]
	global_load_dword v14, v[0:1], off
	global_load_dword v15, v[2:3], off
	s_nop 0
	global_load_dword v4, v[4:5], off
	s_nop 0
	;; [unrolled: 2-line block ×3, first 2 shown]
	global_load_dword v6, v[8:9], off
	global_load_dword v7, v[10:11], off
	v_add_u32_e32 v0, s90, v101
	v_add_u32_e32 v2, s91, v101
	v_ashrrev_i32_e32 v1, 31, v0
	v_ashrrev_i32_e32 v3, 31, v2
	v_lshl_add_u64 v[0:1], v[0:1], 2, v[18:19]
	v_lshl_add_u64 v[2:3], v[2:3], 2, v[18:19]
	global_load_dword v42, v[0:1], off
	global_load_dword v43, v[2:3], off
	v_add_u32_e32 v0, s92, v101
	v_ashrrev_i32_e32 v1, 31, v0
	v_add_u32_e32 v2, s93, v101
	v_add_u32_e32 v8, s96, v101
	;; [unrolled: 1-line block ×3, first 2 shown]
	v_lshl_add_u64 v[0:1], v[0:1], 2, v[18:19]
	v_ashrrev_i32_e32 v3, 31, v2
	v_ashrrev_i32_e32 v9, 31, v8
	;; [unrolled: 1-line block ×3, first 2 shown]
	v_lshl_add_u64 v[2:3], v[2:3], 2, v[18:19]
	v_lshl_add_u64 v[8:9], v[8:9], 2, v[18:19]
	v_lshl_add_u64 v[10:11], v[10:11], 2, v[18:19]
	s_andn2_b64 vcc, exec, s[14:15]
	s_waitcnt vmcnt(17)
	ds_write_b32 v103, v22 offset:64
	s_waitcnt vmcnt(16)
	ds_write_b32 v103, v26 offset:328
	;; [unrolled: 2-line block ×16, first 2 shown]
	v_add_u32_e32 v4, s94, v101
	v_add_u32_e32 v6, s95, v101
	v_add_u32_e32 v12, s98, v101
	v_add_u32_e32 v14, s99, v101
	v_ashrrev_i32_e32 v5, 31, v4
	v_ashrrev_i32_e32 v7, 31, v6
	v_ashrrev_i32_e32 v13, 31, v12
	v_ashrrev_i32_e32 v15, 31, v14
	ds_read_b64 v[32:33], v104 offset:64
	ds_read_b64 v[30:31], v104 offset:96
	;; [unrolled: 1-line block ×4, first 2 shown]
	v_lshl_add_u64 v[4:5], v[4:5], 2, v[18:19]
	v_lshl_add_u64 v[6:7], v[6:7], 2, v[18:19]
	v_lshl_add_u64 v[12:13], v[12:13], 2, v[18:19]
	v_lshl_add_u64 v[14:15], v[14:15], 2, v[18:19]
	global_load_dword v22, v[0:1], off
	global_load_dword v44, v[2:3], off
	global_load_dword v45, v[4:5], off
	global_load_dword v46, v[6:7], off
	global_load_dword v47, v[8:9], off
	global_load_dword v48, v[10:11], off
	global_load_dword v49, v[12:13], off
	global_load_dword v50, v[14:15], off
	v_add_u32_e32 v0, s50, v101
	v_ashrrev_i32_e32 v1, 31, v0
	v_add_u32_e32 v2, s51, v101
	v_add_u32_e32 v4, s5, v101
	v_add_u32_e32 v6, s66, v101
	v_add_u32_e32 v8, s63, v101
	v_add_u32_e32 v10, s68, v101
	v_add_u32_e32 v12, s69, v101
	v_add_u32_e32 v14, s70, v101
	v_lshl_add_u64 v[0:1], v[0:1], 2, v[18:19]
	v_ashrrev_i32_e32 v3, 31, v2
	v_ashrrev_i32_e32 v5, 31, v4
	v_ashrrev_i32_e32 v7, 31, v6
	v_ashrrev_i32_e32 v9, 31, v8
	v_ashrrev_i32_e32 v11, 31, v10
	v_ashrrev_i32_e32 v13, 31, v12
	v_ashrrev_i32_e32 v15, 31, v14
	v_lshl_add_u64 v[2:3], v[2:3], 2, v[18:19]
	v_lshl_add_u64 v[4:5], v[4:5], 2, v[18:19]
	v_lshl_add_u64 v[6:7], v[6:7], 2, v[18:19]
	v_lshl_add_u64 v[8:9], v[8:9], 2, v[18:19]
	v_lshl_add_u64 v[10:11], v[10:11], 2, v[18:19]
	v_lshl_add_u64 v[12:13], v[12:13], 2, v[18:19]
	v_lshl_add_u64 v[14:15], v[14:15], 2, v[18:19]
	global_load_dword v51, v[0:1], off
	global_load_dword v52, v[2:3], off
	global_load_dword v53, v[4:5], off
	global_load_dword v54, v[6:7], off
	global_load_dword v55, v[8:9], off
	global_load_dword v56, v[10:11], off
	global_load_dword v60, v[12:13], off
	global_load_dword v61, v[14:15], off
	v_add_u32_e32 v0, s71, v101
	v_ashrrev_i32_e32 v1, 31, v0
	v_add_u32_e32 v2, s72, v101
	v_add_u32_e32 v4, s73, v101
	v_add_u32_e32 v6, s74, v101
	v_add_u32_e32 v8, s75, v101
	v_add_u32_e32 v10, s0, v101
	v_add_u32_e32 v12, s1, v101
	v_add_u32_e32 v14, s44, v101
	v_lshl_add_u64 v[0:1], v[0:1], 2, v[18:19]
	v_ashrrev_i32_e32 v3, 31, v2
	v_ashrrev_i32_e32 v5, 31, v4
	v_ashrrev_i32_e32 v7, 31, v6
	v_ashrrev_i32_e32 v9, 31, v8
	v_ashrrev_i32_e32 v11, 31, v10
	v_ashrrev_i32_e32 v13, 31, v12
	v_ashrrev_i32_e32 v15, 31, v14
	v_lshl_add_u64 v[2:3], v[2:3], 2, v[18:19]
	v_lshl_add_u64 v[4:5], v[4:5], 2, v[18:19]
	v_lshl_add_u64 v[6:7], v[6:7], 2, v[18:19]
	;; [unrolled: 32-line block ×4, first 2 shown]
	v_lshl_add_u64 v[8:9], v[8:9], 2, v[18:19]
	v_lshl_add_u64 v[10:11], v[10:11], 2, v[18:19]
	;; [unrolled: 1-line block ×4, first 2 shown]
	global_load_dword v78, v[0:1], off
	global_load_dword v79, v[2:3], off
	;; [unrolled: 1-line block ×8, first 2 shown]
	v_add_u32_e32 v0, s67, v101
	v_ashrrev_i32_e32 v1, 31, v0
	v_add_u32_e32 v2, s56, v101
	v_add_u32_e32 v4, s77, v101
	;; [unrolled: 1-line block ×5, first 2 shown]
	v_lshl_add_u64 v[0:1], v[0:1], 2, v[18:19]
	v_ashrrev_i32_e32 v3, 31, v2
	v_ashrrev_i32_e32 v5, 31, v4
	;; [unrolled: 1-line block ×5, first 2 shown]
	v_lshl_add_u64 v[2:3], v[2:3], 2, v[18:19]
	v_lshl_add_u64 v[4:5], v[4:5], 2, v[18:19]
	;; [unrolled: 1-line block ×5, first 2 shown]
	global_load_dword v86, v[0:1], off
	global_load_dword v87, v[2:3], off
	;; [unrolled: 1-line block ×6, first 2 shown]
	ds_read_b64 v[40:41], v104 offset:192
	ds_read_b64 v[38:39], v104 offset:224
	ds_read_b64 v[36:37], v104 offset:256
	ds_read_b64 v[34:35], v104 offset:288
	s_waitcnt vmcnt(47)
	ds_write_b32 v103, v42 offset:64
	s_waitcnt vmcnt(46)
	ds_write_b32 v103, v43 offset:328
	s_waitcnt vmcnt(45)
	ds_write_b32 v103, v22 offset:592
	s_waitcnt vmcnt(44)
	ds_write_b32 v103, v44 offset:856
	s_waitcnt vmcnt(43)
	ds_write_b32 v103, v45 offset:1120
	s_waitcnt vmcnt(42)
	ds_write_b32 v103, v46 offset:1384
	s_waitcnt vmcnt(41)
	ds_write_b32 v103, v47 offset:1648
	s_waitcnt vmcnt(40)
	ds_write_b32 v103, v48 offset:1912
	s_waitcnt vmcnt(39)
	ds_write_b32 v103, v49 offset:2176
	s_waitcnt vmcnt(38)
	ds_write_b32 v103, v50 offset:2440
	s_waitcnt vmcnt(37)
	ds_write_b32 v103, v51 offset:2704
	s_waitcnt vmcnt(36)
	ds_write_b32 v103, v52 offset:2968
	s_waitcnt vmcnt(35)
	ds_write_b32 v103, v53 offset:3232
	s_waitcnt vmcnt(34)
	ds_write_b32 v103, v54 offset:3496
	s_waitcnt vmcnt(33)
	ds_write_b32 v103, v55 offset:3760
	s_waitcnt vmcnt(32)
	ds_write_b32 v103, v56 offset:4024
	ds_read_b64 v[58:59], v104 offset:64
	ds_read_b64 v[56:57], v104 offset:96
	ds_read_b64 v[52:53], v104 offset:128
	ds_read_b64 v[50:51], v104 offset:160
	ds_read_b64 v[48:49], v104 offset:192
	ds_read_b64 v[46:47], v104 offset:224
	ds_read_b64 v[44:45], v104 offset:256
	ds_read_b64 v[42:43], v104 offset:288
	s_waitcnt vmcnt(31)
	ds_write_b32 v103, v60 offset:64
	s_waitcnt vmcnt(30)
	ds_write_b32 v103, v61 offset:328
	s_waitcnt vmcnt(29)
	ds_write_b32 v103, v62 offset:592
	s_waitcnt vmcnt(28)
	ds_write_b32 v103, v63 offset:856
	s_waitcnt vmcnt(27)
	ds_write_b32 v103, v64 offset:1120
	s_waitcnt vmcnt(26)
	ds_write_b32 v103, v65 offset:1384
	s_waitcnt vmcnt(25)
	ds_write_b32 v103, v66 offset:1648
	s_waitcnt vmcnt(24)
	ds_write_b32 v103, v67 offset:1912
	s_waitcnt vmcnt(23)
	ds_write_b32 v103, v68 offset:2176
	s_waitcnt vmcnt(22)
	ds_write_b32 v103, v69 offset:2440
	s_waitcnt vmcnt(21)
	ds_write_b32 v103, v70 offset:2704
	s_waitcnt vmcnt(20)
	ds_write_b32 v103, v71 offset:2968
	s_waitcnt vmcnt(19)
	ds_write_b32 v103, v72 offset:3232
	s_waitcnt vmcnt(18)
	ds_write_b32 v103, v73 offset:3496
	s_waitcnt vmcnt(17)
	ds_write_b32 v103, v74 offset:3760
	s_waitcnt vmcnt(16)
	ds_write_b32 v103, v75 offset:4024
	ds_read_b64 v[72:73], v104 offset:64
	ds_read_b64 v[70:71], v104 offset:96
	ds_read_b64 v[68:69], v104 offset:128
	ds_read_b64 v[66:67], v104 offset:160
	;; [unrolled: 40-line block ×3, first 2 shown]
	ds_read_b64 v[84:85], v104 offset:192
	ds_read_b64 v[80:81], v104 offset:224
	;; [unrolled: 1-line block ×4, first 2 shown]
	v_accvgpr_read_b32 v3, a15
	v_accvgpr_read_b32 v2, a14
	;; [unrolled: 1-line block ×16, first 2 shown]
	v_mov_b32_e32 v90, 0
	v_mov_b32_e32 v91, 0
	s_cbranch_vccnz .LBB127_86
; %bb.84:                               ;   in Loop: Header=BB127_83 Depth=1
	ds_read_b32 v22, v102
	v_mov_b32_e32 v91, 0
	v_mov_b32_e32 v90, 0
	s_waitcnt lgkmcnt(0)
	v_cmp_gt_i32_e32 vcc, 0, v22
	s_cbranch_vccnz .LBB127_86
; %bb.85:                               ;   in Loop: Header=BB127_83 Depth=1
	v_mul_lo_u32 v22, v22, s61
	v_add_u32_e32 v90, v105, v22
	v_ashrrev_i32_e32 v91, 31, v90
	v_lshl_add_u64 v[90:91], v[90:91], 2, v[20:21]
	global_load_dwordx2 v[90:91], v[90:91], off
.LBB127_86:                             ;   in Loop: Header=BB127_83 Depth=1
	s_waitcnt vmcnt(0)
	v_and_b32_e32 v22, 0x7f800000, v90
	v_cmp_ne_u32_e32 vcc, s83, v22
                                        ; implicit-def: $vgpr22
	s_and_saveexec_b64 s[64:65], vcc
	s_xor_b64 s[64:65], exec, s[64:65]
; %bb.87:                               ;   in Loop: Header=BB127_83 Depth=1
	v_bfe_u32 v22, v90, 16, 1
	v_add3_u32 v22, v90, v22, s84
; %bb.88:                               ;   in Loop: Header=BB127_83 Depth=1
	s_andn2_saveexec_b64 s[64:65], s[64:65]
; %bb.89:                               ;   in Loop: Header=BB127_83 Depth=1
	v_or_b32_e32 v22, 0x10000, v90
	v_cmp_eq_u32_sdwa vcc, v90, v23 src0_sel:WORD_0 src1_sel:DWORD
	s_nop 1
	v_cndmask_b32_e32 v22, v22, v90, vcc
; %bb.90:                               ;   in Loop: Header=BB127_83 Depth=1
	s_or_b64 exec, exec, s[64:65]
	v_and_b32_e32 v90, 0x7f800000, v91
	v_cmp_ne_u32_e32 vcc, s83, v90
                                        ; implicit-def: $vgpr90
	s_and_saveexec_b64 s[64:65], vcc
	s_xor_b64 s[64:65], exec, s[64:65]
; %bb.91:                               ;   in Loop: Header=BB127_83 Depth=1
	v_bfe_u32 v90, v91, 16, 1
	v_add3_u32 v90, v91, v90, s84
                                        ; implicit-def: $vgpr91
; %bb.92:                               ;   in Loop: Header=BB127_83 Depth=1
	s_andn2_saveexec_b64 s[64:65], s[64:65]
; %bb.93:                               ;   in Loop: Header=BB127_83 Depth=1
	v_or_b32_e32 v90, 0x10000, v91
	v_cmp_eq_u32_sdwa vcc, v91, v23 src0_sel:WORD_0 src1_sel:DWORD
	s_nop 1
	v_cndmask_b32_e32 v90, v90, v91, vcc
; %bb.94:                               ;   in Loop: Header=BB127_83 Depth=1
	s_or_b64 exec, exec, s[64:65]
	v_perm_b32 v22, v90, v22, s85
	s_andn2_b64 vcc, exec, s[16:17]
	v_mov_b32_e32 v90, 0
	v_mov_b32_e32 v91, 0
	ds_write_b32 v103, v22 offset:64
	s_cbranch_vccnz .LBB127_97
; %bb.95:                               ;   in Loop: Header=BB127_83 Depth=1
	ds_read_b32 v22, v102 offset:4
	v_mov_b32_e32 v91, 0
	v_mov_b32_e32 v90, 0
	s_waitcnt lgkmcnt(0)
	v_cmp_gt_i32_e32 vcc, 0, v22
	s_cbranch_vccnz .LBB127_97
; %bb.96:                               ;   in Loop: Header=BB127_83 Depth=1
	v_mul_lo_u32 v22, v22, s61
	v_readlane_b32 s64, v110, 35
	s_nop 1
	v_add_u32_e32 v22, s64, v22
	v_add_u32_e32 v90, v22, v105
	v_ashrrev_i32_e32 v91, 31, v90
	v_lshl_add_u64 v[90:91], v[90:91], 2, v[20:21]
	global_load_dwordx2 v[90:91], v[90:91], off
.LBB127_97:                             ;   in Loop: Header=BB127_83 Depth=1
	s_waitcnt vmcnt(0)
	v_and_b32_e32 v22, 0x7f800000, v90
	v_cmp_ne_u32_e32 vcc, s83, v22
                                        ; implicit-def: $vgpr22
	s_and_saveexec_b64 s[64:65], vcc
	s_xor_b64 s[64:65], exec, s[64:65]
; %bb.98:                               ;   in Loop: Header=BB127_83 Depth=1
	v_bfe_u32 v22, v90, 16, 1
	v_add3_u32 v22, v90, v22, s84
; %bb.99:                               ;   in Loop: Header=BB127_83 Depth=1
	s_andn2_saveexec_b64 s[64:65], s[64:65]
; %bb.100:                              ;   in Loop: Header=BB127_83 Depth=1
	v_or_b32_e32 v22, 0x10000, v90
	v_cmp_eq_u32_sdwa vcc, v90, v23 src0_sel:WORD_0 src1_sel:DWORD
	s_nop 1
	v_cndmask_b32_e32 v22, v22, v90, vcc
; %bb.101:                              ;   in Loop: Header=BB127_83 Depth=1
	s_or_b64 exec, exec, s[64:65]
	v_and_b32_e32 v90, 0x7f800000, v91
	v_cmp_ne_u32_e32 vcc, s83, v90
                                        ; implicit-def: $vgpr90
	s_and_saveexec_b64 s[64:65], vcc
	s_xor_b64 s[64:65], exec, s[64:65]
; %bb.102:                              ;   in Loop: Header=BB127_83 Depth=1
	v_bfe_u32 v90, v91, 16, 1
	v_add3_u32 v90, v91, v90, s84
                                        ; implicit-def: $vgpr91
; %bb.103:                              ;   in Loop: Header=BB127_83 Depth=1
	s_andn2_saveexec_b64 s[64:65], s[64:65]
; %bb.104:                              ;   in Loop: Header=BB127_83 Depth=1
	v_or_b32_e32 v90, 0x10000, v91
	v_cmp_eq_u32_sdwa vcc, v91, v23 src0_sel:WORD_0 src1_sel:DWORD
	s_nop 1
	v_cndmask_b32_e32 v90, v90, v91, vcc
; %bb.105:                              ;   in Loop: Header=BB127_83 Depth=1
	s_or_b64 exec, exec, s[64:65]
	v_perm_b32 v22, v90, v22, s85
	s_andn2_b64 vcc, exec, s[18:19]
	v_mov_b32_e32 v90, 0
	v_mov_b32_e32 v91, 0
	ds_write_b32 v103, v22 offset:328
	s_cbranch_vccnz .LBB127_108
; %bb.106:                              ;   in Loop: Header=BB127_83 Depth=1
	ds_read_b32 v22, v102 offset:8
	v_mov_b32_e32 v91, 0
	v_mov_b32_e32 v90, 0
	s_waitcnt lgkmcnt(0)
	v_cmp_gt_i32_e32 vcc, 0, v22
	s_cbranch_vccnz .LBB127_108
; %bb.107:                              ;   in Loop: Header=BB127_83 Depth=1
	v_mul_lo_u32 v22, v22, s61
	v_add_u32_e32 v22, s53, v22
	v_add_u32_e32 v90, v22, v105
	v_ashrrev_i32_e32 v91, 31, v90
	v_lshl_add_u64 v[90:91], v[90:91], 2, v[20:21]
	global_load_dwordx2 v[90:91], v[90:91], off
.LBB127_108:                            ;   in Loop: Header=BB127_83 Depth=1
	s_waitcnt vmcnt(0)
	v_and_b32_e32 v22, 0x7f800000, v90
	v_cmp_ne_u32_e32 vcc, s83, v22
                                        ; implicit-def: $vgpr22
	s_and_saveexec_b64 s[64:65], vcc
	s_xor_b64 s[64:65], exec, s[64:65]
; %bb.109:                              ;   in Loop: Header=BB127_83 Depth=1
	v_bfe_u32 v22, v90, 16, 1
	v_add3_u32 v22, v90, v22, s84
; %bb.110:                              ;   in Loop: Header=BB127_83 Depth=1
	s_andn2_saveexec_b64 s[64:65], s[64:65]
; %bb.111:                              ;   in Loop: Header=BB127_83 Depth=1
	v_or_b32_e32 v22, 0x10000, v90
	v_cmp_eq_u32_sdwa vcc, v90, v23 src0_sel:WORD_0 src1_sel:DWORD
	s_nop 1
	v_cndmask_b32_e32 v22, v22, v90, vcc
; %bb.112:                              ;   in Loop: Header=BB127_83 Depth=1
	s_or_b64 exec, exec, s[64:65]
	v_and_b32_e32 v90, 0x7f800000, v91
	v_cmp_ne_u32_e32 vcc, s83, v90
                                        ; implicit-def: $vgpr90
	s_and_saveexec_b64 s[64:65], vcc
	s_xor_b64 s[64:65], exec, s[64:65]
; %bb.113:                              ;   in Loop: Header=BB127_83 Depth=1
	v_bfe_u32 v90, v91, 16, 1
	v_add3_u32 v90, v91, v90, s84
                                        ; implicit-def: $vgpr91
; %bb.114:                              ;   in Loop: Header=BB127_83 Depth=1
	s_andn2_saveexec_b64 s[64:65], s[64:65]
; %bb.115:                              ;   in Loop: Header=BB127_83 Depth=1
	v_or_b32_e32 v90, 0x10000, v91
	v_cmp_eq_u32_sdwa vcc, v91, v23 src0_sel:WORD_0 src1_sel:DWORD
	s_nop 1
	v_cndmask_b32_e32 v90, v90, v91, vcc
; %bb.116:                              ;   in Loop: Header=BB127_83 Depth=1
	s_or_b64 exec, exec, s[64:65]
	v_perm_b32 v22, v90, v22, s85
	s_andn2_b64 vcc, exec, s[20:21]
	v_mov_b32_e32 v90, 0
	v_mov_b32_e32 v91, 0
	ds_write_b32 v103, v22 offset:592
	s_cbranch_vccnz .LBB127_119
; %bb.117:                              ;   in Loop: Header=BB127_83 Depth=1
	ds_read_b32 v22, v102 offset:12
	v_mov_b32_e32 v91, 0
	v_mov_b32_e32 v90, 0
	s_waitcnt lgkmcnt(0)
	v_cmp_gt_i32_e32 vcc, 0, v22
	s_cbranch_vccnz .LBB127_119
; %bb.118:                              ;   in Loop: Header=BB127_83 Depth=1
	v_mul_lo_u32 v22, v22, s61
	v_readlane_b32 s64, v110, 25
	s_nop 1
	v_add_u32_e32 v22, s64, v22
	v_add_u32_e32 v90, v22, v105
	v_ashrrev_i32_e32 v91, 31, v90
	v_lshl_add_u64 v[90:91], v[90:91], 2, v[20:21]
	global_load_dwordx2 v[90:91], v[90:91], off
.LBB127_119:                            ;   in Loop: Header=BB127_83 Depth=1
	s_waitcnt vmcnt(0)
	v_and_b32_e32 v22, 0x7f800000, v90
	v_cmp_ne_u32_e32 vcc, s83, v22
                                        ; implicit-def: $vgpr22
	s_and_saveexec_b64 s[64:65], vcc
	s_xor_b64 s[64:65], exec, s[64:65]
; %bb.120:                              ;   in Loop: Header=BB127_83 Depth=1
	v_bfe_u32 v22, v90, 16, 1
	v_add3_u32 v22, v90, v22, s84
; %bb.121:                              ;   in Loop: Header=BB127_83 Depth=1
	s_andn2_saveexec_b64 s[64:65], s[64:65]
; %bb.122:                              ;   in Loop: Header=BB127_83 Depth=1
	v_or_b32_e32 v22, 0x10000, v90
	v_cmp_eq_u32_sdwa vcc, v90, v23 src0_sel:WORD_0 src1_sel:DWORD
	s_nop 1
	v_cndmask_b32_e32 v22, v22, v90, vcc
; %bb.123:                              ;   in Loop: Header=BB127_83 Depth=1
	s_or_b64 exec, exec, s[64:65]
	v_and_b32_e32 v90, 0x7f800000, v91
	v_cmp_ne_u32_e32 vcc, s83, v90
                                        ; implicit-def: $vgpr90
	s_and_saveexec_b64 s[64:65], vcc
	s_xor_b64 s[64:65], exec, s[64:65]
; %bb.124:                              ;   in Loop: Header=BB127_83 Depth=1
	v_bfe_u32 v90, v91, 16, 1
	v_add3_u32 v90, v91, v90, s84
                                        ; implicit-def: $vgpr91
; %bb.125:                              ;   in Loop: Header=BB127_83 Depth=1
	s_andn2_saveexec_b64 s[64:65], s[64:65]
; %bb.126:                              ;   in Loop: Header=BB127_83 Depth=1
	v_or_b32_e32 v90, 0x10000, v91
	v_cmp_eq_u32_sdwa vcc, v91, v23 src0_sel:WORD_0 src1_sel:DWORD
	s_nop 1
	v_cndmask_b32_e32 v90, v90, v91, vcc
; %bb.127:                              ;   in Loop: Header=BB127_83 Depth=1
	s_or_b64 exec, exec, s[64:65]
	v_perm_b32 v22, v90, v22, s85
	s_andn2_b64 vcc, exec, s[22:23]
	v_mov_b32_e32 v90, 0
	v_mov_b32_e32 v91, 0
	ds_write_b32 v103, v22 offset:856
	s_cbranch_vccnz .LBB127_130
; %bb.128:                              ;   in Loop: Header=BB127_83 Depth=1
	ds_read_b32 v22, v102 offset:16
	v_mov_b32_e32 v91, 0
	v_mov_b32_e32 v90, 0
	s_waitcnt lgkmcnt(0)
	v_cmp_gt_i32_e32 vcc, 0, v22
	s_cbranch_vccnz .LBB127_130
; %bb.129:                              ;   in Loop: Header=BB127_83 Depth=1
	v_mul_lo_u32 v22, v22, s61
	v_readlane_b32 s64, v110, 24
	s_nop 1
	v_add_u32_e32 v22, s64, v22
	v_add_u32_e32 v90, v22, v105
	v_ashrrev_i32_e32 v91, 31, v90
	v_lshl_add_u64 v[90:91], v[90:91], 2, v[20:21]
	global_load_dwordx2 v[90:91], v[90:91], off
.LBB127_130:                            ;   in Loop: Header=BB127_83 Depth=1
	;; [unrolled: 59-line block ×11, first 2 shown]
	s_waitcnt vmcnt(0)
	v_and_b32_e32 v22, 0x7f800000, v90
	v_cmp_ne_u32_e32 vcc, s83, v22
                                        ; implicit-def: $vgpr22
	s_and_saveexec_b64 s[64:65], vcc
	s_xor_b64 s[64:65], exec, s[64:65]
; %bb.230:                              ;   in Loop: Header=BB127_83 Depth=1
	v_bfe_u32 v22, v90, 16, 1
	v_add3_u32 v22, v90, v22, s84
; %bb.231:                              ;   in Loop: Header=BB127_83 Depth=1
	s_andn2_saveexec_b64 s[64:65], s[64:65]
; %bb.232:                              ;   in Loop: Header=BB127_83 Depth=1
	v_or_b32_e32 v22, 0x10000, v90
	v_cmp_eq_u32_sdwa vcc, v90, v23 src0_sel:WORD_0 src1_sel:DWORD
	s_nop 1
	v_cndmask_b32_e32 v22, v22, v90, vcc
; %bb.233:                              ;   in Loop: Header=BB127_83 Depth=1
	s_or_b64 exec, exec, s[64:65]
	v_and_b32_e32 v90, 0x7f800000, v91
	v_cmp_ne_u32_e32 vcc, s83, v90
                                        ; implicit-def: $vgpr90
	s_and_saveexec_b64 s[64:65], vcc
	s_xor_b64 s[64:65], exec, s[64:65]
; %bb.234:                              ;   in Loop: Header=BB127_83 Depth=1
	v_bfe_u32 v90, v91, 16, 1
	v_add3_u32 v90, v91, v90, s84
                                        ; implicit-def: $vgpr91
; %bb.235:                              ;   in Loop: Header=BB127_83 Depth=1
	s_andn2_saveexec_b64 s[64:65], s[64:65]
	s_cbranch_execz .LBB127_82
; %bb.236:                              ;   in Loop: Header=BB127_83 Depth=1
	v_or_b32_e32 v90, 0x10000, v91
	v_cmp_eq_u32_sdwa vcc, v91, v23 src0_sel:WORD_0 src1_sel:DWORD
	s_nop 1
	v_cndmask_b32_e32 v90, v90, v91, vcc
	s_branch .LBB127_82
.LBB127_237:
	s_or_b64 exec, exec, s[54:55]
	v_readlane_b32 s30, v110, 16
	v_readlane_b32 s36, v110, 20
	;; [unrolled: 1-line block ×8, first 2 shown]
.LBB127_238:
	v_readlane_b32 s0, v110, 14
	v_readlane_b32 s1, v110, 15
	s_or_b64 exec, exec, s[0:1]
	v_mul_u32_u24_e32 v0, 0x208, v100
	s_movk_i32 s1, 0x100
	v_lshlrev_b32_e32 v1, 2, v99
	v_add3_u32 v0, s1, v0, v1
	v_and_b32_e32 v2, 0x3f0, v16
	v_add_u32_e32 v3, v0, v2
	s_waitcnt lgkmcnt(0)
	s_barrier
	ds_write2_b32 v3, a12, a13 offset0:16 offset1:17
	v_or_b32_e32 v3, 12, v16
	v_add_u32_e32 v1, 64, v0
	v_and_b32_e32 v3, 0x3fc, v3
	v_add_u32_e32 v2, v1, v2
	v_add_u32_e32 v0, v0, v3
	ds_write_b32 v2, a14 offset:8
	ds_write_b32 v0, a15 offset:64
	ds_write2_b32 v2, a8, a9 offset0:16 offset1:17
	ds_write_b32 v2, a10 offset:72
	v_add_u32_e32 v0, v1, v3
	ds_write_b32 v0, a11 offset:64
	ds_write2_b32 v2, a4, a5 offset0:32 offset1:33
	ds_write_b32 v2, a6 offset:136
	ds_write_b32 v0, a7 offset:128
	ds_write2_b32 v2, a0, a1 offset0:48 offset1:49
	ds_write_b32 v2, a2 offset:200
	ds_write_b32 v0, a3 offset:192
	v_mov_b32_e32 v0, 0x100
	s_movk_i32 s0, 0x208
	v_lshl_add_u32 v5, v16, 2, v0
	v_mad_u32_u24 v1, v17, s0, v5
	s_waitcnt lgkmcnt(0)
	s_barrier
	ds_read2_b32 v[2:3], v1 offset0:16 offset1:80
	v_cmp_gt_u32_e32 vcc, 14, v17
	v_mov_b32_e32 v6, -1
	s_and_saveexec_b64 s[0:1], vcc
	s_cbranch_execz .LBB127_240
; %bb.239:
	v_lshl_add_u32 v0, v17, 2, v0
	ds_read_b32 v6, v0
.LBB127_240:
	s_or_b64 exec, exec, s[0:1]
	s_mul_hi_i32 s1, s38, s28
	s_mul_i32 s0, s38, s28
	s_lshl_b64 s[0:1], s[0:1], 2
	v_readlane_b32 s2, v110, 12
	v_mul_hi_i32 v1, v92, s57
	v_mul_lo_u32 v0, v92, s57
	v_readlane_b32 s3, v110, 13
	s_add_u32 s0, s2, s0
	s_addc_u32 s1, s3, s1
	v_lshlrev_b64 v[0:1], 2, v[0:1]
	s_waitcnt lgkmcnt(0)
	v_cmp_lt_i32_e32 vcc, -1, v6
	v_mul_u32_u24_e32 v7, 0x208, v17
	v_add_u32_e32 v4, s8, v16
	v_lshl_add_u64 v[0:1], s[0:1], 0, v[0:1]
	s_and_b64 s[2:3], vcc, s[30:31]
	s_and_saveexec_b64 s[0:1], s[2:3]
	s_cbranch_execz .LBB127_242
; %bb.241:
	v_add_f32_e32 v2, 0, v2
	v_add_f32_e32 v8, v2, v3
	v_mul_lo_u32 v2, v6, s62
	v_mul_lo_u32 v3, v17, s57
	v_add3_u32 v2, v4, v3, v2
	v_mov_b32_e32 v3, 0
	v_lshl_add_u64 v[2:3], v[2:3], 2, v[0:1]
	global_store_dword v[2:3], v8, off
.LBB127_242:
	s_or_b64 exec, exec, s[0:1]
	v_add_u32_e32 v5, v7, v5
	v_add_u32_e32 v2, 0x50, v5
	ds_read2st64_b32 v[2:3], v2 offset0:4 offset1:5
	v_cmp_gt_u32_e32 vcc, 12, v17
	v_mov_b32_e32 v6, -1
	s_and_saveexec_b64 s[0:1], vcc
	s_cbranch_execz .LBB127_244
; %bb.243:
	v_mov_b32_e32 v6, 0x100
	v_lshl_add_u32 v6, v17, 2, v6
	ds_read_b32 v6, v6 offset:8
.LBB127_244:
	s_or_b64 exec, exec, s[0:1]
	v_readlane_b32 s0, v110, 0
	s_waitcnt lgkmcnt(0)
	v_cmp_lt_i32_e32 vcc, -1, v6
	v_readlane_b32 s1, v110, 1
	s_and_b64 s[2:3], vcc, s[0:1]
	s_and_saveexec_b64 s[0:1], s[2:3]
	s_cbranch_execz .LBB127_246
; %bb.245:
	v_add_f32_e32 v2, 0, v2
	v_add_f32_e32 v7, v2, v3
	v_mul_lo_u32 v2, v6, s62
	v_mul_lo_u32 v3, v93, s57
	v_add3_u32 v2, v4, v3, v2
	v_mov_b32_e32 v3, 0
	v_lshl_add_u64 v[2:3], v[2:3], 2, v[0:1]
	global_store_dword v[2:3], v7, off
.LBB127_246:
	s_or_b64 exec, exec, s[0:1]
	v_add_u32_e32 v2, 0x60, v5
	ds_read2st64_b32 v[2:3], v2 offset0:8 offset1:9
	v_cmp_gt_u32_e32 vcc, 10, v17
	v_mov_b32_e32 v6, -1
	s_and_saveexec_b64 s[0:1], vcc
	s_cbranch_execz .LBB127_248
; %bb.247:
	v_mov_b32_e32 v6, 0x100
	v_lshl_add_u32 v6, v17, 2, v6
	ds_read_b32 v6, v6 offset:16
.LBB127_248:
	s_or_b64 exec, exec, s[0:1]
	v_readlane_b32 s0, v110, 2
	s_waitcnt lgkmcnt(0)
	v_cmp_lt_i32_e32 vcc, -1, v6
	v_readlane_b32 s1, v110, 3
	s_and_b64 s[2:3], vcc, s[0:1]
	s_and_saveexec_b64 s[0:1], s[2:3]
	s_cbranch_execz .LBB127_250
; %bb.249:
	v_add_f32_e32 v2, 0, v2
	v_add_f32_e32 v7, v2, v3
	v_mul_lo_u32 v2, v6, s62
	v_mul_lo_u32 v3, v94, s57
	v_add3_u32 v2, v4, v3, v2
	v_mov_b32_e32 v3, 0
	v_lshl_add_u64 v[2:3], v[2:3], 2, v[0:1]
	global_store_dword v[2:3], v7, off
.LBB127_250:
	s_or_b64 exec, exec, s[0:1]
	;; [unrolled: 30-line block ×5, first 2 shown]
	v_add_u32_e32 v2, 0xa0, v5
	ds_read2st64_b32 v[2:3], v2 offset0:24 offset1:25
	v_cmp_gt_u32_e32 vcc, 2, v17
	v_mov_b32_e32 v5, -1
	s_and_saveexec_b64 s[0:1], vcc
	s_cbranch_execz .LBB127_264
; %bb.263:
	v_mov_b32_e32 v5, 0x100
	v_lshl_add_u32 v5, v17, 2, v5
	ds_read_b32 v5, v5 offset:48
.LBB127_264:
	s_or_b64 exec, exec, s[0:1]
	v_readlane_b32 s0, v110, 10
	s_waitcnt lgkmcnt(0)
	v_cmp_lt_i32_e32 vcc, -1, v5
	v_readlane_b32 s1, v110, 11
	s_and_b64 s[0:1], vcc, s[0:1]
	s_and_saveexec_b64 s[2:3], s[0:1]
	s_cbranch_execz .LBB127_266
; %bb.265:
	v_add_f32_e32 v2, 0, v2
	v_add_f32_e32 v6, v2, v3
	v_mul_lo_u32 v2, v5, s62
	v_mul_lo_u32 v3, v98, s57
	v_add3_u32 v2, v4, v3, v2
	v_mov_b32_e32 v3, 0
	v_lshl_add_u64 v[0:1], v[2:3], 2, v[0:1]
	global_store_dword v[0:1], v6, off
.LBB127_266:
	s_endpgm
	.section	.rodata,"a",@progbits
	.p2align	6, 0x0
	.amdhsa_kernel _ZL9mul_mat_fI15__hip_bfloat162Li64ELi14ELi2ELb1EEvPKT_PKfPKiPfiiiiiiiiiiiiiiii
		.amdhsa_group_segment_fixed_size 256
		.amdhsa_private_segment_fixed_size 0
		.amdhsa_kernarg_size 352
		.amdhsa_user_sgpr_count 2
		.amdhsa_user_sgpr_dispatch_ptr 0
		.amdhsa_user_sgpr_queue_ptr 0
		.amdhsa_user_sgpr_kernarg_segment_ptr 1
		.amdhsa_user_sgpr_dispatch_id 0
		.amdhsa_user_sgpr_kernarg_preload_length 0
		.amdhsa_user_sgpr_kernarg_preload_offset 0
		.amdhsa_user_sgpr_private_segment_size 0
		.amdhsa_uses_dynamic_stack 0
		.amdhsa_enable_private_segment 0
		.amdhsa_system_sgpr_workgroup_id_x 1
		.amdhsa_system_sgpr_workgroup_id_y 1
		.amdhsa_system_sgpr_workgroup_id_z 1
		.amdhsa_system_sgpr_workgroup_info 0
		.amdhsa_system_vgpr_workitem_id 2
		.amdhsa_next_free_vgpr 136
		.amdhsa_next_free_sgpr 100
		.amdhsa_accum_offset 112
		.amdhsa_reserve_vcc 1
		.amdhsa_float_round_mode_32 0
		.amdhsa_float_round_mode_16_64 0
		.amdhsa_float_denorm_mode_32 3
		.amdhsa_float_denorm_mode_16_64 3
		.amdhsa_dx10_clamp 1
		.amdhsa_ieee_mode 1
		.amdhsa_fp16_overflow 0
		.amdhsa_tg_split 0
		.amdhsa_exception_fp_ieee_invalid_op 0
		.amdhsa_exception_fp_denorm_src 0
		.amdhsa_exception_fp_ieee_div_zero 0
		.amdhsa_exception_fp_ieee_overflow 0
		.amdhsa_exception_fp_ieee_underflow 0
		.amdhsa_exception_fp_ieee_inexact 0
		.amdhsa_exception_int_div_zero 0
	.end_amdhsa_kernel
	.section	.text._ZL9mul_mat_fI15__hip_bfloat162Li64ELi14ELi2ELb1EEvPKT_PKfPKiPfiiiiiiiiiiiiiiii,"axG",@progbits,_ZL9mul_mat_fI15__hip_bfloat162Li64ELi14ELi2ELb1EEvPKT_PKfPKiPfiiiiiiiiiiiiiiii,comdat
.Lfunc_end127:
	.size	_ZL9mul_mat_fI15__hip_bfloat162Li64ELi14ELi2ELb1EEvPKT_PKfPKiPfiiiiiiiiiiiiiiii, .Lfunc_end127-_ZL9mul_mat_fI15__hip_bfloat162Li64ELi14ELi2ELb1EEvPKT_PKfPKiPfiiiiiiiiiiiiiiii
                                        ; -- End function
	.section	.AMDGPU.csdata,"",@progbits
; Kernel info:
; codeLenInByte = 12284
; NumSgprs: 106
; NumVgprs: 111
; NumAgprs: 24
; TotalNumVgprs: 136
; ScratchSize: 0
; MemoryBound: 0
; FloatMode: 240
; IeeeMode: 1
; LDSByteSize: 256 bytes/workgroup (compile time only)
; SGPRBlocks: 13
; VGPRBlocks: 16
; NumSGPRsForWavesPerEU: 106
; NumVGPRsForWavesPerEU: 136
; AccumOffset: 112
; Occupancy: 3
; WaveLimiterHint : 0
; COMPUTE_PGM_RSRC2:SCRATCH_EN: 0
; COMPUTE_PGM_RSRC2:USER_SGPR: 2
; COMPUTE_PGM_RSRC2:TRAP_HANDLER: 0
; COMPUTE_PGM_RSRC2:TGID_X_EN: 1
; COMPUTE_PGM_RSRC2:TGID_Y_EN: 1
; COMPUTE_PGM_RSRC2:TGID_Z_EN: 1
; COMPUTE_PGM_RSRC2:TIDIG_COMP_CNT: 2
; COMPUTE_PGM_RSRC3_GFX90A:ACCUM_OFFSET: 27
; COMPUTE_PGM_RSRC3_GFX90A:TG_SPLIT: 0
	.section	.text._ZL9mul_mat_fI15__hip_bfloat162Li64ELi14ELi2ELb0EEvPKT_PKfPKiPfiiiiiiiiiiiiiiii,"axG",@progbits,_ZL9mul_mat_fI15__hip_bfloat162Li64ELi14ELi2ELb0EEvPKT_PKfPKiPfiiiiiiiiiiiiiiii,comdat
	.globl	_ZL9mul_mat_fI15__hip_bfloat162Li64ELi14ELi2ELb0EEvPKT_PKfPKiPfiiiiiiiiiiiiiiii ; -- Begin function _ZL9mul_mat_fI15__hip_bfloat162Li64ELi14ELi2ELb0EEvPKT_PKfPKiPfiiiiiiiiiiiiiiii
	.p2align	8
	.type	_ZL9mul_mat_fI15__hip_bfloat162Li64ELi14ELi2ELb0EEvPKT_PKfPKiPfiiiiiiiiiiiiiiii,@function
_ZL9mul_mat_fI15__hip_bfloat162Li64ELi14ELi2ELb0EEvPKT_PKfPKiPfiiiiiiiiiiiiiiii: ; @_ZL9mul_mat_fI15__hip_bfloat162Li64ELi14ELi2ELb0EEvPKT_PKfPKiPfiiiiiiiiiiiiiiii
; %bb.0:
	s_load_dword s5, s[0:1], 0x20
	s_load_dwordx4 s[16:19], s[0:1], 0x2c
	v_bfe_u32 v93, v0, 10, 10
	v_lshlrev_b32_e32 v94, 6, v93
	v_and_b32_e32 v92, 0x3ff, v0
	v_add_u32_e32 v96, v94, v92
	s_mov_b32 s20, 0
	s_waitcnt lgkmcnt(0)
	s_ashr_i32 s19, s4, 31
	v_cmp_le_i32_e32 vcc, s5, v96
	v_and_b32_e32 v95, 15, v92
	s_and_saveexec_b64 s[6:7], vcc
	s_xor_b64 s[6:7], exec, s[6:7]
; %bb.1:
	v_and_b32_e32 v95, 15, v92
                                        ; implicit-def: $vgpr96
; %bb.2:
	s_or_saveexec_b64 s[24:25], s[6:7]
	s_load_dwordx8 s[8:15], s[0:1], 0x40
	s_load_dwordx2 s[6:7], s[0:1], 0x18
	s_lshl_b32 s27, s2, 6
	v_accvgpr_write_b32 a0, s20
	v_accvgpr_write_b32 a1, s20
	;; [unrolled: 1-line block ×16, first 2 shown]
	v_lshlrev_b32_e32 v16, 2, v92
	s_xor_b64 exec, exec, s[24:25]
	s_cbranch_execz .LBB128_118
; %bb.3:
	s_waitcnt lgkmcnt(0)
	s_abs_i32 s2, s8
	v_cvt_f32_u32_e32 v0, s2
                                        ; implicit-def: $vgpr104 : SGPR spill to VGPR lane
	s_abs_i32 s26, s4
	v_writelane_b32 v104, s6, 0
	v_lshlrev_b32_e32 v20, 8, v93
	v_rcp_iflag_f32_e32 v0, v0
	v_writelane_b32 v104, s7, 1
	s_abs_i32 s6, s12
	v_cvt_f32_u32_e32 v1, s6
	v_mul_f32_e32 v0, 0x4f7ffffe, v0
	v_cvt_u32_f32_e32 v0, v0
	s_sub_i32 s7, 0, s2
	v_rcp_iflag_f32_e32 v1, v1
	s_sub_i32 s20, 0, s6
	v_mul_lo_u32 v2, s7, v0
	v_mul_hi_u32 v2, v0, v2
	v_mul_f32_e32 v1, 0x4f7ffffe, v1
	v_cvt_u32_f32_e32 v1, v1
	s_abs_i32 s7, s3
	v_add_u32_e32 v0, v0, v2
	v_mul_hi_u32 v0, s7, v0
	v_mul_lo_u32 v3, s20, v1
	v_mul_lo_u32 v2, v0, s2
	v_mul_hi_u32 v3, v1, v3
	v_sub_u32_e32 v2, s7, v2
	v_add_u32_e32 v1, v1, v3
	v_add_u32_e32 v3, 1, v0
	v_subrev_u32_e32 v4, s2, v2
	v_cmp_le_u32_e32 vcc, s2, v2
	s_load_dwordx4 s[20:23], s[0:1], 0x0
	s_ashr_i32 s0, s3, 31
	v_cndmask_b32_e32 v0, v0, v3, vcc
	v_cndmask_b32_e32 v2, v2, v4, vcc
	s_ashr_i32 s1, s8, 31
	v_add_u32_e32 v3, 1, v0
	v_cmp_le_u32_e32 vcc, s2, v2
	s_xor_b32 s0, s0, s1
	v_mul_hi_u32 v1, s26, v1
	v_cndmask_b32_e32 v0, v0, v3, vcc
	v_xor_b32_e32 v0, s0, v0
	v_subrev_u32_e32 v2, s0, v0
	v_mul_lo_u32 v0, v1, s6
	v_sub_u32_e32 v0, s26, v0
	v_add_u32_e32 v3, 1, v1
	v_subrev_u32_e32 v4, s6, v0
	v_cmp_le_u32_e32 vcc, s6, v0
	s_ashr_i32 s8, s12, 31
	s_xor_b32 s0, s19, s8
	v_cndmask_b32_e32 v1, v1, v3, vcc
	v_cndmask_b32_e32 v0, v0, v4, vcc
	v_add_u32_e32 v3, 1, v1
	v_cmp_le_u32_e32 vcc, s6, v0
	v_mul_lo_u32 v2, v2, s9
	s_mul_i32 s8, s3, s10
	v_cndmask_b32_e32 v0, v1, v3, vcc
	v_xor_b32_e32 v0, s0, v0
	v_subrev_u32_e32 v0, s0, v0
	s_mul_i32 s0, s27, s16
	v_ashrrev_i32_e32 v3, 31, v2
	s_ashr_i32 s1, s0, 31
	v_mul_hi_i32 v1, v0, s13
	v_mul_lo_u32 v0, v0, s13
	s_lshl_b64 s[0:1], s[0:1], 2
	v_lshlrev_b64 v[2:3], 2, v[2:3]
	v_lshlrev_b64 v[0:1], 2, v[0:1]
	s_mul_hi_i32 s7, s14, s4
	s_mul_i32 s6, s14, s4
	v_lshl_add_u64 v[2:3], v[2:3], 0, s[0:1]
	s_ashr_i32 s9, s8, 31
	s_waitcnt lgkmcnt(0)
	v_lshl_add_u64 v[4:5], s[20:21], 0, v[0:1]
	s_lshl_b64 s[6:7], s[6:7], 2
	s_lshl_b64 s[0:1], s[8:9], 2
	v_mov_b32_e32 v21, 0
	v_lshl_add_u64 v[0:1], v[2:3], 0, v[0:1]
	s_add_u32 s22, s22, s0
	v_lshl_add_u64 v[0:1], v[0:1], 0, v[20:21]
	v_mov_b32_e32 v17, v21
	s_addc_u32 s23, s23, s1
	v_lshl_add_u64 v[0:1], v[0:1], 0, v[16:17]
	v_lshlrev_b32_e32 v20, 9, v93
	s_add_u32 s0, s22, s6
	s_movk_i32 s2, 0x1080
	v_lshrrev_b32_e32 v6, 1, v92
	v_lshl_add_u64 v[22:23], s[20:21], 0, v[0:1]
	v_lshl_add_u64 v[0:1], s[6:7], 0, v[20:21]
	v_lshlrev_b32_e32 v20, 3, v92
	v_lshl_add_u64 v[18:19], v[2:3], 0, v[4:5]
	s_addc_u32 s1, s23, s7
	v_mad_u32_u24 v4, v93, s2, 0
	v_mul_u32_u24_e32 v5, 0x108, v95
	v_and_b32_e32 v6, 0x1f8, v6
	s_ashr_i32 s9, s16, 31
	s_mov_b32 s8, s16
	s_ashr_i32 s13, s17, 31
	s_mov_b32 s12, s17
	v_lshl_add_u64 v[0:1], v[0:1], 0, v[20:21]
	v_add_u32_e32 v97, v4, v16
	v_add3_u32 v98, v4, v5, v6
	s_lshl_b64 s[8:9], s[8:9], 2
	s_lshl_b64 s[12:13], s[12:13], 3
	v_lshl_add_u64 v[24:25], s[22:23], 0, v[0:1]
	s_mul_i32 s10, s16, 63
	s_lshl_b32 s14, s17, 1
	s_mul_i32 s19, s17, 3
	s_lshl_b32 s28, s17, 2
	s_mul_i32 s29, s17, 5
	s_mul_i32 s30, s17, 6
	;; [unrolled: 1-line block ×3, first 2 shown]
	s_lshl_b32 s33, s17, 3
	s_mul_i32 s34, s17, 9
	s_mul_i32 s35, s17, 10
	;; [unrolled: 1-line block ×5, first 2 shown]
	s_lshl_b32 s39, s16, 1
	s_mul_i32 s40, s16, 3
	s_lshl_b32 s41, s16, 2
	s_mul_i32 s42, s16, 5
	s_mul_i32 s43, s16, 6
	;; [unrolled: 1-line block ×3, first 2 shown]
	s_lshl_b32 s45, s16, 3
	s_mul_i32 s46, s16, 9
	s_mul_i32 s47, s16, 10
	;; [unrolled: 1-line block ×7, first 2 shown]
	s_lshl_b32 s53, s16, 4
	s_mul_i32 s54, s16, 17
	s_mul_i32 s55, s16, 18
	;; [unrolled: 1-line block ×15, first 2 shown]
	s_lshl_b32 s69, s16, 5
	s_mul_i32 s70, s16, 33
	s_mul_i32 s71, s16, 34
	;; [unrolled: 1-line block ×11, first 2 shown]
	v_accvgpr_write_b32 a15, 0
	v_accvgpr_write_b32 a14, 0
	;; [unrolled: 1-line block ×16, first 2 shown]
	s_mul_i32 s81, s16, 44
	s_mul_i32 s82, s16, 45
	s_mul_i32 s83, s16, 46
	s_mul_i32 s84, s16, 47
	s_mul_i32 s85, s16, 48
	s_mul_i32 s86, s16, 49
	s_mul_i32 s87, s16, 50
	s_mul_i32 s88, s16, 51
	s_mul_i32 s89, s16, 52
	s_mul_i32 s90, s16, 53
	s_mul_i32 s91, s16, 54
	s_mul_i32 s92, s16, 55
	s_mul_i32 s93, s16, 56
	s_mul_i32 s94, s16, 57
	s_mul_i32 s95, s16, 58
	s_mul_i32 s96, s16, 59
	s_mul_i32 s97, s16, 60
	s_mul_i32 s98, s16, 61
	s_mul_i32 s99, s16, 62
	s_mov_b32 s6, 0x7f800000
	s_movk_i32 s7, 0x7fff
	s_mov_b32 s2, 0x7060302
	s_mov_b64 s[16:17], 0
	s_mov_b64 s[20:21], 0x200
	;; [unrolled: 1-line block ×3, first 2 shown]
	v_writelane_b32 v104, s27, 2
	s_branch .LBB128_5
.LBB128_4:                              ;   in Loop: Header=BB128_5 Depth=1
	s_or_b64 exec, exec, s[26:27]
	v_perm_b32 v17, v20, v17, s2
	v_add_u32_e32 v20, 0xc00, v97
	ds_write2_b32 v20, v17, v21 offset0:90 offset1:156
	ds_write_b32 v97, v21 offset:3960
	ds_read2_b64 v[100:103], v98 offset1:4
	v_accvgpr_write_b32 a0, v0
	v_accvgpr_write_b32 a4, v4
	;; [unrolled: 1-line block ×16, first 2 shown]
	s_waitcnt lgkmcnt(0)
	v_mfma_f32_16x16x16_bf16 a[0:3], v[44:45], v[100:101], a[0:3]
	ds_read2_b64 v[0:3], v98 offset0:8 offset1:12
	v_add_u32_e32 v96, 0x80, v96
	v_cmp_le_i32_e32 vcc, s5, v96
	v_mfma_f32_16x16x16_bf16 a[4:7], v[58:59], v[100:101], a[4:7]
	v_lshl_add_u64 v[22:23], v[22:23], 0, s[20:21]
	v_lshl_add_u64 v[24:25], v[24:25], 0, s[22:23]
	s_or_b64 s[16:17], vcc, s[16:17]
	v_mfma_f32_16x16x16_bf16 a[8:11], v[74:75], v[100:101], a[8:11]
	v_mfma_f32_16x16x16_bf16 a[12:15], v[88:89], v[100:101], a[12:15]
	v_mfma_f32_16x16x16_bf16 a[0:3], v[38:39], v[102:103], a[0:3]
	v_mfma_f32_16x16x16_bf16 a[4:7], v[56:57], v[102:103], a[4:7]
	v_mfma_f32_16x16x16_bf16 a[8:11], v[72:73], v[102:103], a[8:11]
	v_mfma_f32_16x16x16_bf16 a[12:15], v[86:87], v[102:103], a[12:15]
	s_waitcnt lgkmcnt(0)
	v_mfma_f32_16x16x16_bf16 a[0:3], v[36:37], v[0:1], a[0:3]
	v_mfma_f32_16x16x16_bf16 a[4:7], v[52:53], v[0:1], a[4:7]
	v_mfma_f32_16x16x16_bf16 a[8:11], v[70:71], v[0:1], a[8:11]
	v_mfma_f32_16x16x16_bf16 a[12:15], v[84:85], v[0:1], a[12:15]
	v_mfma_f32_16x16x16_bf16 a[0:3], v[34:35], v[2:3], a[0:3]
	v_mfma_f32_16x16x16_bf16 a[4:7], v[50:51], v[2:3], a[4:7]
	v_mfma_f32_16x16x16_bf16 a[8:11], v[66:67], v[2:3], a[8:11]
	v_mfma_f32_16x16x16_bf16 a[12:15], v[82:83], v[2:3], a[12:15]
	ds_read2_b64 v[0:3], v98 offset0:16 offset1:20
	s_waitcnt lgkmcnt(0)
	v_mfma_f32_16x16x16_bf16 a[0:3], v[32:33], v[0:1], a[0:3]
	v_mfma_f32_16x16x16_bf16 a[4:7], v[48:49], v[0:1], a[4:7]
	;; [unrolled: 1-line block ×8, first 2 shown]
	ds_read2_b64 v[0:3], v98 offset0:24 offset1:28
	s_waitcnt lgkmcnt(0)
	v_mfma_f32_16x16x16_bf16 a[0:3], v[28:29], v[0:1], a[0:3]
	v_mfma_f32_16x16x16_bf16 a[4:7], v[42:43], v[0:1], a[4:7]
	;; [unrolled: 1-line block ×8, first 2 shown]
	s_andn2_b64 exec, exec, s[16:17]
	s_cbranch_execz .LBB128_117
.LBB128_5:                              ; =>This Inner Loop Header: Depth=1
	v_lshl_add_u64 v[0:1], v[22:23], 0, s[8:9]
	global_load_dword v17, v[22:23], off
	global_load_dword v20, v[0:1], off
	v_add_u32_e32 v0, s39, v96
	v_ashrrev_i32_e32 v1, 31, v0
	v_add_u32_e32 v2, s40, v96
	v_add_u32_e32 v4, s41, v96
	;; [unrolled: 1-line block ×6, first 2 shown]
	v_lshl_add_u64 v[0:1], v[0:1], 2, v[18:19]
	v_ashrrev_i32_e32 v3, 31, v2
	v_ashrrev_i32_e32 v5, 31, v4
	;; [unrolled: 1-line block ×6, first 2 shown]
	v_lshl_add_u64 v[2:3], v[2:3], 2, v[18:19]
	v_lshl_add_u64 v[4:5], v[4:5], 2, v[18:19]
	;; [unrolled: 1-line block ×6, first 2 shown]
	global_load_dword v42, v[0:1], off
	global_load_dword v43, v[2:3], off
	;; [unrolled: 1-line block ×7, first 2 shown]
	v_add_u32_e32 v12, s46, v96
	v_ashrrev_i32_e32 v13, 31, v12
	v_add_u32_e32 v26, s47, v96
	v_add_u32_e32 v40, s54, v96
	v_lshl_add_u64 v[12:13], v[12:13], 2, v[18:19]
	v_add_u32_e32 v28, s48, v96
	v_add_u32_e32 v30, s49, v96
	;; [unrolled: 1-line block ×6, first 2 shown]
	v_ashrrev_i32_e32 v27, 31, v26
	v_ashrrev_i32_e32 v41, 31, v40
	global_load_dword v49, v[12:13], off
	v_ashrrev_i32_e32 v29, 31, v28
	v_ashrrev_i32_e32 v31, 31, v30
	;; [unrolled: 1-line block ×6, first 2 shown]
	v_lshl_add_u64 v[26:27], v[26:27], 2, v[18:19]
	v_lshl_add_u64 v[40:41], v[40:41], 2, v[18:19]
	;; [unrolled: 1-line block ×8, first 2 shown]
	v_add_u32_e32 v12, s55, v96
	v_ashrrev_i32_e32 v13, 31, v12
	v_lshl_add_u64 v[12:13], v[12:13], 2, v[18:19]
	v_accvgpr_read_b32 v3, a15
	v_accvgpr_read_b32 v2, a14
	;; [unrolled: 1-line block ×14, first 2 shown]
	s_waitcnt vmcnt(9)
	ds_write_b32 v97, v17
	s_waitcnt vmcnt(8)
	ds_write_b32 v97, v20 offset:264
	s_waitcnt vmcnt(7)
	ds_write_b32 v97, v42 offset:528
	;; [unrolled: 2-line block ×8, first 2 shown]
	global_load_dword v17, v[26:27], off
	global_load_dword v20, v[28:29], off
	;; [unrolled: 1-line block ×7, first 2 shown]
	s_nop 0
	global_load_dword v40, v[40:41], off
	v_add_u32_e32 v26, s56, v96
	v_add_u32_e32 v28, s57, v96
	v_add_u32_e32 v30, s58, v96
	v_add_u32_e32 v32, s59, v96
	v_add_u32_e32 v34, s60, v96
	v_add_u32_e32 v36, s61, v96
	v_add_u32_e32 v38, s62, v96
	v_ashrrev_i32_e32 v27, 31, v26
	v_ashrrev_i32_e32 v29, 31, v28
	v_ashrrev_i32_e32 v31, 31, v30
	v_ashrrev_i32_e32 v33, 31, v32
	v_ashrrev_i32_e32 v35, 31, v34
	v_ashrrev_i32_e32 v37, 31, v36
	v_ashrrev_i32_e32 v39, 31, v38
	v_lshl_add_u64 v[26:27], v[26:27], 2, v[18:19]
	v_lshl_add_u64 v[28:29], v[28:29], 2, v[18:19]
	v_lshl_add_u64 v[30:31], v[30:31], 2, v[18:19]
	v_lshl_add_u64 v[32:33], v[32:33], 2, v[18:19]
	v_lshl_add_u64 v[34:35], v[34:35], 2, v[18:19]
	v_lshl_add_u64 v[36:37], v[36:37], 2, v[18:19]
	v_lshl_add_u64 v[38:39], v[38:39], 2, v[18:19]
	global_load_dword v41, v[12:13], off
	global_load_dword v47, v[26:27], off
	global_load_dword v48, v[28:29], off
	global_load_dword v50, v[30:31], off
	global_load_dword v51, v[32:33], off
	global_load_dword v52, v[34:35], off
	global_load_dword v53, v[36:37], off
	global_load_dword v54, v[38:39], off
	v_add_u32_e32 v12, s63, v96
	v_ashrrev_i32_e32 v13, 31, v12
	v_add_u32_e32 v26, s64, v96
	v_add_u32_e32 v28, s65, v96
	v_add_u32_e32 v30, s66, v96
	v_add_u32_e32 v32, s67, v96
	v_add_u32_e32 v34, s68, v96
	v_add_u32_e32 v36, s69, v96
	v_add_u32_e32 v38, s70, v96
	v_lshl_add_u64 v[12:13], v[12:13], 2, v[18:19]
	v_ashrrev_i32_e32 v27, 31, v26
	v_ashrrev_i32_e32 v29, 31, v28
	v_ashrrev_i32_e32 v31, 31, v30
	v_ashrrev_i32_e32 v33, 31, v32
	v_ashrrev_i32_e32 v35, 31, v34
	v_ashrrev_i32_e32 v37, 31, v36
	v_ashrrev_i32_e32 v39, 31, v38
	v_lshl_add_u64 v[26:27], v[26:27], 2, v[18:19]
	v_lshl_add_u64 v[28:29], v[28:29], 2, v[18:19]
	v_lshl_add_u64 v[30:31], v[30:31], 2, v[18:19]
	v_lshl_add_u64 v[32:33], v[32:33], 2, v[18:19]
	v_lshl_add_u64 v[34:35], v[34:35], 2, v[18:19]
	v_lshl_add_u64 v[36:37], v[36:37], 2, v[18:19]
	v_lshl_add_u64 v[38:39], v[38:39], 2, v[18:19]
	global_load_dword v55, v[12:13], off
	global_load_dword v56, v[26:27], off
	global_load_dword v57, v[28:29], off
	global_load_dword v58, v[30:31], off
	global_load_dword v59, v[32:33], off
	global_load_dword v60, v[34:35], off
	global_load_dword v61, v[36:37], off
	global_load_dword v62, v[38:39], off
	v_add_u32_e32 v12, s71, v96
	v_ashrrev_i32_e32 v13, 31, v12
	v_add_u32_e32 v26, s72, v96
	v_add_u32_e32 v28, s73, v96
	v_add_u32_e32 v30, s74, v96
	v_add_u32_e32 v32, s75, v96
	v_add_u32_e32 v34, s76, v96
	v_add_u32_e32 v36, s77, v96
	v_add_u32_e32 v38, s78, v96
	v_lshl_add_u64 v[12:13], v[12:13], 2, v[18:19]
	;; [unrolled: 32-line block ×4, first 2 shown]
	v_ashrrev_i32_e32 v27, 31, v26
	v_ashrrev_i32_e32 v29, 31, v28
	v_ashrrev_i32_e32 v31, 31, v30
	v_ashrrev_i32_e32 v33, 31, v32
	v_ashrrev_i32_e32 v35, 31, v34
	v_ashrrev_i32_e32 v37, 31, v36
	v_ashrrev_i32_e32 v39, 31, v38
	v_lshl_add_u64 v[26:27], v[26:27], 2, v[18:19]
	v_lshl_add_u64 v[28:29], v[28:29], 2, v[18:19]
	;; [unrolled: 1-line block ×7, first 2 shown]
	global_load_dword v79, v[12:13], off
	global_load_dword v80, v[26:27], off
	;; [unrolled: 1-line block ×8, first 2 shown]
	v_add_u32_e32 v12, s95, v96
	v_ashrrev_i32_e32 v13, 31, v12
	v_add_u32_e32 v26, s96, v96
	v_add_u32_e32 v28, s97, v96
	;; [unrolled: 1-line block ×5, first 2 shown]
	v_lshl_add_u64 v[12:13], v[12:13], 2, v[18:19]
	v_ashrrev_i32_e32 v27, 31, v26
	v_ashrrev_i32_e32 v29, 31, v28
	;; [unrolled: 1-line block ×5, first 2 shown]
	v_lshl_add_u64 v[26:27], v[26:27], 2, v[18:19]
	v_lshl_add_u64 v[28:29], v[28:29], 2, v[18:19]
	;; [unrolled: 1-line block ×5, first 2 shown]
	global_load_dword v12, v[12:13], off
	s_nop 0
	global_load_dword v13, v[26:27], off
	global_load_dword v87, v[28:29], off
	;; [unrolled: 1-line block ×5, first 2 shown]
	s_waitcnt vmcnt(54)
	ds_write_b32 v97, v49 offset:2376
	s_waitcnt vmcnt(53)
	ds_write_b32 v97, v17 offset:2640
	s_waitcnt vmcnt(52)
	ds_write_b32 v97, v20 offset:2904
	s_waitcnt vmcnt(51)
	ds_write_b32 v97, v42 offset:3168
	s_waitcnt vmcnt(50)
	ds_write_b32 v97, v43 offset:3432
	s_waitcnt vmcnt(49)
	ds_write_b32 v97, v44 offset:3696
	s_waitcnt vmcnt(48)
	ds_write_b32 v97, v45 offset:3960
	global_load_dwordx2 v[90:91], v[24:25], off
	ds_read_b64 v[44:45], v98
	ds_read_b64 v[38:39], v98 offset:32
	ds_read_b64 v[36:37], v98 offset:64
	ds_read_b64 v[34:35], v98 offset:96
	ds_read_b64 v[32:33], v98 offset:128
	ds_read_b64 v[30:31], v98 offset:160
	ds_read_b64 v[28:29], v98 offset:192
	ds_read_b64 v[26:27], v98 offset:224
	s_waitcnt vmcnt(48)
	ds_write_b32 v97, v46
	s_waitcnt vmcnt(47)
	ds_write_b32 v97, v40 offset:264
	s_waitcnt vmcnt(46)
	ds_write_b32 v97, v41 offset:528
	s_waitcnt vmcnt(45)
	ds_write_b32 v97, v47 offset:792
	s_waitcnt vmcnt(44)
	ds_write_b32 v97, v48 offset:1056
	s_waitcnt vmcnt(43)
	ds_write_b32 v97, v50 offset:1320
	s_waitcnt vmcnt(42)
	ds_write_b32 v97, v51 offset:1584
	s_waitcnt vmcnt(41)
	ds_write_b32 v97, v52 offset:1848
	s_waitcnt vmcnt(40)
	ds_write_b32 v97, v53 offset:2112
	s_waitcnt vmcnt(39)
	ds_write_b32 v97, v54 offset:2376
	s_waitcnt vmcnt(38)
	ds_write_b32 v97, v55 offset:2640
	s_waitcnt vmcnt(37)
	ds_write_b32 v97, v56 offset:2904
	s_waitcnt vmcnt(36)
	ds_write_b32 v97, v57 offset:3168
	s_waitcnt vmcnt(35)
	ds_write_b32 v97, v58 offset:3432
	s_waitcnt vmcnt(34)
	ds_write_b32 v97, v59 offset:3696
	s_waitcnt vmcnt(33)
	ds_write_b32 v97, v60 offset:3960
	ds_read_b64 v[58:59], v98
	ds_read_b64 v[56:57], v98 offset:32
	ds_read_b64 v[52:53], v98 offset:64
	ds_read_b64 v[50:51], v98 offset:96
	ds_read_b64 v[48:49], v98 offset:128
	ds_read_b64 v[46:47], v98 offset:160
	ds_read_b64 v[42:43], v98 offset:192
	ds_read_b64 v[40:41], v98 offset:224
	s_waitcnt vmcnt(32)
	ds_write_b32 v97, v61
	s_waitcnt vmcnt(31)
	ds_write_b32 v97, v62 offset:264
	s_waitcnt vmcnt(30)
	ds_write_b32 v97, v63 offset:528
	s_waitcnt vmcnt(29)
	ds_write_b32 v97, v64 offset:792
	s_waitcnt vmcnt(28)
	ds_write_b32 v97, v65 offset:1056
	s_waitcnt vmcnt(27)
	ds_write_b32 v97, v66 offset:1320
	s_waitcnt vmcnt(26)
	ds_write_b32 v97, v67 offset:1584
	s_waitcnt vmcnt(25)
	ds_write_b32 v97, v68 offset:1848
	s_waitcnt vmcnt(24)
	ds_write_b32 v97, v69 offset:2112
	s_waitcnt vmcnt(23)
	ds_write_b32 v97, v70 offset:2376
	s_waitcnt vmcnt(22)
	ds_write_b32 v97, v71 offset:2640
	s_waitcnt vmcnt(21)
	ds_write_b32 v97, v72 offset:2904
	s_waitcnt vmcnt(20)
	ds_write_b32 v97, v73 offset:3168
	s_waitcnt vmcnt(19)
	ds_write_b32 v97, v74 offset:3432
	s_waitcnt vmcnt(18)
	ds_write_b32 v97, v75 offset:3696
	s_waitcnt vmcnt(17)
	ds_write_b32 v97, v76 offset:3960
	;; [unrolled: 40-line block ×3, first 2 shown]
	ds_read_b64 v[88:89], v98
	ds_read_b64 v[86:87], v98 offset:32
	ds_read_b64 v[84:85], v98 offset:64
	;; [unrolled: 1-line block ×7, first 2 shown]
	s_waitcnt vmcnt(0)
	v_and_b32_e32 v17, 0x7f800000, v90
	v_accvgpr_read_b32 v13, a1
	v_accvgpr_read_b32 v12, a0
	v_cmp_ne_u32_e32 vcc, s6, v17
                                        ; implicit-def: $vgpr17
	s_and_saveexec_b64 s[26:27], vcc
	s_xor_b64 s[26:27], exec, s[26:27]
; %bb.6:                                ;   in Loop: Header=BB128_5 Depth=1
	v_bfe_u32 v17, v90, 16, 1
	v_add3_u32 v17, v90, v17, s7
; %bb.7:                                ;   in Loop: Header=BB128_5 Depth=1
	s_andn2_saveexec_b64 s[26:27], s[26:27]
; %bb.8:                                ;   in Loop: Header=BB128_5 Depth=1
	v_or_b32_e32 v17, 0x10000, v90
	v_cmp_eq_u32_sdwa vcc, v90, v21 src0_sel:WORD_0 src1_sel:DWORD
	s_nop 1
	v_cndmask_b32_e32 v17, v17, v90, vcc
; %bb.9:                                ;   in Loop: Header=BB128_5 Depth=1
	s_or_b64 exec, exec, s[26:27]
	v_and_b32_e32 v20, 0x7f800000, v91
	v_cmp_ne_u32_e32 vcc, s6, v20
                                        ; implicit-def: $vgpr20
	s_and_saveexec_b64 s[26:27], vcc
	s_xor_b64 s[26:27], exec, s[26:27]
; %bb.10:                               ;   in Loop: Header=BB128_5 Depth=1
	v_bfe_u32 v20, v91, 16, 1
	v_add3_u32 v20, v91, v20, s7
                                        ; implicit-def: $vgpr90_vgpr91
; %bb.11:                               ;   in Loop: Header=BB128_5 Depth=1
	s_andn2_saveexec_b64 s[26:27], s[26:27]
; %bb.12:                               ;   in Loop: Header=BB128_5 Depth=1
	v_or_b32_e32 v20, 0x10000, v91
	v_cmp_eq_u32_sdwa vcc, v91, v21 src0_sel:WORD_0 src1_sel:DWORD
	s_nop 1
	v_cndmask_b32_e32 v20, v20, v91, vcc
; %bb.13:                               ;   in Loop: Header=BB128_5 Depth=1
	s_or_b64 exec, exec, s[26:27]
	v_lshl_add_u64 v[90:91], v[24:25], 0, s[12:13]
	global_load_dwordx2 v[90:91], v[90:91], off
	v_perm_b32 v17, v20, v17, s2
	ds_write_b32 v97, v17
	s_waitcnt vmcnt(0)
	v_and_b32_e32 v17, 0x7f800000, v90
	v_cmp_ne_u32_e32 vcc, s6, v17
                                        ; implicit-def: $vgpr17
	s_and_saveexec_b64 s[26:27], vcc
	s_xor_b64 s[26:27], exec, s[26:27]
; %bb.14:                               ;   in Loop: Header=BB128_5 Depth=1
	v_bfe_u32 v17, v90, 16, 1
	v_add3_u32 v17, v90, v17, s7
; %bb.15:                               ;   in Loop: Header=BB128_5 Depth=1
	s_andn2_saveexec_b64 s[26:27], s[26:27]
; %bb.16:                               ;   in Loop: Header=BB128_5 Depth=1
	v_or_b32_e32 v17, 0x10000, v90
	v_cmp_eq_u32_sdwa vcc, v90, v21 src0_sel:WORD_0 src1_sel:DWORD
	s_nop 1
	v_cndmask_b32_e32 v17, v17, v90, vcc
; %bb.17:                               ;   in Loop: Header=BB128_5 Depth=1
	s_or_b64 exec, exec, s[26:27]
	v_and_b32_e32 v20, 0x7f800000, v91
	v_cmp_ne_u32_e32 vcc, s6, v20
                                        ; implicit-def: $vgpr20
	s_and_saveexec_b64 s[26:27], vcc
	s_xor_b64 s[26:27], exec, s[26:27]
; %bb.18:                               ;   in Loop: Header=BB128_5 Depth=1
	v_bfe_u32 v20, v91, 16, 1
	v_add3_u32 v20, v91, v20, s7
                                        ; implicit-def: $vgpr90_vgpr91
; %bb.19:                               ;   in Loop: Header=BB128_5 Depth=1
	s_andn2_saveexec_b64 s[26:27], s[26:27]
; %bb.20:                               ;   in Loop: Header=BB128_5 Depth=1
	v_or_b32_e32 v20, 0x10000, v91
	v_cmp_eq_u32_sdwa vcc, v91, v21 src0_sel:WORD_0 src1_sel:DWORD
	s_nop 1
	v_cndmask_b32_e32 v20, v20, v91, vcc
; %bb.21:                               ;   in Loop: Header=BB128_5 Depth=1
	s_or_b64 exec, exec, s[26:27]
	v_add_u32_e32 v90, s14, v96
	v_ashrrev_i32_e32 v91, 31, v90
	v_lshl_add_u64 v[90:91], v[90:91], 3, s[0:1]
	global_load_dwordx2 v[90:91], v[90:91], off
	v_perm_b32 v17, v20, v17, s2
	ds_write_b32 v97, v17 offset:264
	s_waitcnt vmcnt(0)
	v_and_b32_e32 v17, 0x7f800000, v90
	v_cmp_ne_u32_e32 vcc, s6, v17
                                        ; implicit-def: $vgpr17
	s_and_saveexec_b64 s[26:27], vcc
	s_xor_b64 s[26:27], exec, s[26:27]
; %bb.22:                               ;   in Loop: Header=BB128_5 Depth=1
	v_bfe_u32 v17, v90, 16, 1
	v_add3_u32 v17, v90, v17, s7
; %bb.23:                               ;   in Loop: Header=BB128_5 Depth=1
	s_andn2_saveexec_b64 s[26:27], s[26:27]
; %bb.24:                               ;   in Loop: Header=BB128_5 Depth=1
	v_or_b32_e32 v17, 0x10000, v90
	v_cmp_eq_u32_sdwa vcc, v90, v21 src0_sel:WORD_0 src1_sel:DWORD
	s_nop 1
	v_cndmask_b32_e32 v17, v17, v90, vcc
; %bb.25:                               ;   in Loop: Header=BB128_5 Depth=1
	s_or_b64 exec, exec, s[26:27]
	v_and_b32_e32 v20, 0x7f800000, v91
	v_cmp_ne_u32_e32 vcc, s6, v20
                                        ; implicit-def: $vgpr20
	s_and_saveexec_b64 s[26:27], vcc
	s_xor_b64 s[26:27], exec, s[26:27]
; %bb.26:                               ;   in Loop: Header=BB128_5 Depth=1
	v_bfe_u32 v20, v91, 16, 1
	v_add3_u32 v20, v91, v20, s7
                                        ; implicit-def: $vgpr90_vgpr91
; %bb.27:                               ;   in Loop: Header=BB128_5 Depth=1
	s_andn2_saveexec_b64 s[26:27], s[26:27]
; %bb.28:                               ;   in Loop: Header=BB128_5 Depth=1
	v_or_b32_e32 v20, 0x10000, v91
	v_cmp_eq_u32_sdwa vcc, v91, v21 src0_sel:WORD_0 src1_sel:DWORD
	s_nop 1
	v_cndmask_b32_e32 v20, v20, v91, vcc
; %bb.29:                               ;   in Loop: Header=BB128_5 Depth=1
	s_or_b64 exec, exec, s[26:27]
	v_add_u32_e32 v90, s19, v96
	v_ashrrev_i32_e32 v91, 31, v90
	v_lshl_add_u64 v[90:91], v[90:91], 3, s[0:1]
	global_load_dwordx2 v[90:91], v[90:91], off
	v_perm_b32 v17, v20, v17, s2
	ds_write_b32 v97, v17 offset:528
	;; [unrolled: 42-line block ×10, first 2 shown]
	s_waitcnt vmcnt(0)
	v_and_b32_e32 v17, 0x7f800000, v90
	v_cmp_ne_u32_e32 vcc, s6, v17
                                        ; implicit-def: $vgpr17
	s_and_saveexec_b64 s[26:27], vcc
	s_xor_b64 s[26:27], exec, s[26:27]
; %bb.94:                               ;   in Loop: Header=BB128_5 Depth=1
	v_bfe_u32 v17, v90, 16, 1
	v_add3_u32 v17, v90, v17, s7
; %bb.95:                               ;   in Loop: Header=BB128_5 Depth=1
	s_andn2_saveexec_b64 s[26:27], s[26:27]
; %bb.96:                               ;   in Loop: Header=BB128_5 Depth=1
	v_or_b32_e32 v17, 0x10000, v90
	v_cmp_eq_u32_sdwa vcc, v90, v21 src0_sel:WORD_0 src1_sel:DWORD
	s_nop 1
	v_cndmask_b32_e32 v17, v17, v90, vcc
; %bb.97:                               ;   in Loop: Header=BB128_5 Depth=1
	s_or_b64 exec, exec, s[26:27]
	v_and_b32_e32 v20, 0x7f800000, v91
	v_cmp_ne_u32_e32 vcc, s6, v20
                                        ; implicit-def: $vgpr20
	s_and_saveexec_b64 s[26:27], vcc
	s_xor_b64 s[26:27], exec, s[26:27]
; %bb.98:                               ;   in Loop: Header=BB128_5 Depth=1
	v_bfe_u32 v20, v91, 16, 1
	v_add3_u32 v20, v91, v20, s7
                                        ; implicit-def: $vgpr90_vgpr91
; %bb.99:                               ;   in Loop: Header=BB128_5 Depth=1
	s_andn2_saveexec_b64 s[26:27], s[26:27]
; %bb.100:                              ;   in Loop: Header=BB128_5 Depth=1
	v_or_b32_e32 v20, 0x10000, v91
	v_cmp_eq_u32_sdwa vcc, v91, v21 src0_sel:WORD_0 src1_sel:DWORD
	s_nop 1
	v_cndmask_b32_e32 v20, v20, v91, vcc
; %bb.101:                              ;   in Loop: Header=BB128_5 Depth=1
	s_or_b64 exec, exec, s[26:27]
	v_add_u32_e32 v90, s37, v96
	v_ashrrev_i32_e32 v91, 31, v90
	v_lshl_add_u64 v[90:91], v[90:91], 3, s[0:1]
	global_load_dwordx2 v[90:91], v[90:91], off
	v_perm_b32 v17, v20, v17, s2
	ds_write_b32 v97, v17 offset:2904
	s_waitcnt vmcnt(0)
	v_and_b32_e32 v17, 0x7f800000, v90
	v_cmp_ne_u32_e32 vcc, s6, v17
                                        ; implicit-def: $vgpr17
	s_and_saveexec_b64 s[26:27], vcc
	s_xor_b64 s[26:27], exec, s[26:27]
; %bb.102:                              ;   in Loop: Header=BB128_5 Depth=1
	v_bfe_u32 v17, v90, 16, 1
	v_add3_u32 v17, v90, v17, s7
; %bb.103:                              ;   in Loop: Header=BB128_5 Depth=1
	s_andn2_saveexec_b64 s[26:27], s[26:27]
; %bb.104:                              ;   in Loop: Header=BB128_5 Depth=1
	v_or_b32_e32 v17, 0x10000, v90
	v_cmp_eq_u32_sdwa vcc, v90, v21 src0_sel:WORD_0 src1_sel:DWORD
	s_nop 1
	v_cndmask_b32_e32 v17, v17, v90, vcc
; %bb.105:                              ;   in Loop: Header=BB128_5 Depth=1
	s_or_b64 exec, exec, s[26:27]
	v_and_b32_e32 v20, 0x7f800000, v91
	v_cmp_ne_u32_e32 vcc, s6, v20
                                        ; implicit-def: $vgpr20
	s_and_saveexec_b64 s[26:27], vcc
	s_xor_b64 s[26:27], exec, s[26:27]
; %bb.106:                              ;   in Loop: Header=BB128_5 Depth=1
	v_bfe_u32 v20, v91, 16, 1
	v_add3_u32 v20, v91, v20, s7
                                        ; implicit-def: $vgpr90_vgpr91
; %bb.107:                              ;   in Loop: Header=BB128_5 Depth=1
	s_andn2_saveexec_b64 s[26:27], s[26:27]
; %bb.108:                              ;   in Loop: Header=BB128_5 Depth=1
	v_or_b32_e32 v20, 0x10000, v91
	v_cmp_eq_u32_sdwa vcc, v91, v21 src0_sel:WORD_0 src1_sel:DWORD
	s_nop 1
	v_cndmask_b32_e32 v20, v20, v91, vcc
; %bb.109:                              ;   in Loop: Header=BB128_5 Depth=1
	s_or_b64 exec, exec, s[26:27]
	v_add_u32_e32 v90, s38, v96
	v_ashrrev_i32_e32 v91, 31, v90
	v_lshl_add_u64 v[90:91], v[90:91], 3, s[0:1]
	global_load_dwordx2 v[90:91], v[90:91], off
	v_perm_b32 v17, v20, v17, s2
	ds_write_b32 v97, v17 offset:3168
	s_waitcnt vmcnt(0)
	v_and_b32_e32 v17, 0x7f800000, v90
	v_cmp_ne_u32_e32 vcc, s6, v17
                                        ; implicit-def: $vgpr17
	s_and_saveexec_b64 s[26:27], vcc
	s_xor_b64 s[26:27], exec, s[26:27]
; %bb.110:                              ;   in Loop: Header=BB128_5 Depth=1
	v_bfe_u32 v17, v90, 16, 1
	v_add3_u32 v17, v90, v17, s7
; %bb.111:                              ;   in Loop: Header=BB128_5 Depth=1
	s_andn2_saveexec_b64 s[26:27], s[26:27]
; %bb.112:                              ;   in Loop: Header=BB128_5 Depth=1
	v_or_b32_e32 v17, 0x10000, v90
	v_cmp_eq_u32_sdwa vcc, v90, v21 src0_sel:WORD_0 src1_sel:DWORD
	s_nop 1
	v_cndmask_b32_e32 v17, v17, v90, vcc
; %bb.113:                              ;   in Loop: Header=BB128_5 Depth=1
	s_or_b64 exec, exec, s[26:27]
	v_and_b32_e32 v20, 0x7f800000, v91
	v_cmp_ne_u32_e32 vcc, s6, v20
                                        ; implicit-def: $vgpr20
	s_and_saveexec_b64 s[26:27], vcc
	s_xor_b64 s[26:27], exec, s[26:27]
; %bb.114:                              ;   in Loop: Header=BB128_5 Depth=1
	v_bfe_u32 v20, v91, 16, 1
	v_add3_u32 v20, v91, v20, s7
                                        ; implicit-def: $vgpr90_vgpr91
; %bb.115:                              ;   in Loop: Header=BB128_5 Depth=1
	s_andn2_saveexec_b64 s[26:27], s[26:27]
	s_cbranch_execz .LBB128_4
; %bb.116:                              ;   in Loop: Header=BB128_5 Depth=1
	v_or_b32_e32 v20, 0x10000, v91
	v_cmp_eq_u32_sdwa vcc, v91, v21 src0_sel:WORD_0 src1_sel:DWORD
	s_nop 1
	v_cndmask_b32_e32 v20, v20, v91, vcc
	s_branch .LBB128_4
.LBB128_117:
	s_or_b64 exec, exec, s[16:17]
	v_readlane_b32 s6, v104, 0
	v_readlane_b32 s27, v104, 2
	;; [unrolled: 1-line block ×3, first 2 shown]
.LBB128_118:
	s_or_b64 exec, exec, s[24:25]
	v_mul_u32_u24_e32 v0, 0x208, v95
	v_lshlrev_b32_e32 v1, 2, v94
	v_or_b32_e32 v2, 12, v92
	v_add3_u32 v0, 0, v0, v1
	v_and_b32_e32 v1, 0x3f0, v92
	v_and_b32_e32 v2, 0x3fc, v2
	v_add_u32_e32 v1, v0, v1
	v_add_u32_e32 v0, v0, v2
	s_waitcnt lgkmcnt(0)
	s_barrier
	ds_write2_b32 v1, a12, a13 offset1:1
	ds_write_b32 v1, a14 offset:8
	ds_write_b32 v0, a15
	ds_write2_b32 v1, a8, a9 offset0:16 offset1:17
	ds_write_b32 v1, a10 offset:72
	ds_write_b32 v0, a11 offset:64
	ds_write2_b32 v1, a4, a5 offset0:32 offset1:33
	ds_write_b32 v1, a6 offset:136
	ds_write_b32 v0, a7 offset:128
	;; [unrolled: 3-line block ×3, first 2 shown]
	v_mul_u32_u24_e32 v0, 0x208, v93
	v_add3_u32 v6, 0, v16, v0
	s_waitcnt lgkmcnt(0)
	s_barrier
	ds_read2st64_b32 v[0:1], v6 offset1:1
	s_mul_hi_i32 s1, s15, s4
	s_mul_i32 s0, s15, s4
	s_lshl_b64 s[0:1], s[0:1], 2
	s_add_u32 s2, s6, s0
	s_waitcnt lgkmcnt(0)
	v_add_f32_e32 v0, 0, v0
	v_add_f32_e32 v7, v0, v1
	v_add_u32_e32 v0, 16, v6
	s_mul_i32 s0, s3, s11
	ds_read2st64_b32 v[0:1], v0 offset0:4 offset1:5
	s_addc_u32 s4, s7, s1
	s_ashr_i32 s1, s0, 31
	s_lshl_b64 s[0:1], s[0:1], 2
	s_add_u32 s0, s2, s0
	v_mul_lo_u32 v2, v93, s18
	s_addc_u32 s1, s4, s1
	v_add3_u32 v2, s27, v92, v2
	v_mov_b32_e32 v3, 0
	v_lshl_add_u64 v[4:5], v[2:3], 2, s[0:1]
	s_waitcnt lgkmcnt(0)
	v_add_f32_e32 v0, 0, v0
	global_store_dword v[4:5], v7, off
	v_add_f32_e32 v7, v0, v1
	v_add_u32_e32 v0, 32, v6
	ds_read2st64_b32 v[0:1], v0 offset0:8 offset1:9
	s_lshl_b32 s2, s18, 1
	v_add_u32_e32 v2, s2, v2
	v_lshl_add_u64 v[4:5], v[2:3], 2, s[0:1]
	v_add_u32_e32 v2, s2, v2
	s_waitcnt lgkmcnt(0)
	v_add_f32_e32 v0, 0, v0
	global_store_dword v[4:5], v7, off
	v_add_u32_e32 v4, 48, v6
	v_add_f32_e32 v7, v0, v1
	v_lshl_add_u64 v[0:1], v[2:3], 2, s[0:1]
	ds_read2st64_b32 v[4:5], v4 offset0:12 offset1:13
	global_store_dword v[0:1], v7, off
	v_add_u32_e32 v0, 64, v6
	ds_read2st64_b32 v[0:1], v0 offset0:16 offset1:17
	v_add_u32_e32 v2, s2, v2
	s_waitcnt lgkmcnt(1)
	v_add_f32_e32 v4, 0, v4
	v_add_f32_e32 v7, v4, v5
	v_lshl_add_u64 v[4:5], v[2:3], 2, s[0:1]
	s_waitcnt lgkmcnt(0)
	v_add_f32_e32 v0, 0, v0
	v_add_u32_e32 v2, s2, v2
	global_store_dword v[4:5], v7, off
	v_add_u32_e32 v4, 0x50, v6
	v_add_f32_e32 v7, v0, v1
	v_lshl_add_u64 v[0:1], v[2:3], 2, s[0:1]
	ds_read2st64_b32 v[4:5], v4 offset0:20 offset1:21
	global_store_dword v[0:1], v7, off
	v_add_u32_e32 v0, 0x60, v6
	ds_read2st64_b32 v[0:1], v0 offset0:24 offset1:25
	v_add_u32_e32 v2, s2, v2
	s_waitcnt lgkmcnt(1)
	v_add_f32_e32 v4, 0, v4
	v_add_f32_e32 v6, v4, v5
	v_lshl_add_u64 v[4:5], v[2:3], 2, s[0:1]
	s_waitcnt lgkmcnt(0)
	v_add_f32_e32 v0, 0, v0
	v_add_u32_e32 v2, s2, v2
	global_store_dword v[4:5], v6, off
	v_add_f32_e32 v4, v0, v1
	v_lshl_add_u64 v[0:1], v[2:3], 2, s[0:1]
	global_store_dword v[0:1], v4, off
	s_endpgm
	.section	.rodata,"a",@progbits
	.p2align	6, 0x0
	.amdhsa_kernel _ZL9mul_mat_fI15__hip_bfloat162Li64ELi14ELi2ELb0EEvPKT_PKfPKiPfiiiiiiiiiiiiiiii
		.amdhsa_group_segment_fixed_size 0
		.amdhsa_private_segment_fixed_size 0
		.amdhsa_kernarg_size 96
		.amdhsa_user_sgpr_count 2
		.amdhsa_user_sgpr_dispatch_ptr 0
		.amdhsa_user_sgpr_queue_ptr 0
		.amdhsa_user_sgpr_kernarg_segment_ptr 1
		.amdhsa_user_sgpr_dispatch_id 0
		.amdhsa_user_sgpr_kernarg_preload_length 0
		.amdhsa_user_sgpr_kernarg_preload_offset 0
		.amdhsa_user_sgpr_private_segment_size 0
		.amdhsa_uses_dynamic_stack 0
		.amdhsa_enable_private_segment 0
		.amdhsa_system_sgpr_workgroup_id_x 1
		.amdhsa_system_sgpr_workgroup_id_y 1
		.amdhsa_system_sgpr_workgroup_id_z 1
		.amdhsa_system_sgpr_workgroup_info 0
		.amdhsa_system_vgpr_workitem_id 1
		.amdhsa_next_free_vgpr 132
		.amdhsa_next_free_sgpr 100
		.amdhsa_accum_offset 108
		.amdhsa_reserve_vcc 1
		.amdhsa_float_round_mode_32 0
		.amdhsa_float_round_mode_16_64 0
		.amdhsa_float_denorm_mode_32 3
		.amdhsa_float_denorm_mode_16_64 3
		.amdhsa_dx10_clamp 1
		.amdhsa_ieee_mode 1
		.amdhsa_fp16_overflow 0
		.amdhsa_tg_split 0
		.amdhsa_exception_fp_ieee_invalid_op 0
		.amdhsa_exception_fp_denorm_src 0
		.amdhsa_exception_fp_ieee_div_zero 0
		.amdhsa_exception_fp_ieee_overflow 0
		.amdhsa_exception_fp_ieee_underflow 0
		.amdhsa_exception_fp_ieee_inexact 0
		.amdhsa_exception_int_div_zero 0
	.end_amdhsa_kernel
	.section	.text._ZL9mul_mat_fI15__hip_bfloat162Li64ELi14ELi2ELb0EEvPKT_PKfPKiPfiiiiiiiiiiiiiiii,"axG",@progbits,_ZL9mul_mat_fI15__hip_bfloat162Li64ELi14ELi2ELb0EEvPKT_PKfPKiPfiiiiiiiiiiiiiiii,comdat
.Lfunc_end128:
	.size	_ZL9mul_mat_fI15__hip_bfloat162Li64ELi14ELi2ELb0EEvPKT_PKfPKiPfiiiiiiiiiiiiiiii, .Lfunc_end128-_ZL9mul_mat_fI15__hip_bfloat162Li64ELi14ELi2ELb0EEvPKT_PKfPKiPfiiiiiiiiiiiiiiii
                                        ; -- End function
	.section	.AMDGPU.csdata,"",@progbits
; Kernel info:
; codeLenInByte = 7500
; NumSgprs: 106
; NumVgprs: 105
; NumAgprs: 24
; TotalNumVgprs: 132
; ScratchSize: 0
; MemoryBound: 0
; FloatMode: 240
; IeeeMode: 1
; LDSByteSize: 0 bytes/workgroup (compile time only)
; SGPRBlocks: 13
; VGPRBlocks: 16
; NumSGPRsForWavesPerEU: 106
; NumVGPRsForWavesPerEU: 132
; AccumOffset: 108
; Occupancy: 3
; WaveLimiterHint : 0
; COMPUTE_PGM_RSRC2:SCRATCH_EN: 0
; COMPUTE_PGM_RSRC2:USER_SGPR: 2
; COMPUTE_PGM_RSRC2:TRAP_HANDLER: 0
; COMPUTE_PGM_RSRC2:TGID_X_EN: 1
; COMPUTE_PGM_RSRC2:TGID_Y_EN: 1
; COMPUTE_PGM_RSRC2:TGID_Z_EN: 1
; COMPUTE_PGM_RSRC2:TIDIG_COMP_CNT: 1
; COMPUTE_PGM_RSRC3_GFX90A:ACCUM_OFFSET: 26
; COMPUTE_PGM_RSRC3_GFX90A:TG_SPLIT: 0
	.section	.text._ZL13mul_mat_f_idsI15__hip_bfloat162Li64ELi14ELi3EEvPKT_PKfPKiS7_S7_Pfiiiiiiiiiiiiii15HIP_vector_typeIjLj3EESA_,"axG",@progbits,_ZL13mul_mat_f_idsI15__hip_bfloat162Li64ELi14ELi3EEvPKT_PKfPKiS7_S7_Pfiiiiiiiiiiiiii15HIP_vector_typeIjLj3EESA_,comdat
	.globl	_ZL13mul_mat_f_idsI15__hip_bfloat162Li64ELi14ELi3EEvPKT_PKfPKiS7_S7_Pfiiiiiiiiiiiiii15HIP_vector_typeIjLj3EESA_ ; -- Begin function _ZL13mul_mat_f_idsI15__hip_bfloat162Li64ELi14ELi3EEvPKT_PKfPKiS7_S7_Pfiiiiiiiiiiiiii15HIP_vector_typeIjLj3EESA_
	.p2align	8
	.type	_ZL13mul_mat_f_idsI15__hip_bfloat162Li64ELi14ELi3EEvPKT_PKfPKiS7_S7_Pfiiiiiiiiiiiiii15HIP_vector_typeIjLj3EESA_,@function
_ZL13mul_mat_f_idsI15__hip_bfloat162Li64ELi14ELi3EEvPKT_PKfPKiS7_S7_Pfiiiiiiiiiiiiii15HIP_vector_typeIjLj3EESA_: ; @_ZL13mul_mat_f_idsI15__hip_bfloat162Li64ELi14ELi3EEvPKT_PKfPKiS7_S7_Pfiiiiiiiiiiiiii15HIP_vector_typeIjLj3EESA_
; %bb.0:
	s_load_dwordx2 s[6:7], s[0:1], 0x20
	s_mov_b32 s34, s3
	s_ashr_i32 s35, s3, 31
	s_lshl_b64 s[8:9], s[34:35], 2
	s_waitcnt lgkmcnt(0)
	s_add_u32 s6, s6, s8
	s_addc_u32 s7, s7, s9
	s_load_dwordx2 s[26:27], s[6:7], 0x0
	s_waitcnt lgkmcnt(0)
	s_sub_i32 s33, s27, s26
	s_add_i32 s3, s33, 13
	s_mul_hi_i32 s5, s3, 0x92492493
	s_add_i32 s5, s5, s3
	s_lshr_b32 s3, s5, 31
	s_ashr_i32 s5, s5, 3
	s_add_i32 s5, s5, s3
	s_cmp_ge_i32 s4, s5
	s_cbranch_scc1 .LBB129_177
; %bb.1:
	v_bfe_u32 v16, v0, 10, 10
	v_lshlrev_b32_e32 v114, 6, v16
	v_and_b32_e32 v17, 0x3ff, v0
	s_load_dwordx4 s[12:15], s[0:1], 0x30
	s_load_dwordx2 s[20:21], s[0:1], 0x40
	s_load_dwordx4 s[8:11], s[0:1], 0x4c
	s_load_dwordx4 s[16:19], s[0:1], 0x68
	s_load_dwordx2 s[24:25], s[0:1], 0x78
	v_add_u32_e32 v116, v114, v17
	s_ashr_i32 s27, s26, 31
	s_waitcnt lgkmcnt(0)
	v_cmp_le_i32_e32 vcc, s12, v116
	v_and_b32_e32 v115, 15, v17
                                        ; implicit-def: $sgpr3
	s_and_saveexec_b64 s[6:7], vcc
	s_xor_b64 s[6:7], exec, s[6:7]
; %bb.2:
	v_and_b32_e32 v115, 15, v17
	s_mov_b32 s3, 0
                                        ; implicit-def: $vgpr116
; %bb.3:
	s_or_saveexec_b64 s[22:23], s[6:7]
	s_load_dwordx2 s[6:7], s[0:1], 0x18
                                        ; implicit-def: $vgpr119 : SGPR spill to VGPR lane
	s_lshl_b32 s11, s2, 6
	s_mul_i32 s2, s4, 14
	v_accvgpr_write_b32 a0, s3
	v_accvgpr_write_b32 a1, s3
	s_waitcnt lgkmcnt(0)
	v_writelane_b32 v119, s6, 0
	v_accvgpr_write_b32 a2, s3
	v_accvgpr_write_b32 a3, s3
	v_writelane_b32 v119, s7, 1
	s_load_dwordx2 s[6:7], s[0:1], 0x28
	v_accvgpr_write_b32 a4, s3
	v_accvgpr_write_b32 a5, s3
	v_accvgpr_write_b32 a6, s3
	v_accvgpr_write_b32 a7, s3
	s_waitcnt lgkmcnt(0)
	v_writelane_b32 v119, s6, 2
	v_accvgpr_write_b32 a8, s3
	v_accvgpr_write_b32 a9, s3
	v_writelane_b32 v119, s7, 3
	v_accvgpr_write_b32 a10, s3
	v_accvgpr_write_b32 a11, s3
	;; [unrolled: 1-line block ×6, first 2 shown]
	v_writelane_b32 v119, s22, 4
	s_nop 1
	v_writelane_b32 v119, s23, 5
	s_xor_b64 exec, exec, s[22:23]
	s_cbranch_execz .LBB129_161
; %bb.4:
	v_writelane_b32 v119, s24, 6
	s_load_dwordx4 s[4:7], s[0:1], 0x0
	s_load_dwordx2 s[22:23], s[0:1], 0x10
	v_writelane_b32 v119, s25, 7
	s_mul_i32 s0, s34, s8
	s_mul_i32 s24, s11, s15
	s_ashr_i32 s1, s0, 31
	s_ashr_i32 s25, s24, 31
	s_lshl_b64 s[24:25], s[24:25], 2
	s_lshl_b64 s[0:1], s[0:1], 2
	s_add_u32 s24, s0, s24
	v_writelane_b32 v119, s11, 8
	s_addc_u32 s25, s1, s25
	s_waitcnt lgkmcnt(0)
	s_add_u32 s0, s24, s4
	v_writelane_b32 v119, s26, 9
	s_addc_u32 s1, s25, s5
	s_movk_i32 s3, 0x1080
	v_writelane_b32 v119, s27, 10
	s_lshl_b64 s[26:27], s[26:27], 2
	s_add_u32 s8, s22, s26
	s_addc_u32 s11, s23, s27
	s_cmp_lt_i32 s2, s33
	v_mad_u32_u24 v1, v16, s3, 0
	s_cselect_b64 s[34:35], -1, 0
	s_ashr_i32 s3, s2, 31
	s_lshl_b64 s[22:23], s[2:3], 2
	s_add_u32 s36, s8, s22
	s_addc_u32 s37, s11, s23
	s_or_b32 s3, s2, 1
	s_cmp_lt_i32 s3, s33
	v_lshrrev_b32_e32 v3, 1, v17
	s_cselect_b64 s[38:39], -1, 0
	s_add_i32 s3, s2, 2
	v_mov_b32_e32 v19, 0
	v_lshlrev_b32_e32 v0, 2, v17
	v_mul_u32_u24_e32 v2, 0x108, v115
	v_and_b32_e32 v3, 0x1f8, v3
	s_cmp_lt_i32 s3, s33
	v_lshlrev_b32_e32 v18, 8, v16
	v_add_u32_e32 v117, v1, v0
	v_add3_u32 v118, v1, v2, v3
	s_cselect_b64 s[40:41], -1, 0
	s_add_i32 s3, s2, 3
	v_lshl_add_u64 v[2:3], s[24:25], 0, v[18:19]
	v_mov_b32_e32 v1, v19
	s_cmp_lt_i32 s3, s33
	v_lshl_add_u64 v[0:1], v[2:3], 0, v[0:1]
	s_cselect_b64 s[42:43], -1, 0
	s_add_i32 s3, s2, 4
	v_lshl_add_u64 v[20:21], s[4:5], 0, v[0:1]
	s_mul_i32 s4, s15, 3
	s_cmp_lt_i32 s3, s33
	v_writelane_b32 v119, s4, 11
	s_mul_i32 s4, s15, 5
	s_cselect_b64 s[44:45], -1, 0
	s_add_i32 s3, s2, 5
	v_writelane_b32 v119, s4, 12
	s_mul_i32 s4, s15, 6
	s_cmp_lt_i32 s3, s33
	v_writelane_b32 v119, s4, 13
	s_mul_i32 s4, s15, 7
	s_cselect_b64 s[46:47], -1, 0
	s_add_i32 s3, s2, 6
	v_writelane_b32 v119, s4, 14
	;; [unrolled: 7-line block ×9, first 2 shown]
	s_mul_i32 s4, s15, 24
	s_cmp_lt_i32 s3, s33
	v_writelane_b32 v119, s4, 29
	s_mul_i32 s4, s15, 25
	s_cselect_b64 s[62:63], -1, 0
	s_ashr_i32 s23, s15, 31
	s_mov_b32 s22, s15
	v_writelane_b32 v119, s4, 30
	s_mul_i32 s4, s15, 26
	s_lshl_b64 s[64:65], s[22:23], 2
	s_lshl_b32 s3, s15, 1
	s_lshl_b32 s70, s15, 2
	;; [unrolled: 1-line block ×4, first 2 shown]
	v_writelane_b32 v119, s4, 31
	s_mul_i32 s93, s15, 27
	v_accvgpr_write_b32 a15, 0
	v_accvgpr_write_b32 a14, 0
	;; [unrolled: 1-line block ×16, first 2 shown]
	s_mul_i32 s94, s15, 28
	s_mul_i32 s95, s15, 29
	;; [unrolled: 1-line block ×4, first 2 shown]
	s_lshl_b32 s98, s15, 5
	s_mul_i32 s99, s15, 33
	s_mul_i32 s24, s15, 34
	;; [unrolled: 1-line block ×31, first 2 shown]
	s_mov_b32 s90, 0x7f800000
	s_movk_i32 s91, 0x7fff
	s_mov_b32 s92, 0x7060302
	s_mov_b64 s[4:5], 0
	s_mov_b64 s[66:67], 0x300
	s_branch .LBB129_6
.LBB129_5:                              ;   in Loop: Header=BB129_6 Depth=1
	s_or_b64 exec, exec, s[68:69]
	v_perm_b32 v18, v86, v18, s92
	v_add_u32_e32 v86, 0xc00, v117
	ds_write2_b32 v86, v18, v19 offset0:90 offset1:156
	ds_write_b32 v117, v19 offset:3960
	ds_read2_b64 v[86:89], v118 offset1:4
	v_accvgpr_write_b32 a0, v12
	v_accvgpr_write_b32 a4, v8
	;; [unrolled: 1-line block ×16, first 2 shown]
	s_waitcnt lgkmcnt(0)
	v_mfma_f32_16x16x16_bf16 a[0:3], v[28:29], v[86:87], a[0:3]
	ds_read2_b64 v[0:3], v118 offset0:8 offset1:12
	v_add_u32_e32 v116, 0xc0, v116
	v_cmp_le_i32_e32 vcc, s12, v116
	v_mfma_f32_16x16x16_bf16 a[4:7], v[54:55], v[86:87], a[4:7]
	v_lshl_add_u64 v[20:21], v[20:21], 0, s[66:67]
	s_or_b64 s[4:5], vcc, s[4:5]
	v_mfma_f32_16x16x16_bf16 a[8:11], v[68:69], v[86:87], a[8:11]
	v_mfma_f32_16x16x16_bf16 a[12:15], v[84:85], v[86:87], a[12:15]
	;; [unrolled: 1-line block ×6, first 2 shown]
	s_waitcnt lgkmcnt(0)
	v_mfma_f32_16x16x16_bf16 a[0:3], v[24:25], v[0:1], a[0:3]
	v_mfma_f32_16x16x16_bf16 a[4:7], v[48:49], v[0:1], a[4:7]
	;; [unrolled: 1-line block ×8, first 2 shown]
	ds_read2_b64 v[0:3], v118 offset0:16 offset1:20
	s_waitcnt lgkmcnt(0)
	v_mfma_f32_16x16x16_bf16 a[0:3], v[36:37], v[0:1], a[0:3]
	v_mfma_f32_16x16x16_bf16 a[4:7], v[44:45], v[0:1], a[4:7]
	;; [unrolled: 1-line block ×8, first 2 shown]
	ds_read2_b64 v[0:3], v118 offset0:24 offset1:28
	s_waitcnt lgkmcnt(0)
	v_mfma_f32_16x16x16_bf16 a[0:3], v[32:33], v[0:1], a[0:3]
	v_mfma_f32_16x16x16_bf16 a[4:7], v[40:41], v[0:1], a[4:7]
	;; [unrolled: 1-line block ×8, first 2 shown]
	s_andn2_b64 exec, exec, s[4:5]
	s_cbranch_execz .LBB129_160
.LBB129_6:                              ; =>This Inner Loop Header: Depth=1
	v_readlane_b32 s68, v119, 11
	v_lshl_add_u64 v[0:1], v[20:21], 0, s[64:65]
	global_load_dword v18, v[20:21], off
	global_load_dword v22, v[0:1], off
	v_add_u32_e32 v2, s68, v116
	v_readlane_b32 s68, v119, 12
	v_add_u32_e32 v0, s3, v116
	v_add_u32_e32 v12, s74, v116
	;; [unrolled: 1-line block ×3, first 2 shown]
	v_readlane_b32 s68, v119, 13
	v_ashrrev_i32_e32 v1, 31, v0
	v_add_u32_e32 v4, s70, v116
	v_add_u32_e32 v8, s68, v116
	v_readlane_b32 s68, v119, 14
	v_ashrrev_i32_e32 v13, 31, v12
	v_lshl_add_u64 v[0:1], v[0:1], 2, s[0:1]
	v_add_u32_e32 v10, s68, v116
	v_readlane_b32 s68, v119, 15
	v_ashrrev_i32_e32 v3, 31, v2
	v_ashrrev_i32_e32 v5, 31, v4
	v_add_u32_e32 v14, s68, v116
	v_ashrrev_i32_e32 v7, 31, v6
	v_ashrrev_i32_e32 v9, 31, v8
	;; [unrolled: 1-line block ×3, first 2 shown]
	v_lshl_add_u64 v[12:13], v[12:13], 2, s[0:1]
	v_ashrrev_i32_e32 v15, 31, v14
	v_readlane_b32 s68, v119, 16
	v_lshl_add_u64 v[2:3], v[2:3], 2, s[0:1]
	v_lshl_add_u64 v[4:5], v[4:5], 2, s[0:1]
	;; [unrolled: 1-line block ×6, first 2 shown]
	global_load_dword v23, v[0:1], off
	global_load_dword v24, v[2:3], off
	;; [unrolled: 1-line block ×6, first 2 shown]
	s_nop 0
	global_load_dword v12, v[12:13], off
	s_nop 0
	global_load_dword v13, v[14:15], off
	v_add_u32_e32 v0, s68, v116
	v_readlane_b32 s68, v119, 17
	v_ashrrev_i32_e32 v1, 31, v0
	v_lshl_add_u64 v[0:1], v[0:1], 2, s[0:1]
	v_add_u32_e32 v2, s68, v116
	v_readlane_b32 s68, v119, 18
	v_ashrrev_i32_e32 v3, 31, v2
	v_lshl_add_u64 v[2:3], v[2:3], 2, s[0:1]
	;; [unrolled: 4-line block ×5, first 2 shown]
	v_add_u32_e32 v10, s68, v116
	v_ashrrev_i32_e32 v11, 31, v10
	v_lshl_add_u64 v[10:11], v[10:11], 2, s[0:1]
	global_load_dword v14, v[0:1], off
	global_load_dword v15, v[2:3], off
	s_nop 0
	global_load_dword v4, v[4:5], off
	s_nop 0
	;; [unrolled: 2-line block ×3, first 2 shown]
	global_load_dword v6, v[8:9], off
	global_load_dword v7, v[10:11], off
	v_add_u32_e32 v0, s82, v116
	v_readlane_b32 s68, v119, 22
	v_ashrrev_i32_e32 v1, 31, v0
	v_lshl_add_u64 v[0:1], v[0:1], 2, s[0:1]
	v_add_u32_e32 v2, s68, v116
	v_ashrrev_i32_e32 v3, 31, v2
	v_readlane_b32 s68, v119, 23
	v_lshl_add_u64 v[2:3], v[2:3], 2, s[0:1]
	global_load_dword v38, v[0:1], off
	global_load_dword v39, v[2:3], off
	v_add_u32_e32 v0, s68, v116
	v_readlane_b32 s68, v119, 24
	v_ashrrev_i32_e32 v1, 31, v0
	v_lshl_add_u64 v[0:1], v[0:1], 2, s[0:1]
	v_add_u32_e32 v2, s68, v116
	v_readlane_b32 s68, v119, 25
	v_ashrrev_i32_e32 v3, 31, v2
	v_lshl_add_u64 v[2:3], v[2:3], 2, s[0:1]
	s_andn2_b64 vcc, exec, s[34:35]
	v_mov_b32_e32 v112, 0
	v_mov_b32_e32 v113, 0
	s_waitcnt vmcnt(17)
	ds_write_b32 v117, v18
	s_waitcnt vmcnt(16)
	ds_write_b32 v117, v22 offset:264
	s_waitcnt vmcnt(15)
	ds_write_b32 v117, v23 offset:528
	;; [unrolled: 2-line block ×15, first 2 shown]
	v_add_u32_e32 v4, s68, v116
	v_readlane_b32 s68, v119, 26
	v_ashrrev_i32_e32 v5, 31, v4
	ds_read_b64 v[28:29], v118
	ds_read_b64 v[26:27], v118 offset:32
	ds_read_b64 v[24:25], v118 offset:64
	;; [unrolled: 1-line block ×3, first 2 shown]
	v_add_u32_e32 v6, s68, v116
	v_readlane_b32 s68, v119, 27
	v_ashrrev_i32_e32 v7, 31, v6
	v_lshl_add_u64 v[4:5], v[4:5], 2, s[0:1]
	v_add_u32_e32 v8, s68, v116
	v_readlane_b32 s68, v119, 28
	v_ashrrev_i32_e32 v9, 31, v8
	v_lshl_add_u64 v[6:7], v[6:7], 2, s[0:1]
	v_add_u32_e32 v10, s68, v116
	v_readlane_b32 s68, v119, 29
	v_ashrrev_i32_e32 v11, 31, v10
	v_lshl_add_u64 v[8:9], v[8:9], 2, s[0:1]
	v_add_u32_e32 v12, s68, v116
	v_readlane_b32 s68, v119, 30
	v_ashrrev_i32_e32 v13, 31, v12
	v_lshl_add_u64 v[10:11], v[10:11], 2, s[0:1]
	v_add_u32_e32 v14, s68, v116
	v_ashrrev_i32_e32 v15, 31, v14
	v_readlane_b32 s68, v119, 31
	v_lshl_add_u64 v[12:13], v[12:13], 2, s[0:1]
	v_lshl_add_u64 v[14:15], v[14:15], 2, s[0:1]
	global_load_dword v18, v[0:1], off
	global_load_dword v40, v[2:3], off
	global_load_dword v41, v[4:5], off
	global_load_dword v42, v[6:7], off
	global_load_dword v43, v[8:9], off
	global_load_dword v44, v[10:11], off
	global_load_dword v45, v[12:13], off
	global_load_dword v46, v[14:15], off
	v_add_u32_e32 v0, s68, v116
	v_ashrrev_i32_e32 v1, 31, v0
	v_add_u32_e32 v2, s93, v116
	v_add_u32_e32 v4, s94, v116
	v_add_u32_e32 v6, s95, v116
	v_add_u32_e32 v8, s96, v116
	v_add_u32_e32 v10, s97, v116
	v_add_u32_e32 v12, s98, v116
	v_add_u32_e32 v14, s99, v116
	v_lshl_add_u64 v[0:1], v[0:1], 2, s[0:1]
	v_ashrrev_i32_e32 v3, 31, v2
	v_ashrrev_i32_e32 v5, 31, v4
	v_ashrrev_i32_e32 v7, 31, v6
	v_ashrrev_i32_e32 v9, 31, v8
	v_ashrrev_i32_e32 v11, 31, v10
	v_ashrrev_i32_e32 v13, 31, v12
	v_ashrrev_i32_e32 v15, 31, v14
	v_lshl_add_u64 v[2:3], v[2:3], 2, s[0:1]
	v_lshl_add_u64 v[4:5], v[4:5], 2, s[0:1]
	v_lshl_add_u64 v[6:7], v[6:7], 2, s[0:1]
	v_lshl_add_u64 v[8:9], v[8:9], 2, s[0:1]
	v_lshl_add_u64 v[10:11], v[10:11], 2, s[0:1]
	v_lshl_add_u64 v[12:13], v[12:13], 2, s[0:1]
	v_lshl_add_u64 v[14:15], v[14:15], 2, s[0:1]
	global_load_dword v47, v[0:1], off
	global_load_dword v48, v[2:3], off
	global_load_dword v49, v[4:5], off
	global_load_dword v50, v[6:7], off
	global_load_dword v51, v[8:9], off
	global_load_dword v52, v[10:11], off
	global_load_dword v53, v[12:13], off
	global_load_dword v56, v[14:15], off
	v_add_u32_e32 v0, s24, v116
	v_ashrrev_i32_e32 v1, 31, v0
	v_add_u32_e32 v2, s25, v116
	v_add_u32_e32 v4, s28, v116
	v_add_u32_e32 v6, s29, v116
	v_add_u32_e32 v8, s22, v116
	v_add_u32_e32 v10, s23, v116
	v_add_u32_e32 v12, s11, v116
	v_add_u32_e32 v14, s30, v116
	v_lshl_add_u64 v[0:1], v[0:1], 2, s[0:1]
	v_ashrrev_i32_e32 v3, 31, v2
	v_ashrrev_i32_e32 v5, 31, v4
	v_ashrrev_i32_e32 v7, 31, v6
	v_ashrrev_i32_e32 v9, 31, v8
	v_ashrrev_i32_e32 v11, 31, v10
	v_ashrrev_i32_e32 v13, 31, v12
	v_ashrrev_i32_e32 v15, 31, v14
	v_lshl_add_u64 v[2:3], v[2:3], 2, s[0:1]
	v_lshl_add_u64 v[4:5], v[4:5], 2, s[0:1]
	v_lshl_add_u64 v[6:7], v[6:7], 2, s[0:1]
	v_lshl_add_u64 v[8:9], v[8:9], 2, s[0:1]
	v_lshl_add_u64 v[10:11], v[10:11], 2, s[0:1]
	v_lshl_add_u64 v[12:13], v[12:13], 2, s[0:1]
	v_lshl_add_u64 v[14:15], v[14:15], 2, s[0:1]
	global_load_dword v57, v[0:1], off
	global_load_dword v58, v[2:3], off
	global_load_dword v59, v[4:5], off
	global_load_dword v60, v[6:7], off
	global_load_dword v61, v[8:9], off
	global_load_dword v62, v[10:11], off
	global_load_dword v63, v[12:13], off
	global_load_dword v64, v[14:15], off
	v_add_u32_e32 v0, s31, v116
	v_ashrrev_i32_e32 v1, 31, v0
	v_add_u32_e32 v2, s26, v116
	v_add_u32_e32 v4, s27, v116
	v_add_u32_e32 v6, s8, v116
	v_add_u32_e32 v8, s71, v116
	v_add_u32_e32 v10, s72, v116
	v_add_u32_e32 v12, s73, v116
	v_add_u32_e32 v14, s75, v116
	v_lshl_add_u64 v[0:1], v[0:1], 2, s[0:1]
	v_ashrrev_i32_e32 v3, 31, v2
	v_ashrrev_i32_e32 v5, 31, v4
	v_ashrrev_i32_e32 v7, 31, v6
	v_ashrrev_i32_e32 v9, 31, v8
	v_ashrrev_i32_e32 v11, 31, v10
	v_ashrrev_i32_e32 v13, 31, v12
	v_ashrrev_i32_e32 v15, 31, v14
	v_lshl_add_u64 v[2:3], v[2:3], 2, s[0:1]
	v_lshl_add_u64 v[4:5], v[4:5], 2, s[0:1]
	v_lshl_add_u64 v[6:7], v[6:7], 2, s[0:1]
	v_lshl_add_u64 v[8:9], v[8:9], 2, s[0:1]
	v_lshl_add_u64 v[10:11], v[10:11], 2, s[0:1]
	v_lshl_add_u64 v[12:13], v[12:13], 2, s[0:1]
	v_lshl_add_u64 v[14:15], v[14:15], 2, s[0:1]
	global_load_dword v65, v[0:1], off
	global_load_dword v66, v[2:3], off
	global_load_dword v67, v[4:5], off
	global_load_dword v68, v[6:7], off
	global_load_dword v69, v[8:9], off
	global_load_dword v70, v[10:11], off
	global_load_dword v71, v[12:13], off
	global_load_dword v72, v[14:15], off
	v_add_u32_e32 v0, s76, v116
	v_ashrrev_i32_e32 v1, 31, v0
	v_add_u32_e32 v2, s77, v116
	v_add_u32_e32 v4, s78, v116
	v_add_u32_e32 v6, s79, v116
	v_add_u32_e32 v8, s80, v116
	v_add_u32_e32 v10, s81, v116
	v_add_u32_e32 v12, s83, v116
	v_add_u32_e32 v14, s84, v116
	v_lshl_add_u64 v[0:1], v[0:1], 2, s[0:1]
	v_ashrrev_i32_e32 v3, 31, v2
	v_ashrrev_i32_e32 v5, 31, v4
	v_ashrrev_i32_e32 v7, 31, v6
	v_ashrrev_i32_e32 v9, 31, v8
	v_ashrrev_i32_e32 v11, 31, v10
	v_ashrrev_i32_e32 v13, 31, v12
	v_ashrrev_i32_e32 v15, 31, v14
	v_lshl_add_u64 v[2:3], v[2:3], 2, s[0:1]
	v_lshl_add_u64 v[4:5], v[4:5], 2, s[0:1]
	v_lshl_add_u64 v[6:7], v[6:7], 2, s[0:1]
	v_lshl_add_u64 v[8:9], v[8:9], 2, s[0:1]
	v_lshl_add_u64 v[10:11], v[10:11], 2, s[0:1]
	v_lshl_add_u64 v[12:13], v[12:13], 2, s[0:1]
	v_lshl_add_u64 v[14:15], v[14:15], 2, s[0:1]
	global_load_dword v73, v[0:1], off
	global_load_dword v74, v[2:3], off
	;; [unrolled: 1-line block ×8, first 2 shown]
	v_add_u32_e32 v0, s85, v116
	v_ashrrev_i32_e32 v1, 31, v0
	v_add_u32_e32 v2, s86, v116
	v_add_u32_e32 v4, s87, v116
	;; [unrolled: 1-line block ×5, first 2 shown]
	v_lshl_add_u64 v[0:1], v[0:1], 2, s[0:1]
	v_ashrrev_i32_e32 v3, 31, v2
	v_ashrrev_i32_e32 v5, 31, v4
	;; [unrolled: 1-line block ×5, first 2 shown]
	v_lshl_add_u64 v[2:3], v[2:3], 2, s[0:1]
	v_lshl_add_u64 v[4:5], v[4:5], 2, s[0:1]
	v_lshl_add_u64 v[6:7], v[6:7], 2, s[0:1]
	v_lshl_add_u64 v[8:9], v[8:9], 2, s[0:1]
	v_lshl_add_u64 v[10:11], v[10:11], 2, s[0:1]
	global_load_dword v81, v[0:1], off
	global_load_dword v82, v[2:3], off
	;; [unrolled: 1-line block ×6, first 2 shown]
	ds_read_b64 v[36:37], v118 offset:128
	ds_read_b64 v[34:35], v118 offset:160
	ds_read_b64 v[32:33], v118 offset:192
	ds_read_b64 v[30:31], v118 offset:224
	s_waitcnt vmcnt(47)
	ds_write_b32 v117, v38
	s_waitcnt vmcnt(46)
	ds_write_b32 v117, v39 offset:264
	s_waitcnt vmcnt(45)
	ds_write_b32 v117, v18 offset:528
	s_waitcnt vmcnt(44)
	ds_write_b32 v117, v40 offset:792
	s_waitcnt vmcnt(43)
	ds_write_b32 v117, v41 offset:1056
	s_waitcnt vmcnt(42)
	ds_write_b32 v117, v42 offset:1320
	s_waitcnt vmcnt(41)
	ds_write_b32 v117, v43 offset:1584
	s_waitcnt vmcnt(40)
	ds_write_b32 v117, v44 offset:1848
	s_waitcnt vmcnt(39)
	ds_write_b32 v117, v45 offset:2112
	s_waitcnt vmcnt(38)
	ds_write_b32 v117, v46 offset:2376
	s_waitcnt vmcnt(37)
	ds_write_b32 v117, v47 offset:2640
	s_waitcnt vmcnt(36)
	ds_write_b32 v117, v48 offset:2904
	s_waitcnt vmcnt(35)
	ds_write_b32 v117, v49 offset:3168
	s_waitcnt vmcnt(34)
	ds_write_b32 v117, v50 offset:3432
	s_waitcnt vmcnt(33)
	ds_write_b32 v117, v51 offset:3696
	s_waitcnt vmcnt(32)
	ds_write_b32 v117, v52 offset:3960
	ds_read_b64 v[54:55], v118
	ds_read_b64 v[50:51], v118 offset:32
	ds_read_b64 v[48:49], v118 offset:64
	ds_read_b64 v[46:47], v118 offset:96
	ds_read_b64 v[44:45], v118 offset:128
	ds_read_b64 v[42:43], v118 offset:160
	ds_read_b64 v[40:41], v118 offset:192
	ds_read_b64 v[38:39], v118 offset:224
	s_waitcnt vmcnt(31)
	ds_write_b32 v117, v53
	s_waitcnt vmcnt(30)
	ds_write_b32 v117, v56 offset:264
	s_waitcnt vmcnt(29)
	ds_write_b32 v117, v57 offset:528
	s_waitcnt vmcnt(28)
	ds_write_b32 v117, v58 offset:792
	s_waitcnt vmcnt(27)
	ds_write_b32 v117, v59 offset:1056
	s_waitcnt vmcnt(26)
	ds_write_b32 v117, v60 offset:1320
	s_waitcnt vmcnt(25)
	ds_write_b32 v117, v61 offset:1584
	s_waitcnt vmcnt(24)
	ds_write_b32 v117, v62 offset:1848
	s_waitcnt vmcnt(23)
	ds_write_b32 v117, v63 offset:2112
	s_waitcnt vmcnt(22)
	ds_write_b32 v117, v64 offset:2376
	s_waitcnt vmcnt(21)
	ds_write_b32 v117, v65 offset:2640
	s_waitcnt vmcnt(20)
	ds_write_b32 v117, v66 offset:2904
	s_waitcnt vmcnt(19)
	ds_write_b32 v117, v67 offset:3168
	s_waitcnt vmcnt(18)
	ds_write_b32 v117, v68 offset:3432
	s_waitcnt vmcnt(17)
	ds_write_b32 v117, v69 offset:3696
	s_waitcnt vmcnt(16)
	ds_write_b32 v117, v70 offset:3960
	ds_read_b64 v[68:69], v118
	ds_read_b64 v[66:67], v118 offset:32
	ds_read_b64 v[64:65], v118 offset:64
	ds_read_b64 v[62:63], v118 offset:96
	;; [unrolled: 40-line block ×3, first 2 shown]
	ds_read_b64 v[80:81], v118 offset:128
	ds_read_b64 v[76:77], v118 offset:160
	;; [unrolled: 1-line block ×4, first 2 shown]
	v_accvgpr_read_b32 v3, a15
	v_accvgpr_read_b32 v2, a14
	;; [unrolled: 1-line block ×16, first 2 shown]
	s_cbranch_vccnz .LBB129_9
; %bb.7:                                ;   in Loop: Header=BB129_6 Depth=1
	s_load_dword s68, s[36:37], 0x0
	v_mov_b32_e32 v113, 0
	v_mov_b32_e32 v112, 0
	s_waitcnt lgkmcnt(0)
	s_mul_hi_u32 s69, s68, s16
	s_add_i32 s69, s68, s69
	s_lshr_b32 s69, s69, s17
	s_cmp_ge_i32 s69, s13
	s_cbranch_scc1 .LBB129_9
; %bb.8:                                ;   in Loop: Header=BB129_6 Depth=1
	s_mul_i32 vcc_lo, s69, s18
	s_sub_i32 s68, s68, vcc_lo
	s_mul_i32 s69, s69, s20
	s_mul_i32 s68, s68, s9
	v_add_u32_e32 v18, s69, v116
	v_lshl_add_u32 v86, v18, 1, s68
	v_ashrrev_i32_e32 v87, 31, v86
	v_lshl_add_u64 v[86:87], v[86:87], 2, s[6:7]
	global_load_dwordx2 v[112:113], v[86:87], off
.LBB129_9:                              ;   in Loop: Header=BB129_6 Depth=1
	s_andn2_b64 vcc, exec, s[38:39]
	v_mov_b32_e32 v106, 0
	v_mov_b32_e32 v110, 0
	v_mov_b32_e32 v111, 0
	s_cbranch_vccnz .LBB129_12
; %bb.10:                               ;   in Loop: Header=BB129_6 Depth=1
	s_load_dword s68, s[36:37], 0x4
	v_mov_b32_e32 v111, 0
	v_mov_b32_e32 v110, 0
	s_waitcnt lgkmcnt(0)
	s_mul_hi_u32 s69, s68, s16
	s_add_i32 s69, s68, s69
	s_lshr_b32 s69, s69, s17
	s_cmp_ge_i32 s69, s13
	s_cbranch_scc1 .LBB129_12
; %bb.11:                               ;   in Loop: Header=BB129_6 Depth=1
	s_mul_i32 vcc_lo, s69, s18
	s_sub_i32 s68, s68, vcc_lo
	s_mul_i32 s69, s69, s20
	s_mul_i32 s68, s68, s9
	v_add_u32_e32 v18, s69, v116
	v_lshl_add_u32 v86, v18, 1, s68
	v_ashrrev_i32_e32 v87, 31, v86
	v_lshl_add_u64 v[86:87], v[86:87], 2, s[6:7]
	global_load_dwordx2 v[110:111], v[86:87], off
.LBB129_12:                             ;   in Loop: Header=BB129_6 Depth=1
	s_andn2_b64 vcc, exec, s[40:41]
	v_mov_b32_e32 v107, 0
	s_cbranch_vccnz .LBB129_15
; %bb.13:                               ;   in Loop: Header=BB129_6 Depth=1
	s_load_dword s68, s[36:37], 0x8
	v_mov_b32_e32 v107, 0
	v_mov_b32_e32 v106, 0
	s_waitcnt lgkmcnt(0)
	s_mul_hi_u32 s69, s68, s16
	s_add_i32 s69, s68, s69
	s_lshr_b32 s69, s69, s17
	s_cmp_ge_i32 s69, s13
	s_cbranch_scc1 .LBB129_15
; %bb.14:                               ;   in Loop: Header=BB129_6 Depth=1
	s_mul_i32 vcc_lo, s69, s18
	s_sub_i32 s68, s68, vcc_lo
	s_mul_i32 s69, s69, s20
	s_mul_i32 s68, s68, s9
	v_add_u32_e32 v18, s69, v116
	v_lshl_add_u32 v86, v18, 1, s68
	v_ashrrev_i32_e32 v87, 31, v86
	v_lshl_add_u64 v[86:87], v[86:87], 2, s[6:7]
	global_load_dwordx2 v[106:107], v[86:87], off
.LBB129_15:                             ;   in Loop: Header=BB129_6 Depth=1
	s_andn2_b64 vcc, exec, s[42:43]
	v_mov_b32_e32 v102, 0
	v_mov_b32_e32 v108, 0
	v_mov_b32_e32 v109, 0
	s_cbranch_vccnz .LBB129_18
; %bb.16:                               ;   in Loop: Header=BB129_6 Depth=1
	s_load_dword s68, s[36:37], 0xc
	v_mov_b32_e32 v109, 0
	v_mov_b32_e32 v108, 0
	s_waitcnt lgkmcnt(0)
	s_mul_hi_u32 s69, s68, s16
	s_add_i32 s69, s68, s69
	s_lshr_b32 s69, s69, s17
	s_cmp_ge_i32 s69, s13
	s_cbranch_scc1 .LBB129_18
; %bb.17:                               ;   in Loop: Header=BB129_6 Depth=1
	s_mul_i32 vcc_lo, s69, s18
	s_sub_i32 s68, s68, vcc_lo
	s_mul_i32 s69, s69, s20
	s_mul_i32 s68, s68, s9
	v_add_u32_e32 v18, s69, v116
	v_lshl_add_u32 v86, v18, 1, s68
	v_ashrrev_i32_e32 v87, 31, v86
	v_lshl_add_u64 v[86:87], v[86:87], 2, s[6:7]
	global_load_dwordx2 v[108:109], v[86:87], off
.LBB129_18:                             ;   in Loop: Header=BB129_6 Depth=1
	s_andn2_b64 vcc, exec, s[44:45]
	v_mov_b32_e32 v103, 0
	s_cbranch_vccnz .LBB129_21
; %bb.19:                               ;   in Loop: Header=BB129_6 Depth=1
	s_load_dword s68, s[36:37], 0x10
	v_mov_b32_e32 v103, 0
	v_mov_b32_e32 v102, 0
	s_waitcnt lgkmcnt(0)
	s_mul_hi_u32 s69, s68, s16
	s_add_i32 s69, s68, s69
	s_lshr_b32 s69, s69, s17
	s_cmp_ge_i32 s69, s13
	s_cbranch_scc1 .LBB129_21
; %bb.20:                               ;   in Loop: Header=BB129_6 Depth=1
	s_mul_i32 vcc_lo, s69, s18
	s_sub_i32 s68, s68, vcc_lo
	s_mul_i32 s69, s69, s20
	s_mul_i32 s68, s68, s9
	v_add_u32_e32 v18, s69, v116
	v_lshl_add_u32 v86, v18, 1, s68
	v_ashrrev_i32_e32 v87, 31, v86
	v_lshl_add_u64 v[86:87], v[86:87], 2, s[6:7]
	global_load_dwordx2 v[102:103], v[86:87], off
.LBB129_21:                             ;   in Loop: Header=BB129_6 Depth=1
	s_andn2_b64 vcc, exec, s[46:47]
	v_mov_b32_e32 v98, 0
	v_mov_b32_e32 v104, 0
	v_mov_b32_e32 v105, 0
	s_cbranch_vccnz .LBB129_24
; %bb.22:                               ;   in Loop: Header=BB129_6 Depth=1
	s_load_dword s68, s[36:37], 0x14
	v_mov_b32_e32 v105, 0
	v_mov_b32_e32 v104, 0
	s_waitcnt lgkmcnt(0)
	s_mul_hi_u32 s69, s68, s16
	s_add_i32 s69, s68, s69
	s_lshr_b32 s69, s69, s17
	s_cmp_ge_i32 s69, s13
	s_cbranch_scc1 .LBB129_24
; %bb.23:                               ;   in Loop: Header=BB129_6 Depth=1
	s_mul_i32 vcc_lo, s69, s18
	s_sub_i32 s68, s68, vcc_lo
	s_mul_i32 s69, s69, s20
	s_mul_i32 s68, s68, s9
	v_add_u32_e32 v18, s69, v116
	v_lshl_add_u32 v86, v18, 1, s68
	v_ashrrev_i32_e32 v87, 31, v86
	v_lshl_add_u64 v[86:87], v[86:87], 2, s[6:7]
	global_load_dwordx2 v[104:105], v[86:87], off
.LBB129_24:                             ;   in Loop: Header=BB129_6 Depth=1
	s_andn2_b64 vcc, exec, s[48:49]
	v_mov_b32_e32 v99, 0
	s_cbranch_vccnz .LBB129_27
; %bb.25:                               ;   in Loop: Header=BB129_6 Depth=1
	s_load_dword s68, s[36:37], 0x18
	v_mov_b32_e32 v99, 0
	v_mov_b32_e32 v98, 0
	s_waitcnt lgkmcnt(0)
	s_mul_hi_u32 s69, s68, s16
	s_add_i32 s69, s68, s69
	s_lshr_b32 s69, s69, s17
	s_cmp_ge_i32 s69, s13
	s_cbranch_scc1 .LBB129_27
; %bb.26:                               ;   in Loop: Header=BB129_6 Depth=1
	s_mul_i32 vcc_lo, s69, s18
	s_sub_i32 s68, s68, vcc_lo
	s_mul_i32 s69, s69, s20
	s_mul_i32 s68, s68, s9
	v_add_u32_e32 v18, s69, v116
	v_lshl_add_u32 v86, v18, 1, s68
	v_ashrrev_i32_e32 v87, 31, v86
	v_lshl_add_u64 v[86:87], v[86:87], 2, s[6:7]
	global_load_dwordx2 v[98:99], v[86:87], off
.LBB129_27:                             ;   in Loop: Header=BB129_6 Depth=1
	s_andn2_b64 vcc, exec, s[50:51]
	v_mov_b32_e32 v94, 0
	v_mov_b32_e32 v100, 0
	v_mov_b32_e32 v101, 0
	s_cbranch_vccnz .LBB129_30
; %bb.28:                               ;   in Loop: Header=BB129_6 Depth=1
	s_load_dword s68, s[36:37], 0x1c
	v_mov_b32_e32 v101, 0
	v_mov_b32_e32 v100, 0
	s_waitcnt lgkmcnt(0)
	s_mul_hi_u32 s69, s68, s16
	s_add_i32 s69, s68, s69
	s_lshr_b32 s69, s69, s17
	s_cmp_ge_i32 s69, s13
	s_cbranch_scc1 .LBB129_30
; %bb.29:                               ;   in Loop: Header=BB129_6 Depth=1
	s_mul_i32 vcc_lo, s69, s18
	s_sub_i32 s68, s68, vcc_lo
	s_mul_i32 s69, s69, s20
	s_mul_i32 s68, s68, s9
	v_add_u32_e32 v18, s69, v116
	v_lshl_add_u32 v86, v18, 1, s68
	v_ashrrev_i32_e32 v87, 31, v86
	v_lshl_add_u64 v[86:87], v[86:87], 2, s[6:7]
	global_load_dwordx2 v[100:101], v[86:87], off
.LBB129_30:                             ;   in Loop: Header=BB129_6 Depth=1
	s_andn2_b64 vcc, exec, s[52:53]
	v_mov_b32_e32 v95, 0
	s_cbranch_vccnz .LBB129_33
; %bb.31:                               ;   in Loop: Header=BB129_6 Depth=1
	s_load_dword s68, s[36:37], 0x20
	v_mov_b32_e32 v95, 0
	v_mov_b32_e32 v94, 0
	s_waitcnt lgkmcnt(0)
	s_mul_hi_u32 s69, s68, s16
	s_add_i32 s69, s68, s69
	s_lshr_b32 s69, s69, s17
	s_cmp_ge_i32 s69, s13
	s_cbranch_scc1 .LBB129_33
; %bb.32:                               ;   in Loop: Header=BB129_6 Depth=1
	s_mul_i32 vcc_lo, s69, s18
	s_sub_i32 s68, s68, vcc_lo
	s_mul_i32 s69, s69, s20
	s_mul_i32 s68, s68, s9
	v_add_u32_e32 v18, s69, v116
	v_lshl_add_u32 v86, v18, 1, s68
	v_ashrrev_i32_e32 v87, 31, v86
	v_lshl_add_u64 v[86:87], v[86:87], 2, s[6:7]
	global_load_dwordx2 v[94:95], v[86:87], off
.LBB129_33:                             ;   in Loop: Header=BB129_6 Depth=1
	s_andn2_b64 vcc, exec, s[54:55]
	v_mov_b32_e32 v90, 0
	v_mov_b32_e32 v96, 0
	v_mov_b32_e32 v97, 0
	s_cbranch_vccnz .LBB129_36
; %bb.34:                               ;   in Loop: Header=BB129_6 Depth=1
	s_load_dword s68, s[36:37], 0x24
	v_mov_b32_e32 v97, 0
	v_mov_b32_e32 v96, 0
	s_waitcnt lgkmcnt(0)
	s_mul_hi_u32 s69, s68, s16
	s_add_i32 s69, s68, s69
	s_lshr_b32 s69, s69, s17
	s_cmp_ge_i32 s69, s13
	s_cbranch_scc1 .LBB129_36
; %bb.35:                               ;   in Loop: Header=BB129_6 Depth=1
	s_mul_i32 vcc_lo, s69, s18
	s_sub_i32 s68, s68, vcc_lo
	s_mul_i32 s69, s69, s20
	s_mul_i32 s68, s68, s9
	v_add_u32_e32 v18, s69, v116
	v_lshl_add_u32 v86, v18, 1, s68
	v_ashrrev_i32_e32 v87, 31, v86
	v_lshl_add_u64 v[86:87], v[86:87], 2, s[6:7]
	global_load_dwordx2 v[96:97], v[86:87], off
.LBB129_36:                             ;   in Loop: Header=BB129_6 Depth=1
	s_andn2_b64 vcc, exec, s[56:57]
	v_mov_b32_e32 v91, 0
	s_cbranch_vccnz .LBB129_39
; %bb.37:                               ;   in Loop: Header=BB129_6 Depth=1
	s_load_dword s68, s[36:37], 0x28
	v_mov_b32_e32 v91, 0
	v_mov_b32_e32 v90, 0
	s_waitcnt lgkmcnt(0)
	s_mul_hi_u32 s69, s68, s16
	s_add_i32 s69, s68, s69
	s_lshr_b32 s69, s69, s17
	s_cmp_ge_i32 s69, s13
	s_cbranch_scc1 .LBB129_39
; %bb.38:                               ;   in Loop: Header=BB129_6 Depth=1
	s_mul_i32 vcc_lo, s69, s18
	s_sub_i32 s68, s68, vcc_lo
	s_mul_i32 s69, s69, s20
	s_mul_i32 s68, s68, s9
	v_add_u32_e32 v18, s69, v116
	v_lshl_add_u32 v86, v18, 1, s68
	v_ashrrev_i32_e32 v87, 31, v86
	v_lshl_add_u64 v[86:87], v[86:87], 2, s[6:7]
	global_load_dwordx2 v[90:91], v[86:87], off
.LBB129_39:                             ;   in Loop: Header=BB129_6 Depth=1
	s_andn2_b64 vcc, exec, s[58:59]
	v_mov_b32_e32 v86, 0
	v_mov_b32_e32 v92, 0
	v_mov_b32_e32 v93, 0
	s_cbranch_vccnz .LBB129_42
; %bb.40:                               ;   in Loop: Header=BB129_6 Depth=1
	s_load_dword s68, s[36:37], 0x2c
	v_mov_b32_e32 v93, 0
	v_mov_b32_e32 v92, 0
	s_waitcnt lgkmcnt(0)
	s_mul_hi_u32 s69, s68, s16
	s_add_i32 s69, s68, s69
	s_lshr_b32 s69, s69, s17
	s_cmp_ge_i32 s69, s13
	s_cbranch_scc1 .LBB129_42
; %bb.41:                               ;   in Loop: Header=BB129_6 Depth=1
	s_mul_i32 vcc_lo, s69, s18
	s_sub_i32 s68, s68, vcc_lo
	s_mul_i32 s69, s69, s20
	s_mul_i32 s68, s68, s9
	v_add_u32_e32 v18, s69, v116
	v_lshl_add_u32 v88, v18, 1, s68
	v_ashrrev_i32_e32 v89, 31, v88
	v_lshl_add_u64 v[88:89], v[88:89], 2, s[6:7]
	global_load_dwordx2 v[92:93], v[88:89], off
.LBB129_42:                             ;   in Loop: Header=BB129_6 Depth=1
	s_andn2_b64 vcc, exec, s[60:61]
	v_mov_b32_e32 v87, 0
	s_cbranch_vccnz .LBB129_45
; %bb.43:                               ;   in Loop: Header=BB129_6 Depth=1
	s_load_dword s68, s[36:37], 0x30
	v_mov_b32_e32 v87, 0
	v_mov_b32_e32 v86, 0
	s_waitcnt lgkmcnt(0)
	s_mul_hi_u32 s69, s68, s16
	s_add_i32 s69, s68, s69
	s_lshr_b32 s69, s69, s17
	s_cmp_ge_i32 s69, s13
	s_cbranch_scc1 .LBB129_45
; %bb.44:                               ;   in Loop: Header=BB129_6 Depth=1
	s_mul_i32 vcc_lo, s69, s18
	s_sub_i32 s68, s68, vcc_lo
	s_mul_i32 s69, s69, s20
	s_mul_i32 s68, s68, s9
	v_add_u32_e32 v18, s69, v116
	v_lshl_add_u32 v86, v18, 1, s68
	v_ashrrev_i32_e32 v87, 31, v86
	v_lshl_add_u64 v[86:87], v[86:87], 2, s[6:7]
	global_load_dwordx2 v[86:87], v[86:87], off
.LBB129_45:                             ;   in Loop: Header=BB129_6 Depth=1
	s_andn2_b64 vcc, exec, s[62:63]
	v_mov_b32_e32 v88, 0
	v_mov_b32_e32 v89, 0
	s_cbranch_vccnz .LBB129_48
; %bb.46:                               ;   in Loop: Header=BB129_6 Depth=1
	s_load_dword s68, s[36:37], 0x34
	v_mov_b32_e32 v89, 0
	v_mov_b32_e32 v88, 0
	s_waitcnt lgkmcnt(0)
	s_mul_hi_u32 s69, s68, s16
	s_add_i32 s69, s68, s69
	s_lshr_b32 s69, s69, s17
	s_cmp_ge_i32 s69, s13
	s_cbranch_scc1 .LBB129_48
; %bb.47:                               ;   in Loop: Header=BB129_6 Depth=1
	s_mul_i32 vcc_lo, s69, s18
	s_sub_i32 s68, s68, vcc_lo
	s_mul_i32 s69, s69, s20
	s_mul_i32 s68, s68, s9
	v_add_u32_e32 v18, s69, v116
	v_lshl_add_u32 v88, v18, 1, s68
	v_ashrrev_i32_e32 v89, 31, v88
	v_lshl_add_u64 v[88:89], v[88:89], 2, s[6:7]
	global_load_dwordx2 v[88:89], v[88:89], off
.LBB129_48:                             ;   in Loop: Header=BB129_6 Depth=1
	s_waitcnt vmcnt(0)
	v_and_b32_e32 v18, 0x7f800000, v112
	v_cmp_ne_u32_e32 vcc, s90, v18
                                        ; implicit-def: $vgpr18
	s_and_saveexec_b64 s[68:69], vcc
	s_xor_b64 s[68:69], exec, s[68:69]
; %bb.49:                               ;   in Loop: Header=BB129_6 Depth=1
	v_bfe_u32 v18, v112, 16, 1
	v_add3_u32 v18, v112, v18, s91
; %bb.50:                               ;   in Loop: Header=BB129_6 Depth=1
	s_andn2_saveexec_b64 s[68:69], s[68:69]
; %bb.51:                               ;   in Loop: Header=BB129_6 Depth=1
	v_or_b32_e32 v18, 0x10000, v112
	v_cmp_eq_u32_sdwa vcc, v112, v19 src0_sel:WORD_0 src1_sel:DWORD
	s_nop 1
	v_cndmask_b32_e32 v18, v18, v112, vcc
; %bb.52:                               ;   in Loop: Header=BB129_6 Depth=1
	s_or_b64 exec, exec, s[68:69]
	v_and_b32_e32 v112, 0x7f800000, v113
	v_cmp_ne_u32_e32 vcc, s90, v112
                                        ; implicit-def: $vgpr112
	s_and_saveexec_b64 s[68:69], vcc
	s_xor_b64 s[68:69], exec, s[68:69]
; %bb.53:                               ;   in Loop: Header=BB129_6 Depth=1
	v_bfe_u32 v112, v113, 16, 1
	v_add3_u32 v112, v113, v112, s91
                                        ; implicit-def: $vgpr113
; %bb.54:                               ;   in Loop: Header=BB129_6 Depth=1
	s_andn2_saveexec_b64 s[68:69], s[68:69]
; %bb.55:                               ;   in Loop: Header=BB129_6 Depth=1
	v_or_b32_e32 v112, 0x10000, v113
	v_cmp_eq_u32_sdwa vcc, v113, v19 src0_sel:WORD_0 src1_sel:DWORD
	s_nop 1
	v_cndmask_b32_e32 v112, v112, v113, vcc
; %bb.56:                               ;   in Loop: Header=BB129_6 Depth=1
	s_or_b64 exec, exec, s[68:69]
	v_perm_b32 v18, v112, v18, s92
	ds_write_b32 v117, v18
	v_and_b32_e32 v18, 0x7f800000, v110
	v_cmp_ne_u32_e32 vcc, s90, v18
                                        ; implicit-def: $vgpr18
	s_and_saveexec_b64 s[68:69], vcc
	s_xor_b64 s[68:69], exec, s[68:69]
; %bb.57:                               ;   in Loop: Header=BB129_6 Depth=1
	v_bfe_u32 v18, v110, 16, 1
	v_add3_u32 v18, v110, v18, s91
; %bb.58:                               ;   in Loop: Header=BB129_6 Depth=1
	s_andn2_saveexec_b64 s[68:69], s[68:69]
; %bb.59:                               ;   in Loop: Header=BB129_6 Depth=1
	v_or_b32_e32 v18, 0x10000, v110
	v_cmp_eq_u32_sdwa vcc, v110, v19 src0_sel:WORD_0 src1_sel:DWORD
	s_nop 1
	v_cndmask_b32_e32 v18, v18, v110, vcc
; %bb.60:                               ;   in Loop: Header=BB129_6 Depth=1
	s_or_b64 exec, exec, s[68:69]
	v_and_b32_e32 v110, 0x7f800000, v111
	v_cmp_ne_u32_e32 vcc, s90, v110
                                        ; implicit-def: $vgpr110
	s_and_saveexec_b64 s[68:69], vcc
	s_xor_b64 s[68:69], exec, s[68:69]
; %bb.61:                               ;   in Loop: Header=BB129_6 Depth=1
	v_bfe_u32 v110, v111, 16, 1
	v_add3_u32 v110, v111, v110, s91
                                        ; implicit-def: $vgpr111
; %bb.62:                               ;   in Loop: Header=BB129_6 Depth=1
	s_andn2_saveexec_b64 s[68:69], s[68:69]
; %bb.63:                               ;   in Loop: Header=BB129_6 Depth=1
	v_or_b32_e32 v110, 0x10000, v111
	v_cmp_eq_u32_sdwa vcc, v111, v19 src0_sel:WORD_0 src1_sel:DWORD
	s_nop 1
	v_cndmask_b32_e32 v110, v110, v111, vcc
; %bb.64:                               ;   in Loop: Header=BB129_6 Depth=1
	s_or_b64 exec, exec, s[68:69]
	v_perm_b32 v18, v110, v18, s92
	ds_write_b32 v117, v18 offset:264
	v_and_b32_e32 v18, 0x7f800000, v106
	v_cmp_ne_u32_e32 vcc, s90, v18
                                        ; implicit-def: $vgpr18
	s_and_saveexec_b64 s[68:69], vcc
	s_xor_b64 s[68:69], exec, s[68:69]
; %bb.65:                               ;   in Loop: Header=BB129_6 Depth=1
	v_bfe_u32 v18, v106, 16, 1
	v_add3_u32 v18, v106, v18, s91
; %bb.66:                               ;   in Loop: Header=BB129_6 Depth=1
	s_andn2_saveexec_b64 s[68:69], s[68:69]
; %bb.67:                               ;   in Loop: Header=BB129_6 Depth=1
	v_or_b32_e32 v18, 0x10000, v106
	v_cmp_eq_u32_sdwa vcc, v106, v19 src0_sel:WORD_0 src1_sel:DWORD
	s_nop 1
	v_cndmask_b32_e32 v18, v18, v106, vcc
; %bb.68:                               ;   in Loop: Header=BB129_6 Depth=1
	s_or_b64 exec, exec, s[68:69]
	v_and_b32_e32 v106, 0x7f800000, v107
	v_cmp_ne_u32_e32 vcc, s90, v106
                                        ; implicit-def: $vgpr106
	s_and_saveexec_b64 s[68:69], vcc
	s_xor_b64 s[68:69], exec, s[68:69]
; %bb.69:                               ;   in Loop: Header=BB129_6 Depth=1
	v_bfe_u32 v106, v107, 16, 1
	v_add3_u32 v106, v107, v106, s91
                                        ; implicit-def: $vgpr107
; %bb.70:                               ;   in Loop: Header=BB129_6 Depth=1
	s_andn2_saveexec_b64 s[68:69], s[68:69]
; %bb.71:                               ;   in Loop: Header=BB129_6 Depth=1
	v_or_b32_e32 v106, 0x10000, v107
	v_cmp_eq_u32_sdwa vcc, v107, v19 src0_sel:WORD_0 src1_sel:DWORD
	s_nop 1
	v_cndmask_b32_e32 v106, v106, v107, vcc
; %bb.72:                               ;   in Loop: Header=BB129_6 Depth=1
	s_or_b64 exec, exec, s[68:69]
	v_perm_b32 v18, v106, v18, s92
	ds_write_b32 v117, v18 offset:528
	v_and_b32_e32 v18, 0x7f800000, v108
	v_cmp_ne_u32_e32 vcc, s90, v18
                                        ; implicit-def: $vgpr18
	s_and_saveexec_b64 s[68:69], vcc
	s_xor_b64 s[68:69], exec, s[68:69]
; %bb.73:                               ;   in Loop: Header=BB129_6 Depth=1
	v_bfe_u32 v18, v108, 16, 1
	v_add3_u32 v18, v108, v18, s91
; %bb.74:                               ;   in Loop: Header=BB129_6 Depth=1
	s_andn2_saveexec_b64 s[68:69], s[68:69]
; %bb.75:                               ;   in Loop: Header=BB129_6 Depth=1
	v_or_b32_e32 v18, 0x10000, v108
	v_cmp_eq_u32_sdwa vcc, v108, v19 src0_sel:WORD_0 src1_sel:DWORD
	s_nop 1
	v_cndmask_b32_e32 v18, v18, v108, vcc
; %bb.76:                               ;   in Loop: Header=BB129_6 Depth=1
	s_or_b64 exec, exec, s[68:69]
	v_and_b32_e32 v106, 0x7f800000, v109
	v_cmp_ne_u32_e32 vcc, s90, v106
                                        ; implicit-def: $vgpr106
	s_and_saveexec_b64 s[68:69], vcc
	s_xor_b64 s[68:69], exec, s[68:69]
; %bb.77:                               ;   in Loop: Header=BB129_6 Depth=1
	v_bfe_u32 v106, v109, 16, 1
	v_add3_u32 v106, v109, v106, s91
                                        ; implicit-def: $vgpr109
; %bb.78:                               ;   in Loop: Header=BB129_6 Depth=1
	s_andn2_saveexec_b64 s[68:69], s[68:69]
; %bb.79:                               ;   in Loop: Header=BB129_6 Depth=1
	v_or_b32_e32 v106, 0x10000, v109
	v_cmp_eq_u32_sdwa vcc, v109, v19 src0_sel:WORD_0 src1_sel:DWORD
	s_nop 1
	v_cndmask_b32_e32 v106, v106, v109, vcc
; %bb.80:                               ;   in Loop: Header=BB129_6 Depth=1
	s_or_b64 exec, exec, s[68:69]
	v_perm_b32 v18, v106, v18, s92
	ds_write_b32 v117, v18 offset:792
	v_and_b32_e32 v18, 0x7f800000, v102
	v_cmp_ne_u32_e32 vcc, s90, v18
                                        ; implicit-def: $vgpr18
	s_and_saveexec_b64 s[68:69], vcc
	s_xor_b64 s[68:69], exec, s[68:69]
; %bb.81:                               ;   in Loop: Header=BB129_6 Depth=1
	v_bfe_u32 v18, v102, 16, 1
	v_add3_u32 v18, v102, v18, s91
; %bb.82:                               ;   in Loop: Header=BB129_6 Depth=1
	s_andn2_saveexec_b64 s[68:69], s[68:69]
; %bb.83:                               ;   in Loop: Header=BB129_6 Depth=1
	v_or_b32_e32 v18, 0x10000, v102
	v_cmp_eq_u32_sdwa vcc, v102, v19 src0_sel:WORD_0 src1_sel:DWORD
	s_nop 1
	v_cndmask_b32_e32 v18, v18, v102, vcc
; %bb.84:                               ;   in Loop: Header=BB129_6 Depth=1
	s_or_b64 exec, exec, s[68:69]
	v_and_b32_e32 v102, 0x7f800000, v103
	v_cmp_ne_u32_e32 vcc, s90, v102
                                        ; implicit-def: $vgpr102
	s_and_saveexec_b64 s[68:69], vcc
	s_xor_b64 s[68:69], exec, s[68:69]
; %bb.85:                               ;   in Loop: Header=BB129_6 Depth=1
	v_bfe_u32 v102, v103, 16, 1
	v_add3_u32 v102, v103, v102, s91
                                        ; implicit-def: $vgpr103
; %bb.86:                               ;   in Loop: Header=BB129_6 Depth=1
	s_andn2_saveexec_b64 s[68:69], s[68:69]
; %bb.87:                               ;   in Loop: Header=BB129_6 Depth=1
	v_or_b32_e32 v102, 0x10000, v103
	v_cmp_eq_u32_sdwa vcc, v103, v19 src0_sel:WORD_0 src1_sel:DWORD
	s_nop 1
	v_cndmask_b32_e32 v102, v102, v103, vcc
; %bb.88:                               ;   in Loop: Header=BB129_6 Depth=1
	s_or_b64 exec, exec, s[68:69]
	v_perm_b32 v18, v102, v18, s92
	ds_write_b32 v117, v18 offset:1056
	v_and_b32_e32 v18, 0x7f800000, v104
	v_cmp_ne_u32_e32 vcc, s90, v18
                                        ; implicit-def: $vgpr18
	s_and_saveexec_b64 s[68:69], vcc
	s_xor_b64 s[68:69], exec, s[68:69]
; %bb.89:                               ;   in Loop: Header=BB129_6 Depth=1
	v_bfe_u32 v18, v104, 16, 1
	v_add3_u32 v18, v104, v18, s91
; %bb.90:                               ;   in Loop: Header=BB129_6 Depth=1
	s_andn2_saveexec_b64 s[68:69], s[68:69]
; %bb.91:                               ;   in Loop: Header=BB129_6 Depth=1
	v_or_b32_e32 v18, 0x10000, v104
	v_cmp_eq_u32_sdwa vcc, v104, v19 src0_sel:WORD_0 src1_sel:DWORD
	s_nop 1
	v_cndmask_b32_e32 v18, v18, v104, vcc
; %bb.92:                               ;   in Loop: Header=BB129_6 Depth=1
	s_or_b64 exec, exec, s[68:69]
	v_and_b32_e32 v102, 0x7f800000, v105
	v_cmp_ne_u32_e32 vcc, s90, v102
                                        ; implicit-def: $vgpr102
	s_and_saveexec_b64 s[68:69], vcc
	s_xor_b64 s[68:69], exec, s[68:69]
; %bb.93:                               ;   in Loop: Header=BB129_6 Depth=1
	v_bfe_u32 v102, v105, 16, 1
	v_add3_u32 v102, v105, v102, s91
                                        ; implicit-def: $vgpr105
; %bb.94:                               ;   in Loop: Header=BB129_6 Depth=1
	s_andn2_saveexec_b64 s[68:69], s[68:69]
; %bb.95:                               ;   in Loop: Header=BB129_6 Depth=1
	v_or_b32_e32 v102, 0x10000, v105
	v_cmp_eq_u32_sdwa vcc, v105, v19 src0_sel:WORD_0 src1_sel:DWORD
	s_nop 1
	v_cndmask_b32_e32 v102, v102, v105, vcc
; %bb.96:                               ;   in Loop: Header=BB129_6 Depth=1
	s_or_b64 exec, exec, s[68:69]
	v_perm_b32 v18, v102, v18, s92
	ds_write_b32 v117, v18 offset:1320
	v_and_b32_e32 v18, 0x7f800000, v98
	v_cmp_ne_u32_e32 vcc, s90, v18
                                        ; implicit-def: $vgpr18
	s_and_saveexec_b64 s[68:69], vcc
	s_xor_b64 s[68:69], exec, s[68:69]
; %bb.97:                               ;   in Loop: Header=BB129_6 Depth=1
	v_bfe_u32 v18, v98, 16, 1
	v_add3_u32 v18, v98, v18, s91
; %bb.98:                               ;   in Loop: Header=BB129_6 Depth=1
	s_andn2_saveexec_b64 s[68:69], s[68:69]
; %bb.99:                               ;   in Loop: Header=BB129_6 Depth=1
	v_or_b32_e32 v18, 0x10000, v98
	v_cmp_eq_u32_sdwa vcc, v98, v19 src0_sel:WORD_0 src1_sel:DWORD
	s_nop 1
	v_cndmask_b32_e32 v18, v18, v98, vcc
; %bb.100:                              ;   in Loop: Header=BB129_6 Depth=1
	s_or_b64 exec, exec, s[68:69]
	v_and_b32_e32 v98, 0x7f800000, v99
	v_cmp_ne_u32_e32 vcc, s90, v98
                                        ; implicit-def: $vgpr98
	s_and_saveexec_b64 s[68:69], vcc
	s_xor_b64 s[68:69], exec, s[68:69]
; %bb.101:                              ;   in Loop: Header=BB129_6 Depth=1
	v_bfe_u32 v98, v99, 16, 1
	v_add3_u32 v98, v99, v98, s91
                                        ; implicit-def: $vgpr99
; %bb.102:                              ;   in Loop: Header=BB129_6 Depth=1
	s_andn2_saveexec_b64 s[68:69], s[68:69]
; %bb.103:                              ;   in Loop: Header=BB129_6 Depth=1
	v_or_b32_e32 v98, 0x10000, v99
	v_cmp_eq_u32_sdwa vcc, v99, v19 src0_sel:WORD_0 src1_sel:DWORD
	s_nop 1
	v_cndmask_b32_e32 v98, v98, v99, vcc
; %bb.104:                              ;   in Loop: Header=BB129_6 Depth=1
	s_or_b64 exec, exec, s[68:69]
	v_perm_b32 v18, v98, v18, s92
	ds_write_b32 v117, v18 offset:1584
	v_and_b32_e32 v18, 0x7f800000, v100
	v_cmp_ne_u32_e32 vcc, s90, v18
                                        ; implicit-def: $vgpr18
	s_and_saveexec_b64 s[68:69], vcc
	s_xor_b64 s[68:69], exec, s[68:69]
; %bb.105:                              ;   in Loop: Header=BB129_6 Depth=1
	v_bfe_u32 v18, v100, 16, 1
	v_add3_u32 v18, v100, v18, s91
; %bb.106:                              ;   in Loop: Header=BB129_6 Depth=1
	s_andn2_saveexec_b64 s[68:69], s[68:69]
; %bb.107:                              ;   in Loop: Header=BB129_6 Depth=1
	v_or_b32_e32 v18, 0x10000, v100
	v_cmp_eq_u32_sdwa vcc, v100, v19 src0_sel:WORD_0 src1_sel:DWORD
	s_nop 1
	v_cndmask_b32_e32 v18, v18, v100, vcc
; %bb.108:                              ;   in Loop: Header=BB129_6 Depth=1
	s_or_b64 exec, exec, s[68:69]
	v_and_b32_e32 v98, 0x7f800000, v101
	v_cmp_ne_u32_e32 vcc, s90, v98
                                        ; implicit-def: $vgpr98
	s_and_saveexec_b64 s[68:69], vcc
	s_xor_b64 s[68:69], exec, s[68:69]
; %bb.109:                              ;   in Loop: Header=BB129_6 Depth=1
	v_bfe_u32 v98, v101, 16, 1
	v_add3_u32 v98, v101, v98, s91
                                        ; implicit-def: $vgpr101
; %bb.110:                              ;   in Loop: Header=BB129_6 Depth=1
	s_andn2_saveexec_b64 s[68:69], s[68:69]
; %bb.111:                              ;   in Loop: Header=BB129_6 Depth=1
	v_or_b32_e32 v98, 0x10000, v101
	v_cmp_eq_u32_sdwa vcc, v101, v19 src0_sel:WORD_0 src1_sel:DWORD
	s_nop 1
	v_cndmask_b32_e32 v98, v98, v101, vcc
; %bb.112:                              ;   in Loop: Header=BB129_6 Depth=1
	s_or_b64 exec, exec, s[68:69]
	v_perm_b32 v18, v98, v18, s92
	ds_write_b32 v117, v18 offset:1848
	v_and_b32_e32 v18, 0x7f800000, v94
	v_cmp_ne_u32_e32 vcc, s90, v18
                                        ; implicit-def: $vgpr18
	s_and_saveexec_b64 s[68:69], vcc
	s_xor_b64 s[68:69], exec, s[68:69]
; %bb.113:                              ;   in Loop: Header=BB129_6 Depth=1
	v_bfe_u32 v18, v94, 16, 1
	v_add3_u32 v18, v94, v18, s91
; %bb.114:                              ;   in Loop: Header=BB129_6 Depth=1
	s_andn2_saveexec_b64 s[68:69], s[68:69]
; %bb.115:                              ;   in Loop: Header=BB129_6 Depth=1
	v_or_b32_e32 v18, 0x10000, v94
	v_cmp_eq_u32_sdwa vcc, v94, v19 src0_sel:WORD_0 src1_sel:DWORD
	s_nop 1
	v_cndmask_b32_e32 v18, v18, v94, vcc
; %bb.116:                              ;   in Loop: Header=BB129_6 Depth=1
	s_or_b64 exec, exec, s[68:69]
	v_and_b32_e32 v94, 0x7f800000, v95
	v_cmp_ne_u32_e32 vcc, s90, v94
                                        ; implicit-def: $vgpr94
	s_and_saveexec_b64 s[68:69], vcc
	s_xor_b64 s[68:69], exec, s[68:69]
; %bb.117:                              ;   in Loop: Header=BB129_6 Depth=1
	v_bfe_u32 v94, v95, 16, 1
	v_add3_u32 v94, v95, v94, s91
                                        ; implicit-def: $vgpr95
; %bb.118:                              ;   in Loop: Header=BB129_6 Depth=1
	s_andn2_saveexec_b64 s[68:69], s[68:69]
; %bb.119:                              ;   in Loop: Header=BB129_6 Depth=1
	v_or_b32_e32 v94, 0x10000, v95
	v_cmp_eq_u32_sdwa vcc, v95, v19 src0_sel:WORD_0 src1_sel:DWORD
	s_nop 1
	v_cndmask_b32_e32 v94, v94, v95, vcc
; %bb.120:                              ;   in Loop: Header=BB129_6 Depth=1
	s_or_b64 exec, exec, s[68:69]
	v_perm_b32 v18, v94, v18, s92
	ds_write_b32 v117, v18 offset:2112
	v_and_b32_e32 v18, 0x7f800000, v96
	v_cmp_ne_u32_e32 vcc, s90, v18
                                        ; implicit-def: $vgpr18
	s_and_saveexec_b64 s[68:69], vcc
	s_xor_b64 s[68:69], exec, s[68:69]
; %bb.121:                              ;   in Loop: Header=BB129_6 Depth=1
	v_bfe_u32 v18, v96, 16, 1
	v_add3_u32 v18, v96, v18, s91
; %bb.122:                              ;   in Loop: Header=BB129_6 Depth=1
	s_andn2_saveexec_b64 s[68:69], s[68:69]
; %bb.123:                              ;   in Loop: Header=BB129_6 Depth=1
	v_or_b32_e32 v18, 0x10000, v96
	v_cmp_eq_u32_sdwa vcc, v96, v19 src0_sel:WORD_0 src1_sel:DWORD
	s_nop 1
	v_cndmask_b32_e32 v18, v18, v96, vcc
; %bb.124:                              ;   in Loop: Header=BB129_6 Depth=1
	s_or_b64 exec, exec, s[68:69]
	v_and_b32_e32 v94, 0x7f800000, v97
	v_cmp_ne_u32_e32 vcc, s90, v94
                                        ; implicit-def: $vgpr94
	s_and_saveexec_b64 s[68:69], vcc
	s_xor_b64 s[68:69], exec, s[68:69]
; %bb.125:                              ;   in Loop: Header=BB129_6 Depth=1
	v_bfe_u32 v94, v97, 16, 1
	v_add3_u32 v94, v97, v94, s91
                                        ; implicit-def: $vgpr97
; %bb.126:                              ;   in Loop: Header=BB129_6 Depth=1
	s_andn2_saveexec_b64 s[68:69], s[68:69]
; %bb.127:                              ;   in Loop: Header=BB129_6 Depth=1
	v_or_b32_e32 v94, 0x10000, v97
	v_cmp_eq_u32_sdwa vcc, v97, v19 src0_sel:WORD_0 src1_sel:DWORD
	s_nop 1
	v_cndmask_b32_e32 v94, v94, v97, vcc
; %bb.128:                              ;   in Loop: Header=BB129_6 Depth=1
	s_or_b64 exec, exec, s[68:69]
	v_perm_b32 v18, v94, v18, s92
	ds_write_b32 v117, v18 offset:2376
	v_and_b32_e32 v18, 0x7f800000, v90
	v_cmp_ne_u32_e32 vcc, s90, v18
                                        ; implicit-def: $vgpr18
	s_and_saveexec_b64 s[68:69], vcc
	s_xor_b64 s[68:69], exec, s[68:69]
; %bb.129:                              ;   in Loop: Header=BB129_6 Depth=1
	v_bfe_u32 v18, v90, 16, 1
	v_add3_u32 v18, v90, v18, s91
; %bb.130:                              ;   in Loop: Header=BB129_6 Depth=1
	s_andn2_saveexec_b64 s[68:69], s[68:69]
; %bb.131:                              ;   in Loop: Header=BB129_6 Depth=1
	v_or_b32_e32 v18, 0x10000, v90
	v_cmp_eq_u32_sdwa vcc, v90, v19 src0_sel:WORD_0 src1_sel:DWORD
	s_nop 1
	v_cndmask_b32_e32 v18, v18, v90, vcc
; %bb.132:                              ;   in Loop: Header=BB129_6 Depth=1
	s_or_b64 exec, exec, s[68:69]
	v_and_b32_e32 v90, 0x7f800000, v91
	v_cmp_ne_u32_e32 vcc, s90, v90
                                        ; implicit-def: $vgpr90
	s_and_saveexec_b64 s[68:69], vcc
	s_xor_b64 s[68:69], exec, s[68:69]
; %bb.133:                              ;   in Loop: Header=BB129_6 Depth=1
	v_bfe_u32 v90, v91, 16, 1
	v_add3_u32 v90, v91, v90, s91
                                        ; implicit-def: $vgpr91
; %bb.134:                              ;   in Loop: Header=BB129_6 Depth=1
	s_andn2_saveexec_b64 s[68:69], s[68:69]
; %bb.135:                              ;   in Loop: Header=BB129_6 Depth=1
	v_or_b32_e32 v90, 0x10000, v91
	v_cmp_eq_u32_sdwa vcc, v91, v19 src0_sel:WORD_0 src1_sel:DWORD
	s_nop 1
	v_cndmask_b32_e32 v90, v90, v91, vcc
; %bb.136:                              ;   in Loop: Header=BB129_6 Depth=1
	s_or_b64 exec, exec, s[68:69]
	v_perm_b32 v18, v90, v18, s92
	ds_write_b32 v117, v18 offset:2640
	v_and_b32_e32 v18, 0x7f800000, v92
	v_cmp_ne_u32_e32 vcc, s90, v18
                                        ; implicit-def: $vgpr18
	s_and_saveexec_b64 s[68:69], vcc
	s_xor_b64 s[68:69], exec, s[68:69]
; %bb.137:                              ;   in Loop: Header=BB129_6 Depth=1
	v_bfe_u32 v18, v92, 16, 1
	v_add3_u32 v18, v92, v18, s91
; %bb.138:                              ;   in Loop: Header=BB129_6 Depth=1
	s_andn2_saveexec_b64 s[68:69], s[68:69]
; %bb.139:                              ;   in Loop: Header=BB129_6 Depth=1
	v_or_b32_e32 v18, 0x10000, v92
	v_cmp_eq_u32_sdwa vcc, v92, v19 src0_sel:WORD_0 src1_sel:DWORD
	s_nop 1
	v_cndmask_b32_e32 v18, v18, v92, vcc
; %bb.140:                              ;   in Loop: Header=BB129_6 Depth=1
	s_or_b64 exec, exec, s[68:69]
	v_and_b32_e32 v90, 0x7f800000, v93
	v_cmp_ne_u32_e32 vcc, s90, v90
                                        ; implicit-def: $vgpr90
	s_and_saveexec_b64 s[68:69], vcc
	s_xor_b64 s[68:69], exec, s[68:69]
; %bb.141:                              ;   in Loop: Header=BB129_6 Depth=1
	v_bfe_u32 v90, v93, 16, 1
	v_add3_u32 v90, v93, v90, s91
                                        ; implicit-def: $vgpr93
; %bb.142:                              ;   in Loop: Header=BB129_6 Depth=1
	s_andn2_saveexec_b64 s[68:69], s[68:69]
; %bb.143:                              ;   in Loop: Header=BB129_6 Depth=1
	v_or_b32_e32 v90, 0x10000, v93
	v_cmp_eq_u32_sdwa vcc, v93, v19 src0_sel:WORD_0 src1_sel:DWORD
	s_nop 1
	v_cndmask_b32_e32 v90, v90, v93, vcc
; %bb.144:                              ;   in Loop: Header=BB129_6 Depth=1
	s_or_b64 exec, exec, s[68:69]
	v_perm_b32 v18, v90, v18, s92
	ds_write_b32 v117, v18 offset:2904
	v_and_b32_e32 v18, 0x7f800000, v86
	v_cmp_ne_u32_e32 vcc, s90, v18
                                        ; implicit-def: $vgpr18
	s_and_saveexec_b64 s[68:69], vcc
	s_xor_b64 s[68:69], exec, s[68:69]
; %bb.145:                              ;   in Loop: Header=BB129_6 Depth=1
	v_bfe_u32 v18, v86, 16, 1
	v_add3_u32 v18, v86, v18, s91
; %bb.146:                              ;   in Loop: Header=BB129_6 Depth=1
	s_andn2_saveexec_b64 s[68:69], s[68:69]
; %bb.147:                              ;   in Loop: Header=BB129_6 Depth=1
	v_or_b32_e32 v18, 0x10000, v86
	v_cmp_eq_u32_sdwa vcc, v86, v19 src0_sel:WORD_0 src1_sel:DWORD
	s_nop 1
	v_cndmask_b32_e32 v18, v18, v86, vcc
; %bb.148:                              ;   in Loop: Header=BB129_6 Depth=1
	s_or_b64 exec, exec, s[68:69]
	v_and_b32_e32 v86, 0x7f800000, v87
	v_cmp_ne_u32_e32 vcc, s90, v86
                                        ; implicit-def: $vgpr86
	s_and_saveexec_b64 s[68:69], vcc
	s_xor_b64 s[68:69], exec, s[68:69]
; %bb.149:                              ;   in Loop: Header=BB129_6 Depth=1
	v_bfe_u32 v86, v87, 16, 1
	v_add3_u32 v86, v87, v86, s91
                                        ; implicit-def: $vgpr87
; %bb.150:                              ;   in Loop: Header=BB129_6 Depth=1
	s_andn2_saveexec_b64 s[68:69], s[68:69]
; %bb.151:                              ;   in Loop: Header=BB129_6 Depth=1
	v_or_b32_e32 v86, 0x10000, v87
	v_cmp_eq_u32_sdwa vcc, v87, v19 src0_sel:WORD_0 src1_sel:DWORD
	s_nop 1
	v_cndmask_b32_e32 v86, v86, v87, vcc
; %bb.152:                              ;   in Loop: Header=BB129_6 Depth=1
	s_or_b64 exec, exec, s[68:69]
	v_perm_b32 v18, v86, v18, s92
	ds_write_b32 v117, v18 offset:3168
	v_and_b32_e32 v18, 0x7f800000, v88
	v_cmp_ne_u32_e32 vcc, s90, v18
                                        ; implicit-def: $vgpr18
	s_and_saveexec_b64 s[68:69], vcc
	s_xor_b64 s[68:69], exec, s[68:69]
; %bb.153:                              ;   in Loop: Header=BB129_6 Depth=1
	v_bfe_u32 v18, v88, 16, 1
	v_add3_u32 v18, v88, v18, s91
; %bb.154:                              ;   in Loop: Header=BB129_6 Depth=1
	s_andn2_saveexec_b64 s[68:69], s[68:69]
; %bb.155:                              ;   in Loop: Header=BB129_6 Depth=1
	v_or_b32_e32 v18, 0x10000, v88
	v_cmp_eq_u32_sdwa vcc, v88, v19 src0_sel:WORD_0 src1_sel:DWORD
	s_nop 1
	v_cndmask_b32_e32 v18, v18, v88, vcc
; %bb.156:                              ;   in Loop: Header=BB129_6 Depth=1
	s_or_b64 exec, exec, s[68:69]
	v_and_b32_e32 v86, 0x7f800000, v89
	v_cmp_ne_u32_e32 vcc, s90, v86
                                        ; implicit-def: $vgpr86
	s_and_saveexec_b64 s[68:69], vcc
	s_xor_b64 s[68:69], exec, s[68:69]
; %bb.157:                              ;   in Loop: Header=BB129_6 Depth=1
	v_bfe_u32 v86, v89, 16, 1
	v_add3_u32 v86, v89, v86, s91
                                        ; implicit-def: $vgpr89
; %bb.158:                              ;   in Loop: Header=BB129_6 Depth=1
	s_andn2_saveexec_b64 s[68:69], s[68:69]
	s_cbranch_execz .LBB129_5
; %bb.159:                              ;   in Loop: Header=BB129_6 Depth=1
	v_or_b32_e32 v86, 0x10000, v89
	v_cmp_eq_u32_sdwa vcc, v89, v19 src0_sel:WORD_0 src1_sel:DWORD
	s_nop 1
	v_cndmask_b32_e32 v86, v86, v89, vcc
	s_branch .LBB129_5
.LBB129_160:
	s_or_b64 exec, exec, s[4:5]
	v_readlane_b32 s24, v119, 6
	v_readlane_b32 s26, v119, 9
	;; [unrolled: 1-line block ×5, first 2 shown]
.LBB129_161:
	v_readlane_b32 s0, v119, 4
	v_readlane_b32 s1, v119, 5
	s_or_b64 exec, exec, s[0:1]
	s_lshl_b64 s[0:1], s[26:27], 2
	v_readlane_b32 s4, v119, 0
	v_mul_u32_u24_e32 v0, 0x308, v115
	v_lshlrev_b32_e32 v1, 2, v114
	v_or_b32_e32 v2, 12, v17
	v_readlane_b32 s5, v119, 1
	s_add_u32 s4, s4, s0
	v_add3_u32 v0, 0, v0, v1
	v_and_b32_e32 v1, 0x3f0, v17
	v_and_b32_e32 v2, 0x3fc, v2
	s_addc_u32 s5, s5, s1
	v_add_u32_e32 v1, v0, v1
	v_add_u32_e32 v0, v0, v2
	s_barrier
	ds_write2_b32 v1, a0, a1 offset1:1
	ds_write_b32 v1, a2 offset:8
	ds_write_b32 v0, a3
	ds_write2_b32 v1, a4, a5 offset0:16 offset1:17
	ds_write_b32 v1, a6 offset:72
	ds_write_b32 v0, a7 offset:64
	ds_write2_b32 v1, a8, a9 offset0:32 offset1:33
	ds_write_b32 v1, a10 offset:136
	ds_write_b32 v0, a11 offset:128
	;; [unrolled: 3-line block ×3, first 2 shown]
	s_cmp_gt_i32 s14, 0
	v_add_u32_e32 v0, s2, v16
	s_cselect_b64 s[6:7], -1, 0
	v_cmp_gt_i32_e64 s[0:1], s33, v0
	v_cmp_gt_u32_e32 vcc, 14, v16
	s_and_b64 s[0:1], s[6:7], s[0:1]
	v_lshl_add_u32 v3, v17, 2, 0
	v_add_u32_e32 v2, s11, v17
	v_mul_u32_u24_e32 v4, 0x308, v16
	s_and_b64 s[8:9], vcc, s[0:1]
	s_waitcnt lgkmcnt(0)
	s_barrier
	s_and_saveexec_b64 s[0:1], s[8:9]
	v_readlane_b32 s14, v119, 2
	v_readlane_b32 s15, v119, 3
	s_cbranch_execz .LBB129_164
; %bb.162:
	v_ashrrev_i32_e32 v1, 31, v0
	v_lshl_add_u64 v[6:7], v[0:1], 2, s[4:5]
	global_load_dword v5, v[6:7], off
	s_waitcnt vmcnt(0)
	v_mul_hi_u32 v1, v5, s19
	v_add_u32_e32 v1, v5, v1
	v_lshrrev_b32_e32 v1, s24, v1
	v_cmp_gt_i32_e32 vcc, s13, v1
	s_and_b64 exec, exec, vcc
	s_cbranch_execz .LBB129_164
; %bb.163:
	v_add_u32_e32 v8, v3, v4
	ds_read2st64_b32 v[6:7], v8 offset1:1
	ds_read_b32 v8, v8 offset:512
	v_mul_lo_u32 v9, v1, s25
	v_sub_u32_e32 v5, v5, v9
	v_mul_lo_u32 v5, v5, s10
	s_waitcnt lgkmcnt(1)
	v_add_f32_e32 v6, 0, v6
	v_add_f32_e32 v6, v6, v7
	v_mul_lo_u32 v1, v1, s21
	s_waitcnt lgkmcnt(0)
	v_add_f32_e32 v8, v6, v8
	v_add3_u32 v6, v2, v1, v5
	v_mov_b32_e32 v7, 0
	v_lshl_add_u64 v[6:7], v[6:7], 2, s[14:15]
	global_store_dword v[6:7], v8, off
.LBB129_164:
	s_or_b64 exec, exec, s[0:1]
	v_add_u32_e32 v1, 3, v0
	v_cmp_gt_i32_e64 s[0:1], s33, v1
	v_cmp_gt_u32_e32 vcc, 11, v16
	s_and_b64 s[0:1], s[6:7], s[0:1]
	s_and_b64 s[8:9], vcc, s[0:1]
	s_and_saveexec_b64 s[0:1], s[8:9]
	s_cbranch_execz .LBB129_167
; %bb.165:
	s_ashr_i32 s3, s2, 31
	v_mov_b32_e32 v17, 0
	v_lshl_add_u64 v[6:7], v[16:17], 0, s[2:3]
	v_lshl_add_u64 v[6:7], v[6:7], 2, s[4:5]
	global_load_dword v5, v[6:7], off offset:12
	s_waitcnt vmcnt(0)
	v_mul_hi_u32 v1, v5, s19
	v_add_u32_e32 v1, v5, v1
	v_lshrrev_b32_e32 v1, s24, v1
	v_cmp_gt_i32_e32 vcc, s13, v1
	s_and_b64 exec, exec, vcc
	s_cbranch_execz .LBB129_167
; %bb.166:
	v_add_u32_e32 v8, v4, v3
	v_add_u32_e32 v6, 24, v8
	ds_read2st64_b32 v[6:7], v6 offset0:9 offset1:10
	ds_read_b32 v8, v8 offset:2840
	v_mul_lo_u32 v9, v1, s25
	v_sub_u32_e32 v5, v5, v9
	v_mul_lo_u32 v5, v5, s10
	s_waitcnt lgkmcnt(1)
	v_add_f32_e32 v6, 0, v6
	v_add_f32_e32 v6, v6, v7
	v_mul_lo_u32 v1, v1, s21
	s_waitcnt lgkmcnt(0)
	v_add_f32_e32 v8, v6, v8
	v_add3_u32 v6, v2, v1, v5
	v_mov_b32_e32 v7, v17
	v_lshl_add_u64 v[6:7], v[6:7], 2, s[14:15]
	global_store_dword v[6:7], v8, off
.LBB129_167:
	s_or_b64 exec, exec, s[0:1]
	v_add_u32_e32 v1, 6, v0
	v_cmp_gt_i32_e64 s[0:1], s33, v1
	v_cmp_gt_u32_e32 vcc, 8, v16
	s_and_b64 s[0:1], s[6:7], s[0:1]
	s_and_b64 s[8:9], vcc, s[0:1]
	s_and_saveexec_b64 s[0:1], s[8:9]
	s_cbranch_execz .LBB129_170
; %bb.168:
	s_ashr_i32 s3, s2, 31
	v_mov_b32_e32 v17, 0
	v_lshl_add_u64 v[6:7], v[16:17], 0, s[2:3]
	v_lshl_add_u64 v[6:7], v[6:7], 2, s[4:5]
	global_load_dword v5, v[6:7], off offset:24
	s_waitcnt vmcnt(0)
	v_mul_hi_u32 v1, v5, s19
	v_add_u32_e32 v1, v5, v1
	v_lshrrev_b32_e32 v1, s24, v1
	v_cmp_gt_i32_e32 vcc, s13, v1
	s_and_b64 exec, exec, vcc
	s_cbranch_execz .LBB129_170
; %bb.169:
	v_add_u32_e32 v8, v3, v4
	v_add_u32_e32 v6, 48, v8
	ds_read2st64_b32 v[6:7], v6 offset0:18 offset1:19
	ds_read_b32 v8, v8 offset:5168
	v_mul_lo_u32 v9, v1, s25
	v_sub_u32_e32 v5, v5, v9
	v_mul_lo_u32 v5, v5, s10
	s_waitcnt lgkmcnt(1)
	v_add_f32_e32 v6, 0, v6
	v_add_f32_e32 v6, v6, v7
	v_mul_lo_u32 v1, v1, s21
	s_waitcnt lgkmcnt(0)
	v_add_f32_e32 v8, v6, v8
	v_add3_u32 v6, v2, v1, v5
	v_mov_b32_e32 v7, v17
	v_lshl_add_u64 v[6:7], v[6:7], 2, s[14:15]
	global_store_dword v[6:7], v8, off
.LBB129_170:
	s_or_b64 exec, exec, s[0:1]
	v_add_u32_e32 v0, 9, v0
	v_cmp_gt_i32_e64 s[0:1], s33, v0
	v_cmp_gt_u32_e32 vcc, 5, v16
	s_and_b64 s[0:1], s[6:7], s[0:1]
	s_and_b64 s[8:9], vcc, s[0:1]
	s_and_saveexec_b64 s[0:1], s[8:9]
	s_cbranch_execz .LBB129_173
; %bb.171:
	s_ashr_i32 s3, s2, 31
	v_mov_b32_e32 v17, 0
	v_lshl_add_u64 v[0:1], v[16:17], 0, s[2:3]
	v_lshl_add_u64 v[0:1], v[0:1], 2, s[4:5]
	global_load_dword v1, v[0:1], off offset:36
	s_waitcnt vmcnt(0)
	v_mul_hi_u32 v0, v1, s19
	v_add_u32_e32 v0, v1, v0
	v_lshrrev_b32_e32 v0, s24, v0
	v_cmp_gt_i32_e32 vcc, s13, v0
	s_and_b64 exec, exec, vcc
	s_cbranch_execz .LBB129_173
; %bb.172:
	v_add_u32_e32 v6, v3, v4
	v_add_u32_e32 v4, 0x48, v6
	ds_read2st64_b32 v[4:5], v4 offset0:27 offset1:28
	ds_read_b32 v6, v6 offset:7496
	v_mul_lo_u32 v7, v0, s25
	v_sub_u32_e32 v1, v1, v7
	v_mul_lo_u32 v1, v1, s10
	s_waitcnt lgkmcnt(1)
	v_add_f32_e32 v4, 0, v4
	v_mul_lo_u32 v0, v0, s21
	v_add_f32_e32 v4, v4, v5
	v_add3_u32 v0, v2, v0, v1
	v_mov_b32_e32 v1, v17
	s_waitcnt lgkmcnt(0)
	v_add_f32_e32 v4, v4, v6
	v_lshl_add_u64 v[0:1], v[0:1], 2, s[14:15]
	global_store_dword v[0:1], v4, off
.LBB129_173:
	s_or_b64 exec, exec, s[0:1]
	v_cmp_gt_u32_e32 vcc, 2, v16
	s_and_saveexec_b64 s[0:1], vcc
	s_cbranch_execz .LBB129_177
; %bb.174:
	v_or_b32_e32 v0, 12, v16
	v_add_u32_e32 v1, s2, v0
	v_cmp_gt_i32_e32 vcc, s33, v1
	s_and_b64 s[0:1], s[6:7], vcc
	s_and_b64 exec, exec, s[0:1]
	s_cbranch_execz .LBB129_177
; %bb.175:
	s_ashr_i32 s3, s2, 31
	v_mov_b32_e32 v17, 0
	v_lshl_add_u64 v[4:5], v[16:17], 0, s[2:3]
	v_lshl_add_u64 v[4:5], v[4:5], 2, s[4:5]
	global_load_dword v4, v[4:5], off offset:48
	s_waitcnt vmcnt(0)
	v_mul_hi_u32 v1, v4, s19
	v_add_u32_e32 v1, v4, v1
	v_lshrrev_b32_e32 v1, s24, v1
	v_cmp_gt_i32_e32 vcc, s13, v1
	s_and_b64 exec, exec, vcc
	s_cbranch_execz .LBB129_177
; %bb.176:
	s_movk_i32 s0, 0x308
	v_mad_u32_u24 v0, v0, s0, v3
	ds_read2st64_b32 v[6:7], v0 offset1:1
	ds_read_b32 v0, v0 offset:512
	v_mul_lo_u32 v3, v1, s25
	v_sub_u32_e32 v3, v4, v3
	v_mul_lo_u32 v3, v3, s10
	s_waitcnt lgkmcnt(1)
	v_add_f32_e32 v4, 0, v6
	v_add_f32_e32 v4, v4, v7
	s_waitcnt lgkmcnt(0)
	v_add_f32_e32 v4, v4, v0
	v_mul_lo_u32 v0, v1, s21
	v_add3_u32 v16, v2, v0, v3
	v_lshl_add_u64 v[0:1], v[16:17], 2, s[14:15]
	global_store_dword v[0:1], v4, off
.LBB129_177:
	s_endpgm
	.section	.rodata,"a",@progbits
	.p2align	6, 0x0
	.amdhsa_kernel _ZL13mul_mat_f_idsI15__hip_bfloat162Li64ELi14ELi3EEvPKT_PKfPKiS7_S7_Pfiiiiiiiiiiiiii15HIP_vector_typeIjLj3EESA_
		.amdhsa_group_segment_fixed_size 0
		.amdhsa_private_segment_fixed_size 0
		.amdhsa_kernarg_size 128
		.amdhsa_user_sgpr_count 2
		.amdhsa_user_sgpr_dispatch_ptr 0
		.amdhsa_user_sgpr_queue_ptr 0
		.amdhsa_user_sgpr_kernarg_segment_ptr 1
		.amdhsa_user_sgpr_dispatch_id 0
		.amdhsa_user_sgpr_kernarg_preload_length 0
		.amdhsa_user_sgpr_kernarg_preload_offset 0
		.amdhsa_user_sgpr_private_segment_size 0
		.amdhsa_uses_dynamic_stack 0
		.amdhsa_enable_private_segment 0
		.amdhsa_system_sgpr_workgroup_id_x 1
		.amdhsa_system_sgpr_workgroup_id_y 1
		.amdhsa_system_sgpr_workgroup_id_z 1
		.amdhsa_system_sgpr_workgroup_info 0
		.amdhsa_system_vgpr_workitem_id 1
		.amdhsa_next_free_vgpr 136
		.amdhsa_next_free_sgpr 100
		.amdhsa_accum_offset 120
		.amdhsa_reserve_vcc 1
		.amdhsa_float_round_mode_32 0
		.amdhsa_float_round_mode_16_64 0
		.amdhsa_float_denorm_mode_32 3
		.amdhsa_float_denorm_mode_16_64 3
		.amdhsa_dx10_clamp 1
		.amdhsa_ieee_mode 1
		.amdhsa_fp16_overflow 0
		.amdhsa_tg_split 0
		.amdhsa_exception_fp_ieee_invalid_op 0
		.amdhsa_exception_fp_denorm_src 0
		.amdhsa_exception_fp_ieee_div_zero 0
		.amdhsa_exception_fp_ieee_overflow 0
		.amdhsa_exception_fp_ieee_underflow 0
		.amdhsa_exception_fp_ieee_inexact 0
		.amdhsa_exception_int_div_zero 0
	.end_amdhsa_kernel
	.section	.text._ZL13mul_mat_f_idsI15__hip_bfloat162Li64ELi14ELi3EEvPKT_PKfPKiS7_S7_Pfiiiiiiiiiiiiii15HIP_vector_typeIjLj3EESA_,"axG",@progbits,_ZL13mul_mat_f_idsI15__hip_bfloat162Li64ELi14ELi3EEvPKT_PKfPKiS7_S7_Pfiiiiiiiiiiiiii15HIP_vector_typeIjLj3EESA_,comdat
.Lfunc_end129:
	.size	_ZL13mul_mat_f_idsI15__hip_bfloat162Li64ELi14ELi3EEvPKT_PKfPKiS7_S7_Pfiiiiiiiiiiiiii15HIP_vector_typeIjLj3EESA_, .Lfunc_end129-_ZL13mul_mat_f_idsI15__hip_bfloat162Li64ELi14ELi3EEvPKT_PKfPKiS7_S7_Pfiiiiiiiiiiiiii15HIP_vector_typeIjLj3EESA_
                                        ; -- End function
	.section	.AMDGPU.csdata,"",@progbits
; Kernel info:
; codeLenInByte = 9584
; NumSgprs: 106
; NumVgprs: 120
; NumAgprs: 16
; TotalNumVgprs: 136
; ScratchSize: 0
; MemoryBound: 0
; FloatMode: 240
; IeeeMode: 1
; LDSByteSize: 0 bytes/workgroup (compile time only)
; SGPRBlocks: 13
; VGPRBlocks: 16
; NumSGPRsForWavesPerEU: 106
; NumVGPRsForWavesPerEU: 136
; AccumOffset: 120
; Occupancy: 3
; WaveLimiterHint : 1
; COMPUTE_PGM_RSRC2:SCRATCH_EN: 0
; COMPUTE_PGM_RSRC2:USER_SGPR: 2
; COMPUTE_PGM_RSRC2:TRAP_HANDLER: 0
; COMPUTE_PGM_RSRC2:TGID_X_EN: 1
; COMPUTE_PGM_RSRC2:TGID_Y_EN: 1
; COMPUTE_PGM_RSRC2:TGID_Z_EN: 1
; COMPUTE_PGM_RSRC2:TIDIG_COMP_CNT: 1
; COMPUTE_PGM_RSRC3_GFX90A:ACCUM_OFFSET: 29
; COMPUTE_PGM_RSRC3_GFX90A:TG_SPLIT: 0
	.section	.text._ZL9mul_mat_fI15__hip_bfloat162Li64ELi14ELi3ELb1EEvPKT_PKfPKiPfiiiiiiiiiiiiiiii,"axG",@progbits,_ZL9mul_mat_fI15__hip_bfloat162Li64ELi14ELi3ELb1EEvPKT_PKfPKiPfiiiiiiiiiiiiiiii,comdat
	.globl	_ZL9mul_mat_fI15__hip_bfloat162Li64ELi14ELi3ELb1EEvPKT_PKfPKiPfiiiiiiiiiiiiiiii ; -- Begin function _ZL9mul_mat_fI15__hip_bfloat162Li64ELi14ELi3ELb1EEvPKT_PKfPKiPfiiiiiiiiiiiiiiii
	.p2align	8
	.type	_ZL9mul_mat_fI15__hip_bfloat162Li64ELi14ELi3ELb1EEvPKT_PKfPKiPfiiiiiiiiiiiiiiii,@function
_ZL9mul_mat_fI15__hip_bfloat162Li64ELi14ELi3ELb1EEvPKT_PKfPKiPfiiiiiiiiiiiiiiii: ; @_ZL9mul_mat_fI15__hip_bfloat162Li64ELi14ELi3ELb1EEvPKT_PKfPKiPfiiiiiiiiiiiiiiii
; %bb.0:
	s_load_dwordx8 s[48:55], s[0:1], 0x20
	s_mov_b32 s24, s4
	v_and_b32_e32 v16, 0x3ff, v0
	v_bfe_u32 v17, v0, 10, 10
	s_waitcnt lgkmcnt(0)
	s_add_i32 s4, s49, 13
	s_mul_hi_i32 s5, s4, 0x92492493
	s_add_i32 s5, s5, s4
	s_lshr_b32 s4, s5, 31
	s_ashr_i32 s5, s5, 3
	s_add_i32 s5, s5, s4
	v_cvt_f32_u32_e32 v1, s5
	s_load_dword s4, s[0:1], 0x64
	s_add_u32 s14, s0, 0x60
	s_addc_u32 s15, s1, 0
	v_rcp_iflag_f32_e32 v1, v1
	s_sub_i32 s6, 0, s5
	s_load_dwordx4 s[56:59], s[0:1], 0x44
	s_load_dwordx2 s[8:9], s[0:1], 0x10
	v_mul_f32_e32 v1, 0x4f7ffffe, v1
	v_cvt_u32_f32_e32 v1, v1
	v_mul_lo_u32 v2, s6, v1
	v_mul_hi_u32 v2, v1, v2
	v_add_u32_e32 v1, v1, v2
	s_waitcnt lgkmcnt(0)
	v_mul_hi_u32 v1, s4, v1
	v_mul_lo_u32 v2, v1, s5
	v_sub_u32_e32 v2, s4, v2
	v_add_u32_e32 v3, 1, v1
	v_subrev_u32_e32 v4, s5, v2
	v_cmp_le_u32_e32 vcc, s5, v2
	s_nop 1
	v_cndmask_b32_e32 v1, v1, v3, vcc
	v_cndmask_b32_e32 v2, v2, v4, vcc
	v_add_u32_e32 v3, 1, v1
	v_cmp_le_u32_e32 vcc, s5, v2
	s_nop 1
	v_cndmask_b32_e32 v1, v1, v3, vcc
	v_cvt_f32_u32_e32 v2, v1
	v_sub_u32_e32 v3, 0, v1
	v_cmp_eq_u32_e32 vcc, 0, v16
	v_rcp_iflag_f32_e32 v2, v2
	s_nop 0
	v_mul_f32_e32 v2, 0x4f7ffffe, v2
	v_cvt_u32_f32_e32 v2, v2
	v_mul_lo_u32 v3, v3, v2
	v_mul_hi_u32 v3, v2, v3
	v_add_u32_e32 v2, v2, v3
	v_mul_hi_u32 v2, s3, v2
	s_and_saveexec_b64 s[6:7], vcc
	s_cbranch_execz .LBB130_2
; %bb.1:
	v_mov_b32_e32 v3, 0x100
	v_lshl_add_u32 v3, v17, 2, v3
	v_mov_b32_e32 v4, -1
	ds_write_b32 v3, v4
.LBB130_2:
	s_or_b64 exec, exec, s[6:7]
	v_mul_lo_u32 v3, v2, v1
	v_sub_u32_e32 v3, s3, v3
	v_add_u32_e32 v4, 1, v2
	v_sub_u32_e32 v5, v3, v1
	v_cmp_ge_u32_e64 s[6:7], v3, v1
	v_cmp_gt_i32_e64 s[10:11], s50, v16
	s_nop 0
	v_cndmask_b32_e64 v2, v2, v4, s[6:7]
	v_cndmask_b32_e64 v3, v3, v5, s[6:7]
	v_add_u32_e32 v4, 1, v2
	v_cmp_ge_u32_e64 s[6:7], v3, v1
	s_nop 1
	v_cndmask_b32_e64 v2, v2, v4, s[6:7]
	v_mul_lo_u32 v92, v2, 14
	v_mul_lo_u32 v1, v2, v1
	v_mul_hi_i32 v3, v92, s55
	v_mul_lo_u32 v2, v92, s55
	v_sub_u32_e32 v8, s3, v1
	v_lshlrev_b64 v[2:3], 2, v[2:3]
	v_add_u32_e32 v1, v17, v92
	v_lshl_add_u64 v[2:3], s[8:9], 0, v[2:3]
	v_cmp_gt_i32_e64 s[26:27], s49, v1
	v_mov_b32_e32 v1, 0
	s_and_saveexec_b64 s[12:13], s[26:27]
	s_cbranch_execz .LBB130_10
; %bb.3:
	v_mov_b32_e32 v1, 0
	s_and_saveexec_b64 s[16:17], s[10:11]
	s_cbranch_execz .LBB130_9
; %bb.4:
	v_mul_lo_u32 v4, v17, s55
	v_ashrrev_i32_e32 v5, 31, v4
	v_mov_b32_e32 v1, 0x100
	v_lshl_add_u64 v[4:5], v[4:5], 2, v[2:3]
	v_lshl_add_u32 v9, v17, 2, v1
	v_mul_lo_u32 v6, v16, s54
	s_lshl_b32 s3, s54, 6
	s_mov_b64 s[18:19], 0
	v_mov_b32_e32 v1, 0
	v_mov_b32_e32 v10, v16
	s_branch .LBB130_6
.LBB130_5:                              ;   in Loop: Header=BB130_6 Depth=1
	s_or_b64 exec, exec, s[20:21]
	v_add_u32_e32 v10, 64, v10
	v_cmp_le_i32_e64 s[8:9], s50, v10
	s_xor_b64 s[4:5], s[6:7], -1
	s_or_b64 s[4:5], s[4:5], s[8:9]
	s_and_b64 s[4:5], exec, s[4:5]
	s_or_b64 s[18:19], s[4:5], s[18:19]
	v_add_u32_e32 v6, s3, v6
	s_andn2_b64 exec, exec, s[18:19]
	s_cbranch_execz .LBB130_8
.LBB130_6:                              ; =>This Inner Loop Header: Depth=1
	v_ashrrev_i32_e32 v7, 31, v6
	v_lshl_add_u64 v[12:13], v[6:7], 2, v[4:5]
	global_load_dword v7, v[12:13], off
	s_waitcnt vmcnt(0)
	v_cmp_ne_u32_e64 s[6:7], v7, v8
	v_cmp_eq_u32_e64 s[8:9], v7, v8
	s_and_saveexec_b64 s[20:21], s[8:9]
	s_cbranch_execz .LBB130_5
; %bb.7:                                ;   in Loop: Header=BB130_6 Depth=1
	v_mov_b32_e32 v1, 1
	ds_write_b32 v9, v10
	s_branch .LBB130_5
.LBB130_8:
	s_or_b64 exec, exec, s[18:19]
.LBB130_9:
	s_or_b64 exec, exec, s[16:17]
.LBB130_10:
	s_or_b64 exec, exec, s[12:13]
	s_abs_i32 s3, s59
	s_and_saveexec_b64 s[6:7], vcc
	s_cbranch_execz .LBB130_12
; %bb.11:
	v_mov_b32_e32 v4, 0x100
	v_lshl_add_u32 v4, v17, 2, v4
	v_mov_b32_e32 v5, -1
	ds_write_b32 v4, v5 offset:12
.LBB130_12:
	s_or_b64 exec, exec, s[6:7]
	v_cvt_f32_u32_e32 v9, s3
	v_add_u32_e32 v93, 3, v17
	v_add_u32_e32 v4, v93, v92
	v_cmp_gt_i32_e64 s[4:5], s49, v4
	s_mov_b64 s[12:13], exec
                                        ; implicit-def: $vgpr108 : SGPR spill to VGPR lane
	s_nop 0
	v_writelane_b32 v108, s4, 0
	s_nop 1
	v_writelane_b32 v108, s5, 1
	s_and_b64 s[4:5], s[12:13], s[4:5]
	s_mov_b64 exec, s[4:5]
	s_cbranch_execz .LBB130_20
; %bb.13:
	s_and_saveexec_b64 s[16:17], s[10:11]
	s_cbranch_execz .LBB130_19
; %bb.14:
	v_mul_lo_u32 v4, v93, s55
	v_ashrrev_i32_e32 v5, 31, v4
	v_mov_b32_e32 v6, 0x100
	v_lshl_add_u64 v[4:5], v[4:5], 2, v[2:3]
	v_lshl_add_u32 v10, v17, 2, v6
	v_mul_lo_u32 v6, v16, s54
	s_lshl_b32 s4, s54, 6
	s_mov_b64 s[18:19], 0
	v_mov_b32_e32 v11, v16
	s_branch .LBB130_16
.LBB130_15:                             ;   in Loop: Header=BB130_16 Depth=1
	s_or_b64 exec, exec, s[20:21]
	v_add_u32_e32 v11, 64, v11
	v_cmp_le_i32_e64 s[8:9], s50, v11
	s_xor_b64 s[6:7], s[6:7], -1
	s_or_b64 s[6:7], s[6:7], s[8:9]
	s_and_b64 s[6:7], exec, s[6:7]
	s_or_b64 s[18:19], s[6:7], s[18:19]
	v_add_u32_e32 v6, s4, v6
	s_andn2_b64 exec, exec, s[18:19]
	s_cbranch_execz .LBB130_18
.LBB130_16:                             ; =>This Inner Loop Header: Depth=1
	v_ashrrev_i32_e32 v7, 31, v6
	v_lshl_add_u64 v[12:13], v[6:7], 2, v[4:5]
	global_load_dword v7, v[12:13], off
	s_waitcnt vmcnt(0)
	v_cmp_ne_u32_e64 s[6:7], v7, v8
	v_cmp_eq_u32_e64 s[8:9], v7, v8
	s_and_saveexec_b64 s[20:21], s[8:9]
	s_cbranch_execz .LBB130_15
; %bb.17:                               ;   in Loop: Header=BB130_16 Depth=1
	v_mov_b32_e32 v1, 1
	ds_write_b32 v10, v11 offset:12
	s_branch .LBB130_15
.LBB130_18:
	s_or_b64 exec, exec, s[18:19]
.LBB130_19:
	s_or_b64 exec, exec, s[16:17]
.LBB130_20:
	s_or_b64 exec, exec, s[12:13]
	v_rcp_iflag_f32_e32 v4, v9
	s_and_saveexec_b64 s[6:7], vcc
	s_cbranch_execz .LBB130_22
; %bb.21:
	v_mov_b32_e32 v5, 0x100
	v_lshl_add_u32 v5, v17, 2, v5
	v_mov_b32_e32 v6, -1
	ds_write_b32 v5, v6 offset:24
.LBB130_22:
	s_or_b64 exec, exec, s[6:7]
	v_add_u32_e32 v94, 6, v17
	v_mul_f32_e32 v9, 0x4f7ffffe, v4
	v_add_u32_e32 v4, v94, v92
	v_cmp_gt_i32_e64 s[4:5], s49, v4
	s_mov_b64 s[12:13], exec
	s_nop 0
	v_writelane_b32 v108, s4, 2
	s_nop 1
	v_writelane_b32 v108, s5, 3
	s_and_b64 s[4:5], s[12:13], s[4:5]
	s_mov_b64 exec, s[4:5]
	s_cbranch_execz .LBB130_30
; %bb.23:
	s_and_saveexec_b64 s[16:17], s[10:11]
	s_cbranch_execz .LBB130_29
; %bb.24:
	v_mul_lo_u32 v4, v94, s55
	v_ashrrev_i32_e32 v5, 31, v4
	v_mov_b32_e32 v6, 0x100
	v_lshl_add_u64 v[4:5], v[4:5], 2, v[2:3]
	v_lshl_add_u32 v10, v17, 2, v6
	v_mul_lo_u32 v6, v16, s54
	s_lshl_b32 s4, s54, 6
	s_mov_b64 s[18:19], 0
	v_mov_b32_e32 v11, v16
	s_branch .LBB130_26
.LBB130_25:                             ;   in Loop: Header=BB130_26 Depth=1
	s_or_b64 exec, exec, s[20:21]
	v_add_u32_e32 v11, 64, v11
	v_cmp_le_i32_e64 s[8:9], s50, v11
	s_xor_b64 s[6:7], s[6:7], -1
	s_or_b64 s[6:7], s[6:7], s[8:9]
	s_and_b64 s[6:7], exec, s[6:7]
	s_or_b64 s[18:19], s[6:7], s[18:19]
	v_add_u32_e32 v6, s4, v6
	s_andn2_b64 exec, exec, s[18:19]
	s_cbranch_execz .LBB130_28
.LBB130_26:                             ; =>This Inner Loop Header: Depth=1
	v_ashrrev_i32_e32 v7, 31, v6
	v_lshl_add_u64 v[12:13], v[6:7], 2, v[4:5]
	global_load_dword v7, v[12:13], off
	s_waitcnt vmcnt(0)
	v_cmp_ne_u32_e64 s[6:7], v7, v8
	v_cmp_eq_u32_e64 s[8:9], v7, v8
	s_and_saveexec_b64 s[20:21], s[8:9]
	s_cbranch_execz .LBB130_25
; %bb.27:                               ;   in Loop: Header=BB130_26 Depth=1
	v_mov_b32_e32 v1, 1
	ds_write_b32 v10, v11 offset:24
	s_branch .LBB130_25
.LBB130_28:
	s_or_b64 exec, exec, s[18:19]
.LBB130_29:
	s_or_b64 exec, exec, s[16:17]
.LBB130_30:
	s_or_b64 exec, exec, s[12:13]
	v_cvt_u32_f32_e32 v9, v9
	s_sub_i32 s4, 0, s3
	s_and_saveexec_b64 s[6:7], vcc
	s_cbranch_execz .LBB130_32
; %bb.31:
	v_mov_b32_e32 v4, 0x100
	v_lshl_add_u32 v4, v17, 2, v4
	v_mov_b32_e32 v5, -1
	ds_write_b32 v4, v5 offset:36
.LBB130_32:
	s_or_b64 exec, exec, s[6:7]
	v_add_u32_e32 v95, 9, v17
	v_mul_lo_u32 v10, s4, v9
	v_add_u32_e32 v4, v95, v92
	v_cmp_gt_i32_e64 s[4:5], s49, v4
	s_mov_b64 s[16:17], exec
	s_nop 0
	v_writelane_b32 v108, s4, 4
	s_nop 1
	v_writelane_b32 v108, s5, 5
	s_and_b64 s[4:5], s[16:17], s[4:5]
	s_mov_b64 exec, s[4:5]
	s_cbranch_execz .LBB130_40
; %bb.33:
	s_and_saveexec_b64 s[18:19], s[10:11]
	s_cbranch_execz .LBB130_39
; %bb.34:
	v_mul_lo_u32 v4, v95, s55
	v_ashrrev_i32_e32 v5, 31, v4
	v_mov_b32_e32 v6, 0x100
	v_lshl_add_u64 v[4:5], v[4:5], 2, v[2:3]
	v_lshl_add_u32 v11, v17, 2, v6
	v_mul_lo_u32 v6, v16, s54
	s_lshl_b32 s4, s54, 6
	s_mov_b64 s[20:21], 0
	v_mov_b32_e32 v12, v16
	s_branch .LBB130_36
.LBB130_35:                             ;   in Loop: Header=BB130_36 Depth=1
	s_or_b64 exec, exec, s[22:23]
	v_add_u32_e32 v12, 64, v12
	v_cmp_le_i32_e64 s[12:13], s50, v12
	s_xor_b64 s[6:7], s[8:9], -1
	s_or_b64 s[6:7], s[6:7], s[12:13]
	s_and_b64 s[6:7], exec, s[6:7]
	s_or_b64 s[20:21], s[6:7], s[20:21]
	v_add_u32_e32 v6, s4, v6
	s_andn2_b64 exec, exec, s[20:21]
	s_cbranch_execz .LBB130_38
.LBB130_36:                             ; =>This Inner Loop Header: Depth=1
	v_ashrrev_i32_e32 v7, 31, v6
	v_lshl_add_u64 v[14:15], v[6:7], 2, v[4:5]
	global_load_dword v7, v[14:15], off
	s_waitcnt vmcnt(0)
	v_cmp_ne_u32_e64 s[8:9], v7, v8
	v_cmp_eq_u32_e64 s[12:13], v7, v8
	s_and_saveexec_b64 s[22:23], s[12:13]
	s_cbranch_execz .LBB130_35
; %bb.37:                               ;   in Loop: Header=BB130_36 Depth=1
	v_mov_b32_e32 v1, 1
	ds_write_b32 v11, v12 offset:36
	s_branch .LBB130_35
.LBB130_38:
	s_or_b64 exec, exec, s[20:21]
.LBB130_39:
	s_or_b64 exec, exec, s[18:19]
.LBB130_40:
	s_or_b64 exec, exec, s[16:17]
	v_mul_hi_u32 v4, v9, v10
	s_and_saveexec_b64 s[8:9], vcc
	s_cbranch_execz .LBB130_42
; %bb.41:
	v_mov_b32_e32 v5, 0x100
	v_lshl_add_u32 v5, v17, 2, v5
	v_mov_b32_e32 v6, -1
	ds_write_b32 v5, v6 offset:48
.LBB130_42:
	s_or_b64 exec, exec, s[8:9]
	s_load_dwordx4 s[28:31], s[0:1], 0x54
	v_add_u32_e32 v96, 12, v17
	s_abs_i32 s4, s24
	v_add_u32_e32 v6, v9, v4
	v_add_u32_e32 v4, v96, v92
	v_cmp_gt_i32_e64 s[6:7], s49, v4
	s_mov_b64 s[12:13], exec
	s_nop 0
	v_writelane_b32 v108, s6, 6
	s_nop 1
	v_writelane_b32 v108, s7, 7
	s_and_b64 s[6:7], s[12:13], s[6:7]
	s_mov_b64 exec, s[6:7]
	s_cbranch_execz .LBB130_50
; %bb.43:
	s_and_saveexec_b64 s[16:17], s[10:11]
	s_cbranch_execz .LBB130_49
; %bb.44:
	v_mul_lo_u32 v4, v96, s55
	v_ashrrev_i32_e32 v5, 31, v4
	v_lshl_add_u64 v[2:3], v[4:5], 2, v[2:3]
	v_mov_b32_e32 v4, 0x100
	v_lshl_add_u32 v7, v17, 2, v4
	v_mul_lo_u32 v4, v16, s54
	s_lshl_b32 s5, s54, 6
	s_mov_b64 s[18:19], 0
	v_mov_b32_e32 v9, v16
	s_branch .LBB130_46
.LBB130_45:                             ;   in Loop: Header=BB130_46 Depth=1
	s_or_b64 exec, exec, s[20:21]
	v_add_u32_e32 v9, 64, v9
	v_cmp_le_i32_e64 s[10:11], s50, v9
	s_xor_b64 s[6:7], vcc, -1
	s_or_b64 s[6:7], s[6:7], s[10:11]
	s_and_b64 s[6:7], exec, s[6:7]
	s_or_b64 s[18:19], s[6:7], s[18:19]
	v_add_u32_e32 v4, s5, v4
	s_andn2_b64 exec, exec, s[18:19]
	s_cbranch_execz .LBB130_48
.LBB130_46:                             ; =>This Inner Loop Header: Depth=1
	v_ashrrev_i32_e32 v5, 31, v4
	v_lshl_add_u64 v[10:11], v[4:5], 2, v[2:3]
	global_load_dword v5, v[10:11], off
	s_waitcnt vmcnt(0)
	v_cmp_ne_u32_e32 vcc, v5, v8
	v_cmp_eq_u32_e64 s[10:11], v5, v8
	s_and_saveexec_b64 s[20:21], s[10:11]
	s_cbranch_execz .LBB130_45
; %bb.47:                               ;   in Loop: Header=BB130_46 Depth=1
	v_mov_b32_e32 v1, 1
	ds_write_b32 v7, v9 offset:48
	s_branch .LBB130_45
.LBB130_48:
	s_or_b64 exec, exec, s[18:19]
.LBB130_49:
	s_or_b64 exec, exec, s[16:17]
.LBB130_50:
	s_or_b64 exec, exec, s[12:13]
	s_load_dwordx2 s[6:7], s[14:15], 0xc
	s_load_dwordx2 s[12:13], s[0:1], 0x8
	;; [unrolled: 1-line block ×3, first 2 shown]
	v_cmp_ne_u32_e32 vcc, 0, v1
	v_mul_hi_u32 v2, s4, v6
	s_waitcnt lgkmcnt(0)
	s_and_b32 s5, s7, 0xffff
	v_cndmask_b32_e64 v1, 0, 1, vcc
	v_writelane_b32 v108, s8, 8
	s_lshr_b32 s7, s6, 16
	v_or_b32_dpp v1, v1, v1 row_shl:1 row_mask:0xf bank_mask:0xf bound_ctrl:1
	s_and_b32 s6, s6, 0xffff
	v_writelane_b32 v108, s9, 9
	v_or_b32_dpp v1, v1, v1 row_shl:2 row_mask:0xf bank_mask:0xf bound_ctrl:1
	s_mul_i32 s8, s7, s6
	s_bfe_i32 s8, s8, 0x180000
	v_or_b32_dpp v1, v1, v1 row_shl:4 row_mask:0xf bank_mask:0xf bound_ctrl:1
	s_mul_i32 s5, s8, s5
	s_add_i32 s8, s5, 63
	v_or_b32_dpp v1, v1, v1 row_shl:8 row_mask:0xf bank_mask:0xf bound_ctrl:1
	s_bitcmp1_b32 exec_hi, 0
                                        ; kill: killed $sgpr14 killed $sgpr15
	s_nop 0
	v_mov_b32_dpp v3, v1 wave_shl:1 row_mask:0xf bank_mask:0xf bound_ctrl:1
	s_nop 1
	v_or_b32_dpp v1, v3, v1 row_mirror row_mask:0xf bank_mask:0xf bound_ctrl:1
	s_nop 0
	v_readlane_b32 s5, v1, 32
	s_cselect_b32 s5, s5, 0
	v_readlane_b32 s9, v1, 0
	s_or_b32 s5, s5, s9
	s_andn2_b32 s8, s8, 63
	s_cmp_lg_u32 s8, 64
	v_mov_b32_e32 v1, s5
	s_cbranch_scc0 .LBB130_57
; %bb.51:
	v_bfe_u32 v0, v0, 20, 10
	v_mbcnt_lo_u32_b32 v1, -1, 0
	v_mad_u32_u24 v0, v0, s7, v17
	v_mbcnt_hi_u32_b32 v3, -1, v1
	v_mad_u64_u32 v[0:1], s[6:7], v0, s6, v[16:17]
	v_lshrrev_b32_e32 v1, 6, v0
	v_or_b32_e32 v1, v3, v1
	v_cmp_eq_u32_e32 vcc, 0, v1
	s_and_saveexec_b64 s[10:11], vcc
	s_cbranch_execz .LBB130_53
; %bb.52:
	v_mov_b32_e32 v1, 0
	v_mov_b32_e32 v4, s5
	ds_write_b32 v1, v4
.LBB130_53:
	s_or_b64 exec, exec, s[10:11]
	v_cmp_eq_u32_e32 vcc, 0, v3
	v_cmp_lt_u32_e64 s[10:11], 63, v0
	s_and_b64 s[6:7], s[10:11], vcc
	s_waitcnt lgkmcnt(0)
	s_barrier
	s_and_saveexec_b64 s[10:11], s[6:7]
	s_cbranch_execz .LBB130_56
; %bb.54:
	v_mbcnt_lo_u32_b32 v0, exec_lo, 0
	v_mbcnt_hi_u32_b32 v0, exec_hi, v0
	v_cmp_eq_u32_e32 vcc, 0, v0
	s_and_b64 exec, exec, vcc
	s_cbranch_execz .LBB130_56
; %bb.55:
	v_mov_b32_e32 v0, 0
	v_mov_b32_e32 v1, s5
	ds_or_b32 v0, v1
.LBB130_56:
	s_or_b64 exec, exec, s[10:11]
	v_mov_b32_e32 v0, 0
	s_waitcnt lgkmcnt(0)
	s_barrier
	ds_read_b32 v1, v0
	s_waitcnt lgkmcnt(0)
	s_barrier
.LBB130_57:
	s_load_dwordx2 s[10:11], s[0:1], 0x0
	v_cmp_ne_u32_e32 vcc, 0, v1
	s_ashr_i32 s5, s24, 31
	s_ashr_i32 s6, s59, 31
	s_cbranch_vccz .LBB130_237
; %bb.58:
	v_lshlrev_b32_e32 v97, 6, v17
	v_add_u32_e32 v99, v97, v16
	v_cmp_le_i32_e32 vcc, s48, v99
	v_and_b32_e32 v98, 15, v16
                                        ; implicit-def: $sgpr7
	s_and_saveexec_b64 s[0:1], vcc
	s_xor_b64 s[0:1], exec, s[0:1]
; %bb.59:
	v_and_b32_e32 v98, 15, v16
	s_mov_b32 s7, 0
                                        ; implicit-def: $vgpr99
                                        ; implicit-def: $vgpr2
                                        ; implicit-def: $vgpr8
; %bb.60:
	s_or_saveexec_b64 s[0:1], s[0:1]
	s_lshl_b32 s8, s2, 6
	v_accvgpr_write_b32 a0, s7
	v_accvgpr_write_b32 a1, s7
	;; [unrolled: 1-line block ×16, first 2 shown]
	v_writelane_b32 v108, s0, 10
	s_nop 1
	v_writelane_b32 v108, s1, 11
	s_xor_b64 exec, exec, s[0:1]
	s_cbranch_execz .LBB130_218
; %bb.61:
	v_mul_lo_u32 v0, v2, s3
	v_sub_u32_e32 v0, s4, v0
	v_add_u32_e32 v1, 1, v2
	v_subrev_u32_e32 v3, s3, v0
	v_cmp_le_u32_e32 vcc, s3, v0
	s_xor_b32 s0, s5, s6
	v_writelane_b32 v108, s26, 12
	v_cndmask_b32_e32 v1, v2, v1, vcc
	v_cndmask_b32_e32 v0, v0, v3, vcc
	v_add_u32_e32 v2, 1, v1
	v_cmp_le_u32_e32 vcc, s3, v0
	v_writelane_b32 v108, s27, 13
	v_writelane_b32 v108, s8, 14
	v_cndmask_b32_e32 v0, v1, v2, vcc
	v_xor_b32_e32 v0, s0, v0
	v_subrev_u32_e32 v0, s0, v0
	v_mul_hi_i32 v1, v0, s28
	v_mul_lo_u32 v0, v0, s28
	v_mul_lo_u32 v2, v8, s56
	v_ashrrev_i32_e32 v3, 31, v2
	s_mul_i32 s0, s8, s51
	v_lshlrev_b64 v[0:1], 2, v[0:1]
	s_movk_i32 s2, 0x1080
	v_mov_b32_e32 v100, 0x100
	v_writelane_b32 v108, s24, 15
	s_waitcnt lgkmcnt(0)
	v_lshl_add_u64 v[4:5], s[10:11], 0, v[0:1]
	v_lshlrev_b64 v[2:3], 2, v[2:3]
	s_ashr_i32 s1, s0, 31
	v_mad_u32_u24 v6, v17, s2, v100
	s_mul_hi_i32 s3, s29, s24
	v_writelane_b32 v108, s28, 16
	s_mul_i32 s2, s29, s24
	v_lshl_add_u64 v[4:5], v[4:5], 0, v[2:3]
	s_lshl_b64 s[0:1], s[0:1], 2
	s_lshl_b64 s[2:3], s[2:3], 2
	v_lshl_add_u64 v[18:19], v[4:5], 0, s[0:1]
	v_writelane_b32 v108, s29, 17
	v_mul_hi_i32 v5, s52, v92
	v_mul_lo_u32 v4, s52, v92
	s_add_u32 s2, s12, s2
	v_writelane_b32 v108, s30, 18
	v_lshlrev_b64 v[4:5], 3, v[4:5]
	s_addc_u32 s3, s13, s3
	v_writelane_b32 v108, s31, 19
	v_lshl_add_u64 v[20:21], s[2:3], 0, v[4:5]
	s_lshl_b32 s2, s52, 3
	v_writelane_b32 v108, s2, 20
	s_mul_i32 s2, s52, 6
	v_writelane_b32 v108, s2, 21
	s_lshl_b32 s2, s52, 4
	v_writelane_b32 v108, s2, 22
	s_mul_i32 s2, s52, 10
	v_writelane_b32 v108, s2, 23
	s_mul_i32 s2, s52, 12
	v_writelane_b32 v108, s2, 24
	v_lshl_add_u64 v[0:1], v[0:1], 0, s[0:1]
	s_mul_i32 s0, s52, 26
	v_writelane_b32 v108, s0, 25
	s_mul_i32 s0, s52, 24
	v_writelane_b32 v108, s0, 26
	;; [unrolled: 2-line block ×6, first 2 shown]
	s_lshl_b32 s0, s52, 1
	v_writelane_b32 v108, s0, 31
	s_mul_i32 s0, s51, 3
	v_writelane_b32 v108, s0, 32
	s_mul_i32 s0, s51, 5
	;; [unrolled: 2-line block ×4, first 2 shown]
	v_lshrrev_b32_e32 v5, 1, v16
	v_writelane_b32 v108, s0, 35
	s_mul_i32 s0, s51, 9
	v_mul_u32_u24_e32 v4, 0x108, v98
	v_and_b32_e32 v5, 0x1f8, v5
	v_lshlrev_b32_e32 v22, 1, v16
	v_lshl_add_u64 v[0:1], v[0:1], 0, v[2:3]
	v_writelane_b32 v108, s0, 36
	s_mul_i32 s0, s51, 10
	v_lshl_add_u32 v101, v16, 2, v6
	v_add3_u32 v102, v6, v4, v5
	v_or_b32_e32 v4, 1, v92
	v_add_u32_e32 v5, 2, v92
	s_lshl_b32 s50, s52, 2
	v_add_u32_e32 v6, 3, v92
	v_add_u32_e32 v7, 4, v92
	v_add_u32_e32 v8, 5, v92
	v_add_u32_e32 v9, 6, v92
	v_add_u32_e32 v10, 7, v92
	v_add_u32_e32 v11, 8, v92
	v_add_u32_e32 v12, 9, v92
	v_add_u32_e32 v13, 10, v92
	v_add_u32_e32 v14, 11, v92
	v_add_u32_e32 v15, 12, v92
	v_add_u32_e32 v26, 13, v92
	s_ashr_i32 s3, s51, 31
	s_mov_b32 s2, s51
	v_lshl_add_u32 v103, v17, 7, v22
	v_lshlrev_b32_e32 v22, 2, v99
	v_mov_b32_e32 v23, 0
	v_lshl_add_u64 v[0:1], s[10:11], 0, v[0:1]
	v_writelane_b32 v108, s0, 37
	s_mul_i32 s0, s51, 11
	s_lshl_b64 s[2:3], s[2:3], 2
	v_lshl_add_u64 v[24:25], v[0:1], 0, v[22:23]
	s_lshl_b32 s72, s51, 1
	s_lshl_b32 s74, s51, 2
	;; [unrolled: 1-line block ×3, first 2 shown]
	v_writelane_b32 v108, s0, 38
	s_mul_i32 s82, s51, 12
	s_mul_i32 s83, s51, 13
	;; [unrolled: 1-line block ×4, first 2 shown]
	s_lshl_b32 s86, s51, 4
	s_mul_i32 s87, s51, 17
	s_mul_i32 s88, s51, 18
	;; [unrolled: 1-line block ×15, first 2 shown]
	s_lshl_b32 s5, s51, 5
	s_mul_i32 s62, s51, 33
	s_mul_i32 s59, s51, 34
	s_mul_i32 s64, s51, 35
	s_mul_i32 s65, s51, 36
	s_mul_i32 s66, s51, 37
	s_mul_i32 s67, s51, 38
	s_mul_i32 s68, s51, 39
	s_mul_i32 s69, s51, 40
	s_mul_i32 s70, s51, 41
	s_mul_i32 s71, s51, 42
	v_cmp_gt_i32_e64 s[10:11], s49, v92
	s_mul_i32 s0, s51, 43
	s_mul_i32 s1, s51, 44
	v_accvgpr_write_b32 a15, 0
	v_accvgpr_write_b32 a14, 0
	;; [unrolled: 1-line block ×16, first 2 shown]
	s_mul_i32 s8, s51, 45
	s_mul_i32 s9, s51, 46
	;; [unrolled: 1-line block ×19, first 2 shown]
	s_mov_b32 s79, 0x7f800000
	s_movk_i32 s80, 0x7fff
	s_mov_b32 s81, 0x7060302
	v_cmp_gt_i32_e64 s[12:13], s49, v4
	v_cmp_gt_i32_e64 s[14:15], s49, v5
	;; [unrolled: 1-line block ×13, first 2 shown]
	s_mov_b32 s49, s50
	s_mov_b64 s[50:51], 0
	s_mov_b64 s[54:55], 0x300
	s_branch .LBB130_63
.LBB130_62:                             ;   in Loop: Header=BB130_63 Depth=1
	s_or_b64 exec, exec, s[60:61]
	v_perm_b32 v22, v90, v22, s81
	v_add_u32_e32 v90, 0xc00, v101
	ds_write2_b32 v90, v22, v23 offset0:106 offset1:172
	ds_write_b32 v101, v23 offset:4024
	ds_read2_b64 v[104:107], v102 offset0:8 offset1:12
	v_accvgpr_write_b32 a0, v0
	v_accvgpr_write_b32 a4, v4
	;; [unrolled: 1-line block ×16, first 2 shown]
	s_waitcnt lgkmcnt(0)
	v_mfma_f32_16x16x16_bf16 a[0:3], v[32:33], v[104:105], a[0:3]
	ds_read2_b64 v[0:3], v102 offset0:16 offset1:20
	v_add_u32_e32 v99, 0xc0, v99
	v_cmp_le_i32_e32 vcc, s48, v99
	v_mfma_f32_16x16x16_bf16 a[4:7], v[58:59], v[104:105], a[4:7]
	v_add_u32_e32 v103, 0x180, v103
	v_lshl_add_u64 v[24:25], v[24:25], 0, s[54:55]
	s_or_b64 s[50:51], vcc, s[50:51]
	v_mfma_f32_16x16x16_bf16 a[8:11], v[72:73], v[104:105], a[8:11]
	v_mfma_f32_16x16x16_bf16 a[12:15], v[88:89], v[104:105], a[12:15]
	;; [unrolled: 1-line block ×6, first 2 shown]
	s_waitcnt lgkmcnt(0)
	v_mfma_f32_16x16x16_bf16 a[0:3], v[28:29], v[0:1], a[0:3]
	v_mfma_f32_16x16x16_bf16 a[4:7], v[52:53], v[0:1], a[4:7]
	;; [unrolled: 1-line block ×8, first 2 shown]
	ds_read2_b64 v[0:3], v102 offset0:24 offset1:28
	s_waitcnt lgkmcnt(0)
	v_mfma_f32_16x16x16_bf16 a[0:3], v[40:41], v[0:1], a[0:3]
	v_mfma_f32_16x16x16_bf16 a[4:7], v[48:49], v[0:1], a[4:7]
	;; [unrolled: 1-line block ×8, first 2 shown]
	ds_read2_b64 v[0:3], v102 offset0:32 offset1:36
	s_waitcnt lgkmcnt(0)
	v_mfma_f32_16x16x16_bf16 a[0:3], v[36:37], v[0:1], a[0:3]
	v_mfma_f32_16x16x16_bf16 a[4:7], v[44:45], v[0:1], a[4:7]
	;; [unrolled: 1-line block ×8, first 2 shown]
	s_andn2_b64 exec, exec, s[50:51]
	s_cbranch_execz .LBB130_217
.LBB130_63:                             ; =>This Inner Loop Header: Depth=1
	v_readlane_b32 s60, v108, 32
	v_lshl_add_u64 v[0:1], v[24:25], 0, s[2:3]
	global_load_dword v22, v[24:25], off
	global_load_dword v26, v[0:1], off
	v_add_u32_e32 v2, s60, v99
	v_readlane_b32 s60, v108, 33
	v_add_u32_e32 v0, s72, v99
	v_add_u32_e32 v4, s74, v99
	;; [unrolled: 1-line block ×3, first 2 shown]
	v_readlane_b32 s60, v108, 34
	v_add_u32_e32 v12, s78, v99
	v_ashrrev_i32_e32 v1, 31, v0
	v_add_u32_e32 v8, s60, v99
	v_readlane_b32 s60, v108, 35
	v_ashrrev_i32_e32 v5, 31, v4
	v_ashrrev_i32_e32 v7, 31, v6
	v_add_u32_e32 v10, s60, v99
	v_readlane_b32 s60, v108, 36
	v_ashrrev_i32_e32 v13, 31, v12
	v_lshl_add_u64 v[0:1], v[0:1], 2, v[18:19]
	v_add_u32_e32 v14, s60, v99
	v_ashrrev_i32_e32 v3, 31, v2
	v_lshl_add_u64 v[4:5], v[4:5], 2, v[18:19]
	v_lshl_add_u64 v[6:7], v[6:7], 2, v[18:19]
	v_ashrrev_i32_e32 v9, 31, v8
	v_ashrrev_i32_e32 v11, 31, v10
	v_lshl_add_u64 v[12:13], v[12:13], 2, v[18:19]
	v_ashrrev_i32_e32 v15, 31, v14
	v_readlane_b32 s60, v108, 37
	v_lshl_add_u64 v[2:3], v[2:3], 2, v[18:19]
	v_lshl_add_u64 v[8:9], v[8:9], 2, v[18:19]
	v_lshl_add_u64 v[10:11], v[10:11], 2, v[18:19]
	v_lshl_add_u64 v[14:15], v[14:15], 2, v[18:19]
	global_load_dword v27, v[0:1], off
	global_load_dword v28, v[2:3], off
	;; [unrolled: 1-line block ×6, first 2 shown]
	s_nop 0
	global_load_dword v12, v[12:13], off
	s_nop 0
	global_load_dword v13, v[14:15], off
	v_add_u32_e32 v0, s60, v99
	v_readlane_b32 s60, v108, 38
	v_add_u32_e32 v4, s82, v99
	v_add_u32_e32 v6, s83, v99
	v_ashrrev_i32_e32 v1, 31, v0
	v_add_u32_e32 v2, s60, v99
	v_ashrrev_i32_e32 v5, 31, v4
	v_ashrrev_i32_e32 v7, 31, v6
	v_add_u32_e32 v8, s84, v99
	v_add_u32_e32 v10, s85, v99
	v_lshl_add_u64 v[0:1], v[0:1], 2, v[18:19]
	v_ashrrev_i32_e32 v3, 31, v2
	v_lshl_add_u64 v[4:5], v[4:5], 2, v[18:19]
	v_lshl_add_u64 v[6:7], v[6:7], 2, v[18:19]
	v_ashrrev_i32_e32 v9, 31, v8
	v_ashrrev_i32_e32 v11, 31, v10
	v_lshl_add_u64 v[2:3], v[2:3], 2, v[18:19]
	v_lshl_add_u64 v[8:9], v[8:9], 2, v[18:19]
	;; [unrolled: 1-line block ×3, first 2 shown]
	global_load_dword v14, v[0:1], off
	global_load_dword v15, v[2:3], off
	s_nop 0
	global_load_dword v4, v[4:5], off
	s_nop 0
	;; [unrolled: 2-line block ×3, first 2 shown]
	global_load_dword v6, v[8:9], off
	global_load_dword v7, v[10:11], off
	v_add_u32_e32 v0, s86, v99
	v_add_u32_e32 v2, s87, v99
	v_ashrrev_i32_e32 v1, 31, v0
	v_ashrrev_i32_e32 v3, 31, v2
	v_lshl_add_u64 v[0:1], v[0:1], 2, v[18:19]
	v_lshl_add_u64 v[2:3], v[2:3], 2, v[18:19]
	global_load_dword v42, v[0:1], off
	global_load_dword v43, v[2:3], off
	v_add_u32_e32 v0, s88, v99
	v_ashrrev_i32_e32 v1, 31, v0
	v_add_u32_e32 v2, s89, v99
	v_add_u32_e32 v8, s92, v99
	;; [unrolled: 1-line block ×3, first 2 shown]
	v_lshl_add_u64 v[0:1], v[0:1], 2, v[18:19]
	v_ashrrev_i32_e32 v3, 31, v2
	v_ashrrev_i32_e32 v9, 31, v8
	;; [unrolled: 1-line block ×3, first 2 shown]
	v_lshl_add_u64 v[2:3], v[2:3], 2, v[18:19]
	v_lshl_add_u64 v[8:9], v[8:9], 2, v[18:19]
	v_lshl_add_u64 v[10:11], v[10:11], 2, v[18:19]
	s_andn2_b64 vcc, exec, s[10:11]
	s_waitcnt vmcnt(17)
	ds_write_b32 v101, v22 offset:64
	s_waitcnt vmcnt(16)
	ds_write_b32 v101, v26 offset:328
	;; [unrolled: 2-line block ×16, first 2 shown]
	v_add_u32_e32 v4, s90, v99
	v_add_u32_e32 v6, s91, v99
	;; [unrolled: 1-line block ×4, first 2 shown]
	v_ashrrev_i32_e32 v5, 31, v4
	v_ashrrev_i32_e32 v7, 31, v6
	;; [unrolled: 1-line block ×4, first 2 shown]
	ds_read_b64 v[32:33], v102 offset:64
	ds_read_b64 v[30:31], v102 offset:96
	;; [unrolled: 1-line block ×4, first 2 shown]
	v_lshl_add_u64 v[4:5], v[4:5], 2, v[18:19]
	v_lshl_add_u64 v[6:7], v[6:7], 2, v[18:19]
	v_lshl_add_u64 v[12:13], v[12:13], 2, v[18:19]
	v_lshl_add_u64 v[14:15], v[14:15], 2, v[18:19]
	global_load_dword v22, v[0:1], off
	global_load_dword v44, v[2:3], off
	global_load_dword v45, v[4:5], off
	global_load_dword v46, v[6:7], off
	global_load_dword v47, v[8:9], off
	global_load_dword v48, v[10:11], off
	global_load_dword v49, v[12:13], off
	global_load_dword v50, v[14:15], off
	v_add_u32_e32 v0, s96, v99
	v_ashrrev_i32_e32 v1, 31, v0
	v_add_u32_e32 v2, s97, v99
	v_add_u32_e32 v4, s98, v99
	v_add_u32_e32 v6, s99, v99
	v_add_u32_e32 v8, s46, v99
	v_add_u32_e32 v10, s47, v99
	v_add_u32_e32 v12, s5, v99
	v_add_u32_e32 v14, s62, v99
	v_lshl_add_u64 v[0:1], v[0:1], 2, v[18:19]
	v_ashrrev_i32_e32 v3, 31, v2
	v_ashrrev_i32_e32 v5, 31, v4
	v_ashrrev_i32_e32 v7, 31, v6
	v_ashrrev_i32_e32 v9, 31, v8
	v_ashrrev_i32_e32 v11, 31, v10
	v_ashrrev_i32_e32 v13, 31, v12
	v_ashrrev_i32_e32 v15, 31, v14
	v_lshl_add_u64 v[2:3], v[2:3], 2, v[18:19]
	v_lshl_add_u64 v[4:5], v[4:5], 2, v[18:19]
	v_lshl_add_u64 v[6:7], v[6:7], 2, v[18:19]
	v_lshl_add_u64 v[8:9], v[8:9], 2, v[18:19]
	v_lshl_add_u64 v[10:11], v[10:11], 2, v[18:19]
	v_lshl_add_u64 v[12:13], v[12:13], 2, v[18:19]
	v_lshl_add_u64 v[14:15], v[14:15], 2, v[18:19]
	global_load_dword v51, v[0:1], off
	global_load_dword v52, v[2:3], off
	global_load_dword v53, v[4:5], off
	global_load_dword v54, v[6:7], off
	global_load_dword v55, v[8:9], off
	global_load_dword v56, v[10:11], off
	global_load_dword v60, v[12:13], off
	global_load_dword v61, v[14:15], off
	v_add_u32_e32 v0, s59, v99
	v_ashrrev_i32_e32 v1, 31, v0
	v_add_u32_e32 v2, s64, v99
	v_add_u32_e32 v4, s65, v99
	v_add_u32_e32 v6, s66, v99
	v_add_u32_e32 v8, s67, v99
	v_add_u32_e32 v10, s68, v99
	v_add_u32_e32 v12, s69, v99
	v_add_u32_e32 v14, s70, v99
	v_lshl_add_u64 v[0:1], v[0:1], 2, v[18:19]
	v_ashrrev_i32_e32 v3, 31, v2
	v_ashrrev_i32_e32 v5, 31, v4
	v_ashrrev_i32_e32 v7, 31, v6
	v_ashrrev_i32_e32 v9, 31, v8
	v_ashrrev_i32_e32 v11, 31, v10
	v_ashrrev_i32_e32 v13, 31, v12
	v_ashrrev_i32_e32 v15, 31, v14
	v_lshl_add_u64 v[2:3], v[2:3], 2, v[18:19]
	v_lshl_add_u64 v[4:5], v[4:5], 2, v[18:19]
	v_lshl_add_u64 v[6:7], v[6:7], 2, v[18:19]
	;; [unrolled: 32-line block ×4, first 2 shown]
	v_lshl_add_u64 v[8:9], v[8:9], 2, v[18:19]
	v_lshl_add_u64 v[10:11], v[10:11], 2, v[18:19]
	;; [unrolled: 1-line block ×4, first 2 shown]
	global_load_dword v78, v[0:1], off
	global_load_dword v79, v[2:3], off
	;; [unrolled: 1-line block ×8, first 2 shown]
	v_add_u32_e32 v0, s52, v99
	v_ashrrev_i32_e32 v1, 31, v0
	v_add_u32_e32 v2, s73, v99
	v_add_u32_e32 v4, s4, v99
	;; [unrolled: 1-line block ×5, first 2 shown]
	v_lshl_add_u64 v[0:1], v[0:1], 2, v[18:19]
	v_ashrrev_i32_e32 v3, 31, v2
	v_ashrrev_i32_e32 v5, 31, v4
	;; [unrolled: 1-line block ×5, first 2 shown]
	v_lshl_add_u64 v[2:3], v[2:3], 2, v[18:19]
	v_lshl_add_u64 v[4:5], v[4:5], 2, v[18:19]
	;; [unrolled: 1-line block ×5, first 2 shown]
	global_load_dword v86, v[0:1], off
	global_load_dword v87, v[2:3], off
	global_load_dword v88, v[4:5], off
	global_load_dword v89, v[6:7], off
	global_load_dword v90, v[8:9], off
	global_load_dword v91, v[10:11], off
	ds_read_b64 v[40:41], v102 offset:192
	ds_read_b64 v[38:39], v102 offset:224
	ds_read_b64 v[36:37], v102 offset:256
	ds_read_b64 v[34:35], v102 offset:288
	s_waitcnt vmcnt(47)
	ds_write_b32 v101, v42 offset:64
	s_waitcnt vmcnt(46)
	ds_write_b32 v101, v43 offset:328
	s_waitcnt vmcnt(45)
	ds_write_b32 v101, v22 offset:592
	s_waitcnt vmcnt(44)
	ds_write_b32 v101, v44 offset:856
	s_waitcnt vmcnt(43)
	ds_write_b32 v101, v45 offset:1120
	s_waitcnt vmcnt(42)
	ds_write_b32 v101, v46 offset:1384
	s_waitcnt vmcnt(41)
	ds_write_b32 v101, v47 offset:1648
	s_waitcnt vmcnt(40)
	ds_write_b32 v101, v48 offset:1912
	s_waitcnt vmcnt(39)
	ds_write_b32 v101, v49 offset:2176
	s_waitcnt vmcnt(38)
	ds_write_b32 v101, v50 offset:2440
	s_waitcnt vmcnt(37)
	ds_write_b32 v101, v51 offset:2704
	s_waitcnt vmcnt(36)
	ds_write_b32 v101, v52 offset:2968
	s_waitcnt vmcnt(35)
	ds_write_b32 v101, v53 offset:3232
	s_waitcnt vmcnt(34)
	ds_write_b32 v101, v54 offset:3496
	s_waitcnt vmcnt(33)
	ds_write_b32 v101, v55 offset:3760
	s_waitcnt vmcnt(32)
	ds_write_b32 v101, v56 offset:4024
	ds_read_b64 v[58:59], v102 offset:64
	ds_read_b64 v[56:57], v102 offset:96
	ds_read_b64 v[52:53], v102 offset:128
	ds_read_b64 v[50:51], v102 offset:160
	ds_read_b64 v[48:49], v102 offset:192
	ds_read_b64 v[46:47], v102 offset:224
	ds_read_b64 v[44:45], v102 offset:256
	ds_read_b64 v[42:43], v102 offset:288
	s_waitcnt vmcnt(31)
	ds_write_b32 v101, v60 offset:64
	s_waitcnt vmcnt(30)
	ds_write_b32 v101, v61 offset:328
	s_waitcnt vmcnt(29)
	ds_write_b32 v101, v62 offset:592
	s_waitcnt vmcnt(28)
	ds_write_b32 v101, v63 offset:856
	s_waitcnt vmcnt(27)
	ds_write_b32 v101, v64 offset:1120
	s_waitcnt vmcnt(26)
	ds_write_b32 v101, v65 offset:1384
	s_waitcnt vmcnt(25)
	ds_write_b32 v101, v66 offset:1648
	s_waitcnt vmcnt(24)
	ds_write_b32 v101, v67 offset:1912
	s_waitcnt vmcnt(23)
	ds_write_b32 v101, v68 offset:2176
	s_waitcnt vmcnt(22)
	ds_write_b32 v101, v69 offset:2440
	s_waitcnt vmcnt(21)
	ds_write_b32 v101, v70 offset:2704
	s_waitcnt vmcnt(20)
	ds_write_b32 v101, v71 offset:2968
	s_waitcnt vmcnt(19)
	ds_write_b32 v101, v72 offset:3232
	s_waitcnt vmcnt(18)
	ds_write_b32 v101, v73 offset:3496
	s_waitcnt vmcnt(17)
	ds_write_b32 v101, v74 offset:3760
	s_waitcnt vmcnt(16)
	ds_write_b32 v101, v75 offset:4024
	ds_read_b64 v[72:73], v102 offset:64
	ds_read_b64 v[70:71], v102 offset:96
	ds_read_b64 v[68:69], v102 offset:128
	ds_read_b64 v[66:67], v102 offset:160
	;; [unrolled: 40-line block ×3, first 2 shown]
	ds_read_b64 v[84:85], v102 offset:192
	ds_read_b64 v[80:81], v102 offset:224
	;; [unrolled: 1-line block ×4, first 2 shown]
	v_accvgpr_read_b32 v3, a15
	v_accvgpr_read_b32 v2, a14
	;; [unrolled: 1-line block ×16, first 2 shown]
	v_mov_b32_e32 v90, 0
	v_mov_b32_e32 v91, 0
	s_cbranch_vccnz .LBB130_66
; %bb.64:                               ;   in Loop: Header=BB130_63 Depth=1
	ds_read_b32 v22, v100
	v_mov_b32_e32 v91, 0
	v_mov_b32_e32 v90, 0
	s_waitcnt lgkmcnt(0)
	v_cmp_gt_i32_e32 vcc, 0, v22
	s_cbranch_vccnz .LBB130_66
; %bb.65:                               ;   in Loop: Header=BB130_63 Depth=1
	v_mul_lo_u32 v22, v22, s57
	v_add_u32_e32 v90, v103, v22
	v_ashrrev_i32_e32 v91, 31, v90
	v_lshl_add_u64 v[90:91], v[90:91], 2, v[20:21]
	global_load_dwordx2 v[90:91], v[90:91], off
.LBB130_66:                             ;   in Loop: Header=BB130_63 Depth=1
	s_waitcnt vmcnt(0)
	v_and_b32_e32 v22, 0x7f800000, v90
	v_cmp_ne_u32_e32 vcc, s79, v22
                                        ; implicit-def: $vgpr22
	s_and_saveexec_b64 s[60:61], vcc
	s_xor_b64 s[60:61], exec, s[60:61]
; %bb.67:                               ;   in Loop: Header=BB130_63 Depth=1
	v_bfe_u32 v22, v90, 16, 1
	v_add3_u32 v22, v90, v22, s80
; %bb.68:                               ;   in Loop: Header=BB130_63 Depth=1
	s_andn2_saveexec_b64 s[60:61], s[60:61]
; %bb.69:                               ;   in Loop: Header=BB130_63 Depth=1
	v_or_b32_e32 v22, 0x10000, v90
	v_cmp_eq_u32_sdwa vcc, v90, v23 src0_sel:WORD_0 src1_sel:DWORD
	s_nop 1
	v_cndmask_b32_e32 v22, v22, v90, vcc
; %bb.70:                               ;   in Loop: Header=BB130_63 Depth=1
	s_or_b64 exec, exec, s[60:61]
	v_and_b32_e32 v90, 0x7f800000, v91
	v_cmp_ne_u32_e32 vcc, s79, v90
                                        ; implicit-def: $vgpr90
	s_and_saveexec_b64 s[60:61], vcc
	s_xor_b64 s[60:61], exec, s[60:61]
; %bb.71:                               ;   in Loop: Header=BB130_63 Depth=1
	v_bfe_u32 v90, v91, 16, 1
	v_add3_u32 v90, v91, v90, s80
                                        ; implicit-def: $vgpr91
; %bb.72:                               ;   in Loop: Header=BB130_63 Depth=1
	s_andn2_saveexec_b64 s[60:61], s[60:61]
; %bb.73:                               ;   in Loop: Header=BB130_63 Depth=1
	v_or_b32_e32 v90, 0x10000, v91
	v_cmp_eq_u32_sdwa vcc, v91, v23 src0_sel:WORD_0 src1_sel:DWORD
	s_nop 1
	v_cndmask_b32_e32 v90, v90, v91, vcc
; %bb.74:                               ;   in Loop: Header=BB130_63 Depth=1
	s_or_b64 exec, exec, s[60:61]
	v_perm_b32 v22, v90, v22, s81
	s_andn2_b64 vcc, exec, s[12:13]
	v_mov_b32_e32 v90, 0
	v_mov_b32_e32 v91, 0
	ds_write_b32 v101, v22 offset:64
	s_cbranch_vccnz .LBB130_77
; %bb.75:                               ;   in Loop: Header=BB130_63 Depth=1
	ds_read_b32 v22, v100 offset:4
	v_mov_b32_e32 v91, 0
	v_mov_b32_e32 v90, 0
	s_waitcnt lgkmcnt(0)
	v_cmp_gt_i32_e32 vcc, 0, v22
	s_cbranch_vccnz .LBB130_77
; %bb.76:                               ;   in Loop: Header=BB130_63 Depth=1
	v_mul_lo_u32 v22, v22, s57
	v_readlane_b32 s60, v108, 31
	s_nop 1
	v_add_u32_e32 v22, s60, v22
	v_add_u32_e32 v90, v22, v103
	v_ashrrev_i32_e32 v91, 31, v90
	v_lshl_add_u64 v[90:91], v[90:91], 2, v[20:21]
	global_load_dwordx2 v[90:91], v[90:91], off
.LBB130_77:                             ;   in Loop: Header=BB130_63 Depth=1
	s_waitcnt vmcnt(0)
	v_and_b32_e32 v22, 0x7f800000, v90
	v_cmp_ne_u32_e32 vcc, s79, v22
                                        ; implicit-def: $vgpr22
	s_and_saveexec_b64 s[60:61], vcc
	s_xor_b64 s[60:61], exec, s[60:61]
; %bb.78:                               ;   in Loop: Header=BB130_63 Depth=1
	v_bfe_u32 v22, v90, 16, 1
	v_add3_u32 v22, v90, v22, s80
; %bb.79:                               ;   in Loop: Header=BB130_63 Depth=1
	s_andn2_saveexec_b64 s[60:61], s[60:61]
; %bb.80:                               ;   in Loop: Header=BB130_63 Depth=1
	v_or_b32_e32 v22, 0x10000, v90
	v_cmp_eq_u32_sdwa vcc, v90, v23 src0_sel:WORD_0 src1_sel:DWORD
	s_nop 1
	v_cndmask_b32_e32 v22, v22, v90, vcc
; %bb.81:                               ;   in Loop: Header=BB130_63 Depth=1
	s_or_b64 exec, exec, s[60:61]
	v_and_b32_e32 v90, 0x7f800000, v91
	v_cmp_ne_u32_e32 vcc, s79, v90
                                        ; implicit-def: $vgpr90
	s_and_saveexec_b64 s[60:61], vcc
	s_xor_b64 s[60:61], exec, s[60:61]
; %bb.82:                               ;   in Loop: Header=BB130_63 Depth=1
	v_bfe_u32 v90, v91, 16, 1
	v_add3_u32 v90, v91, v90, s80
                                        ; implicit-def: $vgpr91
; %bb.83:                               ;   in Loop: Header=BB130_63 Depth=1
	s_andn2_saveexec_b64 s[60:61], s[60:61]
; %bb.84:                               ;   in Loop: Header=BB130_63 Depth=1
	v_or_b32_e32 v90, 0x10000, v91
	v_cmp_eq_u32_sdwa vcc, v91, v23 src0_sel:WORD_0 src1_sel:DWORD
	s_nop 1
	v_cndmask_b32_e32 v90, v90, v91, vcc
; %bb.85:                               ;   in Loop: Header=BB130_63 Depth=1
	s_or_b64 exec, exec, s[60:61]
	v_perm_b32 v22, v90, v22, s81
	s_andn2_b64 vcc, exec, s[14:15]
	v_mov_b32_e32 v90, 0
	v_mov_b32_e32 v91, 0
	ds_write_b32 v101, v22 offset:328
	s_cbranch_vccnz .LBB130_88
; %bb.86:                               ;   in Loop: Header=BB130_63 Depth=1
	ds_read_b32 v22, v100 offset:8
	v_mov_b32_e32 v91, 0
	v_mov_b32_e32 v90, 0
	s_waitcnt lgkmcnt(0)
	v_cmp_gt_i32_e32 vcc, 0, v22
	s_cbranch_vccnz .LBB130_88
; %bb.87:                               ;   in Loop: Header=BB130_63 Depth=1
	v_mul_lo_u32 v22, v22, s57
	v_add_u32_e32 v22, s49, v22
	v_add_u32_e32 v90, v22, v103
	v_ashrrev_i32_e32 v91, 31, v90
	v_lshl_add_u64 v[90:91], v[90:91], 2, v[20:21]
	global_load_dwordx2 v[90:91], v[90:91], off
.LBB130_88:                             ;   in Loop: Header=BB130_63 Depth=1
	s_waitcnt vmcnt(0)
	v_and_b32_e32 v22, 0x7f800000, v90
	v_cmp_ne_u32_e32 vcc, s79, v22
                                        ; implicit-def: $vgpr22
	s_and_saveexec_b64 s[60:61], vcc
	s_xor_b64 s[60:61], exec, s[60:61]
; %bb.89:                               ;   in Loop: Header=BB130_63 Depth=1
	v_bfe_u32 v22, v90, 16, 1
	v_add3_u32 v22, v90, v22, s80
; %bb.90:                               ;   in Loop: Header=BB130_63 Depth=1
	s_andn2_saveexec_b64 s[60:61], s[60:61]
; %bb.91:                               ;   in Loop: Header=BB130_63 Depth=1
	v_or_b32_e32 v22, 0x10000, v90
	v_cmp_eq_u32_sdwa vcc, v90, v23 src0_sel:WORD_0 src1_sel:DWORD
	s_nop 1
	v_cndmask_b32_e32 v22, v22, v90, vcc
; %bb.92:                               ;   in Loop: Header=BB130_63 Depth=1
	s_or_b64 exec, exec, s[60:61]
	v_and_b32_e32 v90, 0x7f800000, v91
	v_cmp_ne_u32_e32 vcc, s79, v90
                                        ; implicit-def: $vgpr90
	s_and_saveexec_b64 s[60:61], vcc
	s_xor_b64 s[60:61], exec, s[60:61]
; %bb.93:                               ;   in Loop: Header=BB130_63 Depth=1
	v_bfe_u32 v90, v91, 16, 1
	v_add3_u32 v90, v91, v90, s80
                                        ; implicit-def: $vgpr91
; %bb.94:                               ;   in Loop: Header=BB130_63 Depth=1
	s_andn2_saveexec_b64 s[60:61], s[60:61]
; %bb.95:                               ;   in Loop: Header=BB130_63 Depth=1
	v_or_b32_e32 v90, 0x10000, v91
	v_cmp_eq_u32_sdwa vcc, v91, v23 src0_sel:WORD_0 src1_sel:DWORD
	s_nop 1
	v_cndmask_b32_e32 v90, v90, v91, vcc
; %bb.96:                               ;   in Loop: Header=BB130_63 Depth=1
	s_or_b64 exec, exec, s[60:61]
	v_perm_b32 v22, v90, v22, s81
	s_andn2_b64 vcc, exec, s[16:17]
	v_mov_b32_e32 v90, 0
	v_mov_b32_e32 v91, 0
	ds_write_b32 v101, v22 offset:592
	s_cbranch_vccnz .LBB130_99
; %bb.97:                               ;   in Loop: Header=BB130_63 Depth=1
	ds_read_b32 v22, v100 offset:12
	v_mov_b32_e32 v91, 0
	v_mov_b32_e32 v90, 0
	s_waitcnt lgkmcnt(0)
	v_cmp_gt_i32_e32 vcc, 0, v22
	s_cbranch_vccnz .LBB130_99
; %bb.98:                               ;   in Loop: Header=BB130_63 Depth=1
	v_mul_lo_u32 v22, v22, s57
	v_readlane_b32 s60, v108, 21
	s_nop 1
	v_add_u32_e32 v22, s60, v22
	v_add_u32_e32 v90, v22, v103
	v_ashrrev_i32_e32 v91, 31, v90
	v_lshl_add_u64 v[90:91], v[90:91], 2, v[20:21]
	global_load_dwordx2 v[90:91], v[90:91], off
.LBB130_99:                             ;   in Loop: Header=BB130_63 Depth=1
	s_waitcnt vmcnt(0)
	v_and_b32_e32 v22, 0x7f800000, v90
	v_cmp_ne_u32_e32 vcc, s79, v22
                                        ; implicit-def: $vgpr22
	s_and_saveexec_b64 s[60:61], vcc
	s_xor_b64 s[60:61], exec, s[60:61]
; %bb.100:                              ;   in Loop: Header=BB130_63 Depth=1
	v_bfe_u32 v22, v90, 16, 1
	v_add3_u32 v22, v90, v22, s80
; %bb.101:                              ;   in Loop: Header=BB130_63 Depth=1
	s_andn2_saveexec_b64 s[60:61], s[60:61]
; %bb.102:                              ;   in Loop: Header=BB130_63 Depth=1
	v_or_b32_e32 v22, 0x10000, v90
	v_cmp_eq_u32_sdwa vcc, v90, v23 src0_sel:WORD_0 src1_sel:DWORD
	s_nop 1
	v_cndmask_b32_e32 v22, v22, v90, vcc
; %bb.103:                              ;   in Loop: Header=BB130_63 Depth=1
	s_or_b64 exec, exec, s[60:61]
	v_and_b32_e32 v90, 0x7f800000, v91
	v_cmp_ne_u32_e32 vcc, s79, v90
                                        ; implicit-def: $vgpr90
	s_and_saveexec_b64 s[60:61], vcc
	s_xor_b64 s[60:61], exec, s[60:61]
; %bb.104:                              ;   in Loop: Header=BB130_63 Depth=1
	v_bfe_u32 v90, v91, 16, 1
	v_add3_u32 v90, v91, v90, s80
                                        ; implicit-def: $vgpr91
; %bb.105:                              ;   in Loop: Header=BB130_63 Depth=1
	s_andn2_saveexec_b64 s[60:61], s[60:61]
; %bb.106:                              ;   in Loop: Header=BB130_63 Depth=1
	v_or_b32_e32 v90, 0x10000, v91
	v_cmp_eq_u32_sdwa vcc, v91, v23 src0_sel:WORD_0 src1_sel:DWORD
	s_nop 1
	v_cndmask_b32_e32 v90, v90, v91, vcc
; %bb.107:                              ;   in Loop: Header=BB130_63 Depth=1
	s_or_b64 exec, exec, s[60:61]
	v_perm_b32 v22, v90, v22, s81
	s_andn2_b64 vcc, exec, s[18:19]
	v_mov_b32_e32 v90, 0
	v_mov_b32_e32 v91, 0
	ds_write_b32 v101, v22 offset:856
	s_cbranch_vccnz .LBB130_110
; %bb.108:                              ;   in Loop: Header=BB130_63 Depth=1
	ds_read_b32 v22, v100 offset:16
	v_mov_b32_e32 v91, 0
	v_mov_b32_e32 v90, 0
	s_waitcnt lgkmcnt(0)
	v_cmp_gt_i32_e32 vcc, 0, v22
	s_cbranch_vccnz .LBB130_110
; %bb.109:                              ;   in Loop: Header=BB130_63 Depth=1
	v_mul_lo_u32 v22, v22, s57
	v_readlane_b32 s60, v108, 20
	s_nop 1
	v_add_u32_e32 v22, s60, v22
	v_add_u32_e32 v90, v22, v103
	v_ashrrev_i32_e32 v91, 31, v90
	v_lshl_add_u64 v[90:91], v[90:91], 2, v[20:21]
	global_load_dwordx2 v[90:91], v[90:91], off
.LBB130_110:                            ;   in Loop: Header=BB130_63 Depth=1
	s_waitcnt vmcnt(0)
	v_and_b32_e32 v22, 0x7f800000, v90
	v_cmp_ne_u32_e32 vcc, s79, v22
                                        ; implicit-def: $vgpr22
	s_and_saveexec_b64 s[60:61], vcc
	s_xor_b64 s[60:61], exec, s[60:61]
; %bb.111:                              ;   in Loop: Header=BB130_63 Depth=1
	v_bfe_u32 v22, v90, 16, 1
	v_add3_u32 v22, v90, v22, s80
; %bb.112:                              ;   in Loop: Header=BB130_63 Depth=1
	s_andn2_saveexec_b64 s[60:61], s[60:61]
; %bb.113:                              ;   in Loop: Header=BB130_63 Depth=1
	v_or_b32_e32 v22, 0x10000, v90
	v_cmp_eq_u32_sdwa vcc, v90, v23 src0_sel:WORD_0 src1_sel:DWORD
	s_nop 1
	v_cndmask_b32_e32 v22, v22, v90, vcc
; %bb.114:                              ;   in Loop: Header=BB130_63 Depth=1
	s_or_b64 exec, exec, s[60:61]
	v_and_b32_e32 v90, 0x7f800000, v91
	v_cmp_ne_u32_e32 vcc, s79, v90
                                        ; implicit-def: $vgpr90
	s_and_saveexec_b64 s[60:61], vcc
	s_xor_b64 s[60:61], exec, s[60:61]
; %bb.115:                              ;   in Loop: Header=BB130_63 Depth=1
	v_bfe_u32 v90, v91, 16, 1
	v_add3_u32 v90, v91, v90, s80
                                        ; implicit-def: $vgpr91
; %bb.116:                              ;   in Loop: Header=BB130_63 Depth=1
	s_andn2_saveexec_b64 s[60:61], s[60:61]
; %bb.117:                              ;   in Loop: Header=BB130_63 Depth=1
	v_or_b32_e32 v90, 0x10000, v91
	v_cmp_eq_u32_sdwa vcc, v91, v23 src0_sel:WORD_0 src1_sel:DWORD
	s_nop 1
	v_cndmask_b32_e32 v90, v90, v91, vcc
; %bb.118:                              ;   in Loop: Header=BB130_63 Depth=1
	s_or_b64 exec, exec, s[60:61]
	v_perm_b32 v22, v90, v22, s81
	s_andn2_b64 vcc, exec, s[20:21]
	v_mov_b32_e32 v90, 0
	v_mov_b32_e32 v91, 0
	ds_write_b32 v101, v22 offset:1120
	s_cbranch_vccnz .LBB130_121
; %bb.119:                              ;   in Loop: Header=BB130_63 Depth=1
	ds_read_b32 v22, v100 offset:20
	v_mov_b32_e32 v91, 0
	v_mov_b32_e32 v90, 0
	s_waitcnt lgkmcnt(0)
	v_cmp_gt_i32_e32 vcc, 0, v22
	s_cbranch_vccnz .LBB130_121
; %bb.120:                              ;   in Loop: Header=BB130_63 Depth=1
	v_mul_lo_u32 v22, v22, s57
	v_readlane_b32 s60, v108, 23
	s_nop 1
	v_add_u32_e32 v22, s60, v22
	v_add_u32_e32 v90, v22, v103
	v_ashrrev_i32_e32 v91, 31, v90
	v_lshl_add_u64 v[90:91], v[90:91], 2, v[20:21]
	global_load_dwordx2 v[90:91], v[90:91], off
.LBB130_121:                            ;   in Loop: Header=BB130_63 Depth=1
	;; [unrolled: 59-line block ×10, first 2 shown]
	s_waitcnt vmcnt(0)
	v_and_b32_e32 v22, 0x7f800000, v90
	v_cmp_ne_u32_e32 vcc, s79, v22
                                        ; implicit-def: $vgpr22
	s_and_saveexec_b64 s[60:61], vcc
	s_xor_b64 s[60:61], exec, s[60:61]
; %bb.210:                              ;   in Loop: Header=BB130_63 Depth=1
	v_bfe_u32 v22, v90, 16, 1
	v_add3_u32 v22, v90, v22, s80
; %bb.211:                              ;   in Loop: Header=BB130_63 Depth=1
	s_andn2_saveexec_b64 s[60:61], s[60:61]
; %bb.212:                              ;   in Loop: Header=BB130_63 Depth=1
	v_or_b32_e32 v22, 0x10000, v90
	v_cmp_eq_u32_sdwa vcc, v90, v23 src0_sel:WORD_0 src1_sel:DWORD
	s_nop 1
	v_cndmask_b32_e32 v22, v22, v90, vcc
; %bb.213:                              ;   in Loop: Header=BB130_63 Depth=1
	s_or_b64 exec, exec, s[60:61]
	v_and_b32_e32 v90, 0x7f800000, v91
	v_cmp_ne_u32_e32 vcc, s79, v90
                                        ; implicit-def: $vgpr90
	s_and_saveexec_b64 s[60:61], vcc
	s_xor_b64 s[60:61], exec, s[60:61]
; %bb.214:                              ;   in Loop: Header=BB130_63 Depth=1
	v_bfe_u32 v90, v91, 16, 1
	v_add3_u32 v90, v91, v90, s80
                                        ; implicit-def: $vgpr91
; %bb.215:                              ;   in Loop: Header=BB130_63 Depth=1
	s_andn2_saveexec_b64 s[60:61], s[60:61]
	s_cbranch_execz .LBB130_62
; %bb.216:                              ;   in Loop: Header=BB130_63 Depth=1
	v_or_b32_e32 v90, 0x10000, v91
	v_cmp_eq_u32_sdwa vcc, v91, v23 src0_sel:WORD_0 src1_sel:DWORD
	s_nop 1
	v_cndmask_b32_e32 v90, v90, v91, vcc
	s_branch .LBB130_62
.LBB130_217:
	s_or_b64 exec, exec, s[50:51]
	v_readlane_b32 s26, v108, 12
	v_readlane_b32 s28, v108, 16
	;; [unrolled: 1-line block ×8, first 2 shown]
.LBB130_218:
	v_readlane_b32 s0, v108, 10
	v_readlane_b32 s1, v108, 11
	s_or_b64 exec, exec, s[0:1]
	v_mul_u32_u24_e32 v0, 0x308, v98
	s_movk_i32 s1, 0x100
	v_lshlrev_b32_e32 v1, 2, v97
	v_add3_u32 v0, s1, v0, v1
	v_and_b32_e32 v2, 0x3f0, v16
	v_add_u32_e32 v3, v0, v2
	s_waitcnt lgkmcnt(0)
	s_barrier
	ds_write2_b32 v3, a12, a13 offset0:16 offset1:17
	v_or_b32_e32 v3, 12, v16
	v_add_u32_e32 v1, 64, v0
	v_and_b32_e32 v3, 0x3fc, v3
	v_add_u32_e32 v2, v1, v2
	v_add_u32_e32 v0, v0, v3
	ds_write_b32 v2, a14 offset:8
	ds_write_b32 v0, a15 offset:64
	ds_write2_b32 v2, a8, a9 offset0:16 offset1:17
	ds_write_b32 v2, a10 offset:72
	v_add_u32_e32 v0, v1, v3
	ds_write_b32 v0, a11 offset:64
	ds_write2_b32 v2, a4, a5 offset0:32 offset1:33
	ds_write_b32 v2, a6 offset:136
	ds_write_b32 v0, a7 offset:128
	ds_write2_b32 v2, a0, a1 offset0:48 offset1:49
	ds_write_b32 v2, a2 offset:200
	ds_write_b32 v0, a3 offset:192
	v_mov_b32_e32 v0, 0x100
	s_movk_i32 s0, 0x308
	v_lshl_add_u32 v5, v16, 2, v0
	v_mad_u32_u24 v1, v17, s0, v5
	s_waitcnt lgkmcnt(0)
	s_barrier
	ds_read2_b32 v[2:3], v1 offset0:16 offset1:80
	ds_read_b32 v6, v1 offset:576
	v_cmp_gt_u32_e32 vcc, 14, v17
	v_mov_b32_e32 v7, -1
	s_and_saveexec_b64 s[0:1], vcc
	s_cbranch_execz .LBB130_220
; %bb.219:
	v_lshl_add_u32 v0, v17, 2, v0
	ds_read_b32 v7, v0
.LBB130_220:
	s_or_b64 exec, exec, s[0:1]
	s_mul_hi_i32 s1, s30, s24
	s_mul_i32 s0, s30, s24
	s_lshl_b64 s[0:1], s[0:1], 2
	v_readlane_b32 s2, v108, 8
	v_mul_hi_i32 v1, v92, s53
	v_mul_lo_u32 v0, v92, s53
	v_readlane_b32 s3, v108, 9
	s_add_u32 s0, s2, s0
	s_addc_u32 s1, s3, s1
	v_lshlrev_b64 v[0:1], 2, v[0:1]
	s_waitcnt lgkmcnt(0)
	v_cmp_lt_i32_e32 vcc, -1, v7
	v_mul_u32_u24_e32 v8, 0x308, v17
	v_add_u32_e32 v4, s8, v16
	v_lshl_add_u64 v[0:1], s[0:1], 0, v[0:1]
	s_and_b64 s[2:3], vcc, s[26:27]
	s_and_saveexec_b64 s[0:1], s[2:3]
	s_cbranch_execz .LBB130_222
; %bb.221:
	v_add_f32_e32 v2, 0, v2
	v_add_f32_e32 v2, v2, v3
	;; [unrolled: 1-line block ×3, first 2 shown]
	v_mul_lo_u32 v2, v7, s58
	v_mul_lo_u32 v3, v17, s53
	v_add3_u32 v2, v4, v3, v2
	v_mov_b32_e32 v3, 0
	v_lshl_add_u64 v[2:3], v[2:3], 2, v[0:1]
	global_store_dword v[2:3], v6, off
.LBB130_222:
	s_or_b64 exec, exec, s[0:1]
	v_add_u32_e32 v5, v8, v5
	v_add_u32_e32 v2, 0x58, v5
	ds_read2st64_b32 v[2:3], v2 offset0:9 offset1:10
	ds_read_b32 v6, v5 offset:2904
	v_cmp_gt_u32_e32 vcc, 11, v17
	v_mov_b32_e32 v7, -1
	s_and_saveexec_b64 s[0:1], vcc
	s_cbranch_execz .LBB130_224
; %bb.223:
	v_mov_b32_e32 v7, 0x100
	v_lshl_add_u32 v7, v17, 2, v7
	ds_read_b32 v7, v7 offset:12
.LBB130_224:
	s_or_b64 exec, exec, s[0:1]
	v_readlane_b32 s0, v108, 0
	s_waitcnt lgkmcnt(0)
	v_cmp_lt_i32_e32 vcc, -1, v7
	v_readlane_b32 s1, v108, 1
	s_and_b64 s[2:3], vcc, s[0:1]
	s_and_saveexec_b64 s[0:1], s[2:3]
	s_cbranch_execz .LBB130_226
; %bb.225:
	v_add_f32_e32 v2, 0, v2
	v_add_f32_e32 v2, v2, v3
	v_add_f32_e32 v6, v2, v6
	v_mul_lo_u32 v2, v7, s58
	v_mul_lo_u32 v3, v93, s53
	v_add3_u32 v2, v4, v3, v2
	v_mov_b32_e32 v3, 0
	v_lshl_add_u64 v[2:3], v[2:3], 2, v[0:1]
	global_store_dword v[2:3], v6, off
.LBB130_226:
	s_or_b64 exec, exec, s[0:1]
	v_add_u32_e32 v2, 0x70, v5
	ds_read2st64_b32 v[2:3], v2 offset0:18 offset1:19
	ds_read_b32 v6, v5 offset:5232
	v_cmp_gt_u32_e32 vcc, 8, v17
	v_mov_b32_e32 v7, -1
	s_and_saveexec_b64 s[0:1], vcc
	s_cbranch_execz .LBB130_228
; %bb.227:
	v_mov_b32_e32 v7, 0x100
	v_lshl_add_u32 v7, v17, 2, v7
	ds_read_b32 v7, v7 offset:24
.LBB130_228:
	s_or_b64 exec, exec, s[0:1]
	v_readlane_b32 s0, v108, 2
	s_waitcnt lgkmcnt(0)
	v_cmp_lt_i32_e32 vcc, -1, v7
	v_readlane_b32 s1, v108, 3
	s_and_b64 s[2:3], vcc, s[0:1]
	s_and_saveexec_b64 s[0:1], s[2:3]
	s_cbranch_execz .LBB130_230
; %bb.229:
	v_add_f32_e32 v2, 0, v2
	v_add_f32_e32 v2, v2, v3
	v_add_f32_e32 v6, v2, v6
	v_mul_lo_u32 v2, v7, s58
	v_mul_lo_u32 v3, v94, s53
	v_add3_u32 v2, v4, v3, v2
	v_mov_b32_e32 v3, 0
	v_lshl_add_u64 v[2:3], v[2:3], 2, v[0:1]
	global_store_dword v[2:3], v6, off
.LBB130_230:
	s_or_b64 exec, exec, s[0:1]
	;; [unrolled: 32-line block ×3, first 2 shown]
	v_cmp_gt_u32_e32 vcc, 2, v17
	s_and_saveexec_b64 s[0:1], vcc
	s_cbranch_execz .LBB130_237
; %bb.235:
	v_mov_b32_e32 v2, 0x100
	v_lshl_add_u32 v2, v17, 2, v2
	ds_read_b32 v2, v2 offset:48
	v_readlane_b32 s0, v108, 6
	v_readlane_b32 s1, v108, 7
	s_waitcnt lgkmcnt(0)
	v_cmp_lt_i32_e32 vcc, -1, v2
	s_and_b64 s[0:1], vcc, s[0:1]
	s_and_b64 exec, exec, s[0:1]
	s_cbranch_execz .LBB130_237
; %bb.236:
	v_add_u32_e32 v3, 0xa0, v5
	ds_read2st64_b32 v[6:7], v3 offset0:36 offset1:37
	ds_read_b32 v3, v5 offset:9888
	v_mul_lo_u32 v2, v2, s58
	v_mul_lo_u32 v5, v96, s53
	v_add3_u32 v2, v4, v5, v2
	s_waitcnt lgkmcnt(1)
	v_add_f32_e32 v4, 0, v6
	v_add_f32_e32 v4, v4, v7
	s_waitcnt lgkmcnt(0)
	v_add_f32_e32 v4, v4, v3
	v_mov_b32_e32 v3, 0
	v_lshl_add_u64 v[0:1], v[2:3], 2, v[0:1]
	global_store_dword v[0:1], v4, off
.LBB130_237:
	s_endpgm
	.section	.rodata,"a",@progbits
	.p2align	6, 0x0
	.amdhsa_kernel _ZL9mul_mat_fI15__hip_bfloat162Li64ELi14ELi3ELb1EEvPKT_PKfPKiPfiiiiiiiiiiiiiiii
		.amdhsa_group_segment_fixed_size 256
		.amdhsa_private_segment_fixed_size 0
		.amdhsa_kernarg_size 352
		.amdhsa_user_sgpr_count 2
		.amdhsa_user_sgpr_dispatch_ptr 0
		.amdhsa_user_sgpr_queue_ptr 0
		.amdhsa_user_sgpr_kernarg_segment_ptr 1
		.amdhsa_user_sgpr_dispatch_id 0
		.amdhsa_user_sgpr_kernarg_preload_length 0
		.amdhsa_user_sgpr_kernarg_preload_offset 0
		.amdhsa_user_sgpr_private_segment_size 0
		.amdhsa_uses_dynamic_stack 0
		.amdhsa_enable_private_segment 0
		.amdhsa_system_sgpr_workgroup_id_x 1
		.amdhsa_system_sgpr_workgroup_id_y 1
		.amdhsa_system_sgpr_workgroup_id_z 1
		.amdhsa_system_sgpr_workgroup_info 0
		.amdhsa_system_vgpr_workitem_id 2
		.amdhsa_next_free_vgpr 136
		.amdhsa_next_free_sgpr 100
		.amdhsa_accum_offset 112
		.amdhsa_reserve_vcc 1
		.amdhsa_float_round_mode_32 0
		.amdhsa_float_round_mode_16_64 0
		.amdhsa_float_denorm_mode_32 3
		.amdhsa_float_denorm_mode_16_64 3
		.amdhsa_dx10_clamp 1
		.amdhsa_ieee_mode 1
		.amdhsa_fp16_overflow 0
		.amdhsa_tg_split 0
		.amdhsa_exception_fp_ieee_invalid_op 0
		.amdhsa_exception_fp_denorm_src 0
		.amdhsa_exception_fp_ieee_div_zero 0
		.amdhsa_exception_fp_ieee_overflow 0
		.amdhsa_exception_fp_ieee_underflow 0
		.amdhsa_exception_fp_ieee_inexact 0
		.amdhsa_exception_int_div_zero 0
	.end_amdhsa_kernel
	.section	.text._ZL9mul_mat_fI15__hip_bfloat162Li64ELi14ELi3ELb1EEvPKT_PKfPKiPfiiiiiiiiiiiiiiii,"axG",@progbits,_ZL9mul_mat_fI15__hip_bfloat162Li64ELi14ELi3ELb1EEvPKT_PKfPKiPfiiiiiiiiiiiiiiii,comdat
.Lfunc_end130:
	.size	_ZL9mul_mat_fI15__hip_bfloat162Li64ELi14ELi3ELb1EEvPKT_PKfPKiPfiiiiiiiiiiiiiiii, .Lfunc_end130-_ZL9mul_mat_fI15__hip_bfloat162Li64ELi14ELi3ELb1EEvPKT_PKfPKiPfiiiiiiiiiiiiiiii
                                        ; -- End function
	.section	.AMDGPU.csdata,"",@progbits
; Kernel info:
; codeLenInByte = 11468
; NumSgprs: 106
; NumVgprs: 109
; NumAgprs: 24
; TotalNumVgprs: 136
; ScratchSize: 0
; MemoryBound: 0
; FloatMode: 240
; IeeeMode: 1
; LDSByteSize: 256 bytes/workgroup (compile time only)
; SGPRBlocks: 13
; VGPRBlocks: 16
; NumSGPRsForWavesPerEU: 106
; NumVGPRsForWavesPerEU: 136
; AccumOffset: 112
; Occupancy: 3
; WaveLimiterHint : 0
; COMPUTE_PGM_RSRC2:SCRATCH_EN: 0
; COMPUTE_PGM_RSRC2:USER_SGPR: 2
; COMPUTE_PGM_RSRC2:TRAP_HANDLER: 0
; COMPUTE_PGM_RSRC2:TGID_X_EN: 1
; COMPUTE_PGM_RSRC2:TGID_Y_EN: 1
; COMPUTE_PGM_RSRC2:TGID_Z_EN: 1
; COMPUTE_PGM_RSRC2:TIDIG_COMP_CNT: 2
; COMPUTE_PGM_RSRC3_GFX90A:ACCUM_OFFSET: 27
; COMPUTE_PGM_RSRC3_GFX90A:TG_SPLIT: 0
	.section	.text._ZL9mul_mat_fI15__hip_bfloat162Li64ELi14ELi3ELb0EEvPKT_PKfPKiPfiiiiiiiiiiiiiiii,"axG",@progbits,_ZL9mul_mat_fI15__hip_bfloat162Li64ELi14ELi3ELb0EEvPKT_PKfPKiPfiiiiiiiiiiiiiiii,comdat
	.globl	_ZL9mul_mat_fI15__hip_bfloat162Li64ELi14ELi3ELb0EEvPKT_PKfPKiPfiiiiiiiiiiiiiiii ; -- Begin function _ZL9mul_mat_fI15__hip_bfloat162Li64ELi14ELi3ELb0EEvPKT_PKfPKiPfiiiiiiiiiiiiiiii
	.p2align	8
	.type	_ZL9mul_mat_fI15__hip_bfloat162Li64ELi14ELi3ELb0EEvPKT_PKfPKiPfiiiiiiiiiiiiiiii,@function
_ZL9mul_mat_fI15__hip_bfloat162Li64ELi14ELi3ELb0EEvPKT_PKfPKiPfiiiiiiiiiiiiiiii: ; @_ZL9mul_mat_fI15__hip_bfloat162Li64ELi14ELi3ELb0EEvPKT_PKfPKiPfiiiiiiiiiiiiiiii
; %bb.0:
	s_load_dword s5, s[0:1], 0x20
	s_load_dwordx4 s[16:19], s[0:1], 0x2c
	v_bfe_u32 v90, v0, 10, 10
	v_lshlrev_b32_e32 v92, 6, v90
	v_and_b32_e32 v91, 0x3ff, v0
	v_add_u32_e32 v94, v92, v91
	s_mov_b32 s20, 0
	s_waitcnt lgkmcnt(0)
	s_ashr_i32 s19, s4, 31
	v_cmp_le_i32_e32 vcc, s5, v94
	v_and_b32_e32 v93, 15, v91
	s_and_saveexec_b64 s[6:7], vcc
	s_xor_b64 s[6:7], exec, s[6:7]
; %bb.1:
	v_and_b32_e32 v93, 15, v91
                                        ; implicit-def: $vgpr94
; %bb.2:
	s_or_saveexec_b64 s[24:25], s[6:7]
	s_load_dwordx8 s[8:15], s[0:1], 0x40
	s_load_dwordx2 s[6:7], s[0:1], 0x18
	s_lshl_b32 s27, s2, 6
	v_accvgpr_write_b32 a0, s20
	v_accvgpr_write_b32 a1, s20
	;; [unrolled: 1-line block ×16, first 2 shown]
	s_xor_b64 exec, exec, s[24:25]
	s_cbranch_execz .LBB131_118
; %bb.3:
	s_waitcnt lgkmcnt(0)
	s_abs_i32 s2, s8
	v_cvt_f32_u32_e32 v0, s2
                                        ; implicit-def: $vgpr102 : SGPR spill to VGPR lane
	s_abs_i32 s26, s4
	v_writelane_b32 v102, s6, 0
	v_lshrrev_b32_e32 v7, 1, v91
	v_rcp_iflag_f32_e32 v0, v0
	v_writelane_b32 v102, s7, 1
	s_abs_i32 s6, s12
	v_cvt_f32_u32_e32 v1, s6
	v_mul_f32_e32 v0, 0x4f7ffffe, v0
	v_cvt_u32_f32_e32 v0, v0
	s_sub_i32 s7, 0, s2
	v_rcp_iflag_f32_e32 v1, v1
	s_sub_i32 s20, 0, s6
	v_mul_lo_u32 v2, s7, v0
	v_mul_hi_u32 v2, v0, v2
	v_mul_f32_e32 v1, 0x4f7ffffe, v1
	v_cvt_u32_f32_e32 v1, v1
	s_abs_i32 s7, s3
	v_add_u32_e32 v0, v0, v2
	v_mul_hi_u32 v0, s7, v0
	v_mul_lo_u32 v3, s20, v1
	v_mul_lo_u32 v2, v0, s2
	v_mul_hi_u32 v3, v1, v3
	v_sub_u32_e32 v2, s7, v2
	v_add_u32_e32 v1, v1, v3
	v_add_u32_e32 v3, 1, v0
	v_subrev_u32_e32 v4, s2, v2
	v_cmp_le_u32_e32 vcc, s2, v2
	s_load_dwordx4 s[20:23], s[0:1], 0x0
	s_ashr_i32 s0, s3, 31
	v_cndmask_b32_e32 v0, v0, v3, vcc
	v_cndmask_b32_e32 v2, v2, v4, vcc
	s_ashr_i32 s1, s8, 31
	v_add_u32_e32 v3, 1, v0
	v_cmp_le_u32_e32 vcc, s2, v2
	s_xor_b32 s0, s0, s1
	v_mul_hi_u32 v1, s26, v1
	v_cndmask_b32_e32 v0, v0, v3, vcc
	v_xor_b32_e32 v0, s0, v0
	v_subrev_u32_e32 v2, s0, v0
	v_mul_lo_u32 v0, v1, s6
	v_sub_u32_e32 v0, s26, v0
	v_add_u32_e32 v3, 1, v1
	v_subrev_u32_e32 v4, s6, v0
	v_cmp_le_u32_e32 vcc, s6, v0
	s_ashr_i32 s8, s12, 31
	s_xor_b32 s0, s19, s8
	v_cndmask_b32_e32 v1, v1, v3, vcc
	v_cndmask_b32_e32 v0, v0, v4, vcc
	v_add_u32_e32 v3, 1, v1
	v_cmp_le_u32_e32 vcc, s6, v0
	v_mul_lo_u32 v2, v2, s9
	s_mul_i32 s8, s3, s10
	v_cndmask_b32_e32 v0, v1, v3, vcc
	v_xor_b32_e32 v0, s0, v0
	v_subrev_u32_e32 v0, s0, v0
	s_mul_i32 s0, s27, s16
	v_mul_hi_i32 v1, v0, s13
	v_mul_lo_u32 v0, v0, s13
	v_ashrrev_i32_e32 v3, 31, v2
	s_ashr_i32 s1, s0, 31
	v_lshlrev_b64 v[0:1], 2, v[0:1]
	s_lshl_b64 s[0:1], s[0:1], 2
	v_lshlrev_b64 v[2:3], 2, v[2:3]
	s_waitcnt lgkmcnt(0)
	v_lshl_add_u64 v[4:5], s[20:21], 0, v[0:1]
	s_mul_hi_i32 s7, s14, s4
	s_mul_i32 s6, s14, s4
	v_lshl_add_u64 v[2:3], v[2:3], 0, s[0:1]
	s_ashr_i32 s9, s8, 31
	s_movk_i32 s2, 0x1080
	v_lshl_add_u64 v[16:17], v[2:3], 0, v[4:5]
	s_lshl_b64 s[6:7], s[6:7], 2
	s_lshl_b64 s[0:1], s[8:9], 2
	v_mad_u32_u24 v5, v90, s2, 0
	v_lshlrev_b32_e32 v4, 2, v91
	v_mul_u32_u24_e32 v6, 0x108, v93
	v_and_b32_e32 v7, 0x1f8, v7
	v_lshlrev_b32_e32 v18, 8, v90
	v_mov_b32_e32 v19, 0
	v_lshl_add_u64 v[0:1], v[2:3], 0, v[0:1]
	s_add_u32 s22, s22, s0
	v_add_u32_e32 v95, v5, v4
	v_add3_u32 v96, v5, v6, v7
	v_lshl_add_u64 v[0:1], v[0:1], 0, v[18:19]
	v_mov_b32_e32 v5, v19
	s_addc_u32 s23, s23, s1
	v_lshl_add_u64 v[0:1], v[0:1], 0, v[4:5]
	v_lshlrev_b32_e32 v18, 9, v90
	s_add_u32 s0, s22, s6
	v_lshl_add_u64 v[20:21], s[20:21], 0, v[0:1]
	v_lshl_add_u64 v[0:1], s[6:7], 0, v[18:19]
	v_lshlrev_b32_e32 v18, 3, v91
	s_addc_u32 s1, s23, s7
	s_ashr_i32 s9, s16, 31
	s_mov_b32 s8, s16
	s_ashr_i32 s13, s17, 31
	s_mov_b32 s12, s17
	v_lshl_add_u64 v[0:1], v[0:1], 0, v[18:19]
	s_lshl_b64 s[8:9], s[8:9], 2
	s_lshl_b64 s[12:13], s[12:13], 3
	v_lshl_add_u64 v[22:23], s[22:23], 0, v[0:1]
	s_mul_i32 s10, s16, 63
	s_lshl_b32 s14, s17, 1
	s_mul_i32 s19, s17, 3
	s_lshl_b32 s28, s17, 2
	s_mul_i32 s29, s17, 5
	s_mul_i32 s30, s17, 6
	;; [unrolled: 1-line block ×3, first 2 shown]
	s_lshl_b32 s33, s17, 3
	s_mul_i32 s34, s17, 9
	s_mul_i32 s35, s17, 10
	;; [unrolled: 1-line block ×5, first 2 shown]
	s_lshl_b32 s39, s16, 1
	s_mul_i32 s40, s16, 3
	s_lshl_b32 s41, s16, 2
	s_mul_i32 s42, s16, 5
	s_mul_i32 s43, s16, 6
	;; [unrolled: 1-line block ×3, first 2 shown]
	s_lshl_b32 s45, s16, 3
	s_mul_i32 s46, s16, 9
	s_mul_i32 s47, s16, 10
	;; [unrolled: 1-line block ×7, first 2 shown]
	s_lshl_b32 s53, s16, 4
	s_mul_i32 s54, s16, 17
	s_mul_i32 s55, s16, 18
	;; [unrolled: 1-line block ×15, first 2 shown]
	s_lshl_b32 s69, s16, 5
	s_mul_i32 s70, s16, 33
	s_mul_i32 s71, s16, 34
	s_mul_i32 s72, s16, 35
	s_mul_i32 s73, s16, 36
	s_mul_i32 s74, s16, 37
	s_mul_i32 s75, s16, 38
	s_mul_i32 s76, s16, 39
	s_mul_i32 s77, s16, 40
	s_mul_i32 s78, s16, 41
	s_mul_i32 s79, s16, 42
	s_mul_i32 s80, s16, 43
	v_accvgpr_write_b32 a15, 0
	v_accvgpr_write_b32 a14, 0
	;; [unrolled: 1-line block ×16, first 2 shown]
	s_mul_i32 s81, s16, 44
	s_mul_i32 s82, s16, 45
	;; [unrolled: 1-line block ×19, first 2 shown]
	s_mov_b32 s6, 0x7f800000
	s_movk_i32 s7, 0x7fff
	s_mov_b32 s2, 0x7060302
	s_mov_b64 s[16:17], 0
	s_mov_b64 s[20:21], 0x300
	;; [unrolled: 1-line block ×3, first 2 shown]
	v_writelane_b32 v102, s27, 2
	s_branch .LBB131_5
.LBB131_4:                              ;   in Loop: Header=BB131_5 Depth=1
	s_or_b64 exec, exec, s[26:27]
	v_perm_b32 v18, v97, v18, s2
	v_add_u32_e32 v88, 0xc00, v95
	ds_write2_b32 v88, v18, v19 offset0:90 offset1:156
	ds_write_b32 v95, v19 offset:3960
	ds_read2_b64 v[98:101], v96 offset1:4
	v_accvgpr_write_b32 a0, v0
	v_accvgpr_write_b32 a4, v4
	;; [unrolled: 1-line block ×16, first 2 shown]
	s_waitcnt lgkmcnt(0)
	v_mfma_f32_16x16x16_bf16 a[0:3], v[42:43], v[98:99], a[0:3]
	ds_read2_b64 v[0:3], v96 offset0:8 offset1:12
	v_add_u32_e32 v94, 0xc0, v94
	v_cmp_le_i32_e32 vcc, s5, v94
	v_mfma_f32_16x16x16_bf16 a[4:7], v[56:57], v[98:99], a[4:7]
	v_lshl_add_u64 v[20:21], v[20:21], 0, s[20:21]
	v_lshl_add_u64 v[22:23], v[22:23], 0, s[22:23]
	s_or_b64 s[16:17], vcc, s[16:17]
	v_mfma_f32_16x16x16_bf16 a[8:11], v[72:73], v[98:99], a[8:11]
	v_mfma_f32_16x16x16_bf16 a[12:15], v[86:87], v[98:99], a[12:15]
	;; [unrolled: 1-line block ×6, first 2 shown]
	s_waitcnt lgkmcnt(0)
	v_mfma_f32_16x16x16_bf16 a[0:3], v[34:35], v[0:1], a[0:3]
	v_mfma_f32_16x16x16_bf16 a[4:7], v[50:51], v[0:1], a[4:7]
	;; [unrolled: 1-line block ×8, first 2 shown]
	ds_read2_b64 v[0:3], v96 offset0:16 offset1:20
	s_waitcnt lgkmcnt(0)
	v_mfma_f32_16x16x16_bf16 a[0:3], v[30:31], v[0:1], a[0:3]
	v_mfma_f32_16x16x16_bf16 a[4:7], v[46:47], v[0:1], a[4:7]
	;; [unrolled: 1-line block ×8, first 2 shown]
	ds_read2_b64 v[0:3], v96 offset0:24 offset1:28
	s_waitcnt lgkmcnt(0)
	v_mfma_f32_16x16x16_bf16 a[0:3], v[26:27], v[0:1], a[0:3]
	v_mfma_f32_16x16x16_bf16 a[4:7], v[40:41], v[0:1], a[4:7]
	;; [unrolled: 1-line block ×8, first 2 shown]
	s_andn2_b64 exec, exec, s[16:17]
	s_cbranch_execz .LBB131_117
.LBB131_5:                              ; =>This Inner Loop Header: Depth=1
	v_lshl_add_u64 v[0:1], v[20:21], 0, s[8:9]
	global_load_dword v18, v[20:21], off
	global_load_dword v40, v[0:1], off
	v_add_u32_e32 v0, s39, v94
	v_ashrrev_i32_e32 v1, 31, v0
	v_add_u32_e32 v2, s40, v94
	v_add_u32_e32 v4, s41, v94
	;; [unrolled: 1-line block ×6, first 2 shown]
	v_lshl_add_u64 v[0:1], v[0:1], 2, v[16:17]
	v_ashrrev_i32_e32 v3, 31, v2
	v_ashrrev_i32_e32 v5, 31, v4
	;; [unrolled: 1-line block ×6, first 2 shown]
	v_lshl_add_u64 v[2:3], v[2:3], 2, v[16:17]
	v_lshl_add_u64 v[4:5], v[4:5], 2, v[16:17]
	;; [unrolled: 1-line block ×6, first 2 shown]
	global_load_dword v41, v[0:1], off
	global_load_dword v42, v[2:3], off
	;; [unrolled: 1-line block ×7, first 2 shown]
	v_add_u32_e32 v12, s46, v94
	v_ashrrev_i32_e32 v13, 31, v12
	v_add_u32_e32 v24, s47, v94
	v_add_u32_e32 v38, s54, v94
	v_lshl_add_u64 v[12:13], v[12:13], 2, v[16:17]
	v_add_u32_e32 v26, s48, v94
	v_add_u32_e32 v28, s49, v94
	;; [unrolled: 1-line block ×6, first 2 shown]
	v_ashrrev_i32_e32 v25, 31, v24
	v_ashrrev_i32_e32 v39, 31, v38
	global_load_dword v48, v[12:13], off
	v_ashrrev_i32_e32 v27, 31, v26
	v_ashrrev_i32_e32 v29, 31, v28
	;; [unrolled: 1-line block ×6, first 2 shown]
	v_lshl_add_u64 v[24:25], v[24:25], 2, v[16:17]
	v_lshl_add_u64 v[38:39], v[38:39], 2, v[16:17]
	;; [unrolled: 1-line block ×8, first 2 shown]
	v_add_u32_e32 v12, s55, v94
	v_ashrrev_i32_e32 v13, 31, v12
	v_lshl_add_u64 v[12:13], v[12:13], 2, v[16:17]
	v_accvgpr_read_b32 v3, a15
	v_accvgpr_read_b32 v2, a14
	;; [unrolled: 1-line block ×14, first 2 shown]
	s_waitcnt vmcnt(9)
	ds_write_b32 v95, v18
	s_waitcnt vmcnt(8)
	ds_write_b32 v95, v40 offset:264
	s_waitcnt vmcnt(7)
	ds_write_b32 v95, v41 offset:528
	;; [unrolled: 2-line block ×8, first 2 shown]
	global_load_dword v18, v[24:25], off
	global_load_dword v40, v[26:27], off
	;; [unrolled: 1-line block ×7, first 2 shown]
	s_nop 0
	global_load_dword v38, v[38:39], off
	v_add_u32_e32 v24, s56, v94
	v_add_u32_e32 v26, s57, v94
	;; [unrolled: 1-line block ×7, first 2 shown]
	v_ashrrev_i32_e32 v25, 31, v24
	v_ashrrev_i32_e32 v27, 31, v26
	v_ashrrev_i32_e32 v29, 31, v28
	v_ashrrev_i32_e32 v31, 31, v30
	v_ashrrev_i32_e32 v33, 31, v32
	v_ashrrev_i32_e32 v35, 31, v34
	v_ashrrev_i32_e32 v37, 31, v36
	v_lshl_add_u64 v[24:25], v[24:25], 2, v[16:17]
	v_lshl_add_u64 v[26:27], v[26:27], 2, v[16:17]
	v_lshl_add_u64 v[28:29], v[28:29], 2, v[16:17]
	v_lshl_add_u64 v[30:31], v[30:31], 2, v[16:17]
	v_lshl_add_u64 v[32:33], v[32:33], 2, v[16:17]
	v_lshl_add_u64 v[34:35], v[34:35], 2, v[16:17]
	v_lshl_add_u64 v[36:37], v[36:37], 2, v[16:17]
	global_load_dword v39, v[12:13], off
	global_load_dword v46, v[24:25], off
	global_load_dword v47, v[26:27], off
	global_load_dword v49, v[28:29], off
	global_load_dword v50, v[30:31], off
	global_load_dword v51, v[32:33], off
	global_load_dword v52, v[34:35], off
	global_load_dword v53, v[36:37], off
	v_add_u32_e32 v12, s63, v94
	v_ashrrev_i32_e32 v13, 31, v12
	v_add_u32_e32 v24, s64, v94
	v_add_u32_e32 v26, s65, v94
	v_add_u32_e32 v28, s66, v94
	v_add_u32_e32 v30, s67, v94
	v_add_u32_e32 v32, s68, v94
	v_add_u32_e32 v34, s69, v94
	v_add_u32_e32 v36, s70, v94
	v_lshl_add_u64 v[12:13], v[12:13], 2, v[16:17]
	v_ashrrev_i32_e32 v25, 31, v24
	v_ashrrev_i32_e32 v27, 31, v26
	v_ashrrev_i32_e32 v29, 31, v28
	v_ashrrev_i32_e32 v31, 31, v30
	v_ashrrev_i32_e32 v33, 31, v32
	v_ashrrev_i32_e32 v35, 31, v34
	v_ashrrev_i32_e32 v37, 31, v36
	v_lshl_add_u64 v[24:25], v[24:25], 2, v[16:17]
	v_lshl_add_u64 v[26:27], v[26:27], 2, v[16:17]
	v_lshl_add_u64 v[28:29], v[28:29], 2, v[16:17]
	v_lshl_add_u64 v[30:31], v[30:31], 2, v[16:17]
	v_lshl_add_u64 v[32:33], v[32:33], 2, v[16:17]
	v_lshl_add_u64 v[34:35], v[34:35], 2, v[16:17]
	v_lshl_add_u64 v[36:37], v[36:37], 2, v[16:17]
	global_load_dword v54, v[12:13], off
	global_load_dword v55, v[24:25], off
	global_load_dword v56, v[26:27], off
	global_load_dword v57, v[28:29], off
	global_load_dword v58, v[30:31], off
	global_load_dword v59, v[32:33], off
	global_load_dword v60, v[34:35], off
	global_load_dword v61, v[36:37], off
	v_add_u32_e32 v12, s71, v94
	v_ashrrev_i32_e32 v13, 31, v12
	v_add_u32_e32 v24, s72, v94
	v_add_u32_e32 v26, s73, v94
	v_add_u32_e32 v28, s74, v94
	v_add_u32_e32 v30, s75, v94
	v_add_u32_e32 v32, s76, v94
	v_add_u32_e32 v34, s77, v94
	v_add_u32_e32 v36, s78, v94
	v_lshl_add_u64 v[12:13], v[12:13], 2, v[16:17]
	;; [unrolled: 32-line block ×4, first 2 shown]
	v_ashrrev_i32_e32 v25, 31, v24
	v_ashrrev_i32_e32 v27, 31, v26
	;; [unrolled: 1-line block ×7, first 2 shown]
	v_lshl_add_u64 v[24:25], v[24:25], 2, v[16:17]
	v_lshl_add_u64 v[26:27], v[26:27], 2, v[16:17]
	;; [unrolled: 1-line block ×7, first 2 shown]
	global_load_dword v78, v[12:13], off
	global_load_dword v79, v[24:25], off
	global_load_dword v80, v[26:27], off
	global_load_dword v81, v[28:29], off
	global_load_dword v82, v[30:31], off
	global_load_dword v83, v[32:33], off
	global_load_dword v84, v[34:35], off
	global_load_dword v85, v[36:37], off
	v_add_u32_e32 v12, s95, v94
	v_ashrrev_i32_e32 v13, 31, v12
	v_add_u32_e32 v24, s96, v94
	v_add_u32_e32 v26, s97, v94
	;; [unrolled: 1-line block ×5, first 2 shown]
	v_lshl_add_u64 v[12:13], v[12:13], 2, v[16:17]
	v_ashrrev_i32_e32 v25, 31, v24
	v_ashrrev_i32_e32 v27, 31, v26
	;; [unrolled: 1-line block ×5, first 2 shown]
	v_lshl_add_u64 v[24:25], v[24:25], 2, v[16:17]
	v_lshl_add_u64 v[26:27], v[26:27], 2, v[16:17]
	;; [unrolled: 1-line block ×5, first 2 shown]
	global_load_dword v12, v[12:13], off
	s_nop 0
	global_load_dword v13, v[24:25], off
	global_load_dword v86, v[26:27], off
	;; [unrolled: 1-line block ×5, first 2 shown]
	s_waitcnt vmcnt(54)
	ds_write_b32 v95, v48 offset:2376
	s_waitcnt vmcnt(53)
	ds_write_b32 v95, v18 offset:2640
	;; [unrolled: 2-line block ×7, first 2 shown]
	global_load_dwordx2 v[88:89], v[22:23], off
	ds_read_b64 v[42:43], v96
	ds_read_b64 v[36:37], v96 offset:32
	ds_read_b64 v[34:35], v96 offset:64
	ds_read_b64 v[32:33], v96 offset:96
	ds_read_b64 v[30:31], v96 offset:128
	ds_read_b64 v[28:29], v96 offset:160
	ds_read_b64 v[26:27], v96 offset:192
	ds_read_b64 v[24:25], v96 offset:224
	s_waitcnt vmcnt(48)
	ds_write_b32 v95, v45
	s_waitcnt vmcnt(47)
	ds_write_b32 v95, v38 offset:264
	s_waitcnt vmcnt(46)
	ds_write_b32 v95, v39 offset:528
	s_waitcnt vmcnt(45)
	ds_write_b32 v95, v46 offset:792
	s_waitcnt vmcnt(44)
	ds_write_b32 v95, v47 offset:1056
	s_waitcnt vmcnt(43)
	ds_write_b32 v95, v49 offset:1320
	s_waitcnt vmcnt(42)
	ds_write_b32 v95, v50 offset:1584
	s_waitcnt vmcnt(41)
	ds_write_b32 v95, v51 offset:1848
	s_waitcnt vmcnt(40)
	ds_write_b32 v95, v52 offset:2112
	s_waitcnt vmcnt(39)
	ds_write_b32 v95, v53 offset:2376
	s_waitcnt vmcnt(38)
	ds_write_b32 v95, v54 offset:2640
	s_waitcnt vmcnt(37)
	ds_write_b32 v95, v55 offset:2904
	s_waitcnt vmcnt(36)
	ds_write_b32 v95, v56 offset:3168
	s_waitcnt vmcnt(35)
	ds_write_b32 v95, v57 offset:3432
	s_waitcnt vmcnt(34)
	ds_write_b32 v95, v58 offset:3696
	s_waitcnt vmcnt(33)
	ds_write_b32 v95, v59 offset:3960
	ds_read_b64 v[56:57], v96
	ds_read_b64 v[54:55], v96 offset:32
	ds_read_b64 v[50:51], v96 offset:64
	ds_read_b64 v[48:49], v96 offset:96
	ds_read_b64 v[46:47], v96 offset:128
	ds_read_b64 v[44:45], v96 offset:160
	ds_read_b64 v[40:41], v96 offset:192
	ds_read_b64 v[38:39], v96 offset:224
	s_waitcnt vmcnt(32)
	ds_write_b32 v95, v60
	s_waitcnt vmcnt(31)
	ds_write_b32 v95, v61 offset:264
	s_waitcnt vmcnt(30)
	ds_write_b32 v95, v62 offset:528
	s_waitcnt vmcnt(29)
	ds_write_b32 v95, v63 offset:792
	s_waitcnt vmcnt(28)
	ds_write_b32 v95, v64 offset:1056
	s_waitcnt vmcnt(27)
	ds_write_b32 v95, v65 offset:1320
	s_waitcnt vmcnt(26)
	ds_write_b32 v95, v66 offset:1584
	s_waitcnt vmcnt(25)
	ds_write_b32 v95, v67 offset:1848
	s_waitcnt vmcnt(24)
	ds_write_b32 v95, v68 offset:2112
	s_waitcnt vmcnt(23)
	ds_write_b32 v95, v69 offset:2376
	s_waitcnt vmcnt(22)
	ds_write_b32 v95, v70 offset:2640
	s_waitcnt vmcnt(21)
	ds_write_b32 v95, v71 offset:2904
	s_waitcnt vmcnt(20)
	ds_write_b32 v95, v72 offset:3168
	s_waitcnt vmcnt(19)
	ds_write_b32 v95, v73 offset:3432
	s_waitcnt vmcnt(18)
	ds_write_b32 v95, v74 offset:3696
	s_waitcnt vmcnt(17)
	ds_write_b32 v95, v75 offset:3960
	;; [unrolled: 40-line block ×3, first 2 shown]
	ds_read_b64 v[86:87], v96
	ds_read_b64 v[84:85], v96 offset:32
	ds_read_b64 v[82:83], v96 offset:64
	;; [unrolled: 1-line block ×7, first 2 shown]
	s_waitcnt vmcnt(0)
	v_and_b32_e32 v18, 0x7f800000, v88
	v_accvgpr_read_b32 v13, a1
	v_accvgpr_read_b32 v12, a0
	v_cmp_ne_u32_e32 vcc, s6, v18
                                        ; implicit-def: $vgpr18
	s_and_saveexec_b64 s[26:27], vcc
	s_xor_b64 s[26:27], exec, s[26:27]
; %bb.6:                                ;   in Loop: Header=BB131_5 Depth=1
	v_bfe_u32 v18, v88, 16, 1
	v_add3_u32 v18, v88, v18, s7
; %bb.7:                                ;   in Loop: Header=BB131_5 Depth=1
	s_andn2_saveexec_b64 s[26:27], s[26:27]
; %bb.8:                                ;   in Loop: Header=BB131_5 Depth=1
	v_or_b32_e32 v18, 0x10000, v88
	v_cmp_eq_u32_sdwa vcc, v88, v19 src0_sel:WORD_0 src1_sel:DWORD
	s_nop 1
	v_cndmask_b32_e32 v18, v18, v88, vcc
; %bb.9:                                ;   in Loop: Header=BB131_5 Depth=1
	s_or_b64 exec, exec, s[26:27]
	v_and_b32_e32 v88, 0x7f800000, v89
	v_cmp_ne_u32_e32 vcc, s6, v88
                                        ; implicit-def: $vgpr97
	s_and_saveexec_b64 s[26:27], vcc
	s_xor_b64 s[26:27], exec, s[26:27]
; %bb.10:                               ;   in Loop: Header=BB131_5 Depth=1
	v_bfe_u32 v88, v89, 16, 1
	v_add3_u32 v97, v89, v88, s7
                                        ; implicit-def: $vgpr88_vgpr89
; %bb.11:                               ;   in Loop: Header=BB131_5 Depth=1
	s_andn2_saveexec_b64 s[26:27], s[26:27]
; %bb.12:                               ;   in Loop: Header=BB131_5 Depth=1
	v_or_b32_e32 v88, 0x10000, v89
	v_cmp_eq_u32_sdwa vcc, v89, v19 src0_sel:WORD_0 src1_sel:DWORD
	s_nop 1
	v_cndmask_b32_e32 v97, v88, v89, vcc
; %bb.13:                               ;   in Loop: Header=BB131_5 Depth=1
	s_or_b64 exec, exec, s[26:27]
	v_lshl_add_u64 v[88:89], v[22:23], 0, s[12:13]
	global_load_dwordx2 v[88:89], v[88:89], off
	v_perm_b32 v18, v97, v18, s2
	ds_write_b32 v95, v18
	s_waitcnt vmcnt(0)
	v_and_b32_e32 v18, 0x7f800000, v88
	v_cmp_ne_u32_e32 vcc, s6, v18
                                        ; implicit-def: $vgpr18
	s_and_saveexec_b64 s[26:27], vcc
	s_xor_b64 s[26:27], exec, s[26:27]
; %bb.14:                               ;   in Loop: Header=BB131_5 Depth=1
	v_bfe_u32 v18, v88, 16, 1
	v_add3_u32 v18, v88, v18, s7
; %bb.15:                               ;   in Loop: Header=BB131_5 Depth=1
	s_andn2_saveexec_b64 s[26:27], s[26:27]
; %bb.16:                               ;   in Loop: Header=BB131_5 Depth=1
	v_or_b32_e32 v18, 0x10000, v88
	v_cmp_eq_u32_sdwa vcc, v88, v19 src0_sel:WORD_0 src1_sel:DWORD
	s_nop 1
	v_cndmask_b32_e32 v18, v18, v88, vcc
; %bb.17:                               ;   in Loop: Header=BB131_5 Depth=1
	s_or_b64 exec, exec, s[26:27]
	v_and_b32_e32 v88, 0x7f800000, v89
	v_cmp_ne_u32_e32 vcc, s6, v88
                                        ; implicit-def: $vgpr97
	s_and_saveexec_b64 s[26:27], vcc
	s_xor_b64 s[26:27], exec, s[26:27]
; %bb.18:                               ;   in Loop: Header=BB131_5 Depth=1
	v_bfe_u32 v88, v89, 16, 1
	v_add3_u32 v97, v89, v88, s7
                                        ; implicit-def: $vgpr88_vgpr89
; %bb.19:                               ;   in Loop: Header=BB131_5 Depth=1
	s_andn2_saveexec_b64 s[26:27], s[26:27]
; %bb.20:                               ;   in Loop: Header=BB131_5 Depth=1
	v_or_b32_e32 v88, 0x10000, v89
	v_cmp_eq_u32_sdwa vcc, v89, v19 src0_sel:WORD_0 src1_sel:DWORD
	s_nop 1
	v_cndmask_b32_e32 v97, v88, v89, vcc
; %bb.21:                               ;   in Loop: Header=BB131_5 Depth=1
	s_or_b64 exec, exec, s[26:27]
	v_add_u32_e32 v88, s14, v94
	v_ashrrev_i32_e32 v89, 31, v88
	v_lshl_add_u64 v[88:89], v[88:89], 3, s[0:1]
	global_load_dwordx2 v[88:89], v[88:89], off
	v_perm_b32 v18, v97, v18, s2
	ds_write_b32 v95, v18 offset:264
	s_waitcnt vmcnt(0)
	v_and_b32_e32 v18, 0x7f800000, v88
	v_cmp_ne_u32_e32 vcc, s6, v18
                                        ; implicit-def: $vgpr18
	s_and_saveexec_b64 s[26:27], vcc
	s_xor_b64 s[26:27], exec, s[26:27]
; %bb.22:                               ;   in Loop: Header=BB131_5 Depth=1
	v_bfe_u32 v18, v88, 16, 1
	v_add3_u32 v18, v88, v18, s7
; %bb.23:                               ;   in Loop: Header=BB131_5 Depth=1
	s_andn2_saveexec_b64 s[26:27], s[26:27]
; %bb.24:                               ;   in Loop: Header=BB131_5 Depth=1
	v_or_b32_e32 v18, 0x10000, v88
	v_cmp_eq_u32_sdwa vcc, v88, v19 src0_sel:WORD_0 src1_sel:DWORD
	s_nop 1
	v_cndmask_b32_e32 v18, v18, v88, vcc
; %bb.25:                               ;   in Loop: Header=BB131_5 Depth=1
	s_or_b64 exec, exec, s[26:27]
	v_and_b32_e32 v88, 0x7f800000, v89
	v_cmp_ne_u32_e32 vcc, s6, v88
                                        ; implicit-def: $vgpr97
	s_and_saveexec_b64 s[26:27], vcc
	s_xor_b64 s[26:27], exec, s[26:27]
; %bb.26:                               ;   in Loop: Header=BB131_5 Depth=1
	v_bfe_u32 v88, v89, 16, 1
	v_add3_u32 v97, v89, v88, s7
                                        ; implicit-def: $vgpr88_vgpr89
; %bb.27:                               ;   in Loop: Header=BB131_5 Depth=1
	s_andn2_saveexec_b64 s[26:27], s[26:27]
; %bb.28:                               ;   in Loop: Header=BB131_5 Depth=1
	v_or_b32_e32 v88, 0x10000, v89
	v_cmp_eq_u32_sdwa vcc, v89, v19 src0_sel:WORD_0 src1_sel:DWORD
	s_nop 1
	v_cndmask_b32_e32 v97, v88, v89, vcc
; %bb.29:                               ;   in Loop: Header=BB131_5 Depth=1
	s_or_b64 exec, exec, s[26:27]
	v_add_u32_e32 v88, s19, v94
	v_ashrrev_i32_e32 v89, 31, v88
	v_lshl_add_u64 v[88:89], v[88:89], 3, s[0:1]
	global_load_dwordx2 v[88:89], v[88:89], off
	v_perm_b32 v18, v97, v18, s2
	ds_write_b32 v95, v18 offset:528
	;; [unrolled: 42-line block ×10, first 2 shown]
	s_waitcnt vmcnt(0)
	v_and_b32_e32 v18, 0x7f800000, v88
	v_cmp_ne_u32_e32 vcc, s6, v18
                                        ; implicit-def: $vgpr18
	s_and_saveexec_b64 s[26:27], vcc
	s_xor_b64 s[26:27], exec, s[26:27]
; %bb.94:                               ;   in Loop: Header=BB131_5 Depth=1
	v_bfe_u32 v18, v88, 16, 1
	v_add3_u32 v18, v88, v18, s7
; %bb.95:                               ;   in Loop: Header=BB131_5 Depth=1
	s_andn2_saveexec_b64 s[26:27], s[26:27]
; %bb.96:                               ;   in Loop: Header=BB131_5 Depth=1
	v_or_b32_e32 v18, 0x10000, v88
	v_cmp_eq_u32_sdwa vcc, v88, v19 src0_sel:WORD_0 src1_sel:DWORD
	s_nop 1
	v_cndmask_b32_e32 v18, v18, v88, vcc
; %bb.97:                               ;   in Loop: Header=BB131_5 Depth=1
	s_or_b64 exec, exec, s[26:27]
	v_and_b32_e32 v88, 0x7f800000, v89
	v_cmp_ne_u32_e32 vcc, s6, v88
                                        ; implicit-def: $vgpr97
	s_and_saveexec_b64 s[26:27], vcc
	s_xor_b64 s[26:27], exec, s[26:27]
; %bb.98:                               ;   in Loop: Header=BB131_5 Depth=1
	v_bfe_u32 v88, v89, 16, 1
	v_add3_u32 v97, v89, v88, s7
                                        ; implicit-def: $vgpr88_vgpr89
; %bb.99:                               ;   in Loop: Header=BB131_5 Depth=1
	s_andn2_saveexec_b64 s[26:27], s[26:27]
; %bb.100:                              ;   in Loop: Header=BB131_5 Depth=1
	v_or_b32_e32 v88, 0x10000, v89
	v_cmp_eq_u32_sdwa vcc, v89, v19 src0_sel:WORD_0 src1_sel:DWORD
	s_nop 1
	v_cndmask_b32_e32 v97, v88, v89, vcc
; %bb.101:                              ;   in Loop: Header=BB131_5 Depth=1
	s_or_b64 exec, exec, s[26:27]
	v_add_u32_e32 v88, s37, v94
	v_ashrrev_i32_e32 v89, 31, v88
	v_lshl_add_u64 v[88:89], v[88:89], 3, s[0:1]
	global_load_dwordx2 v[88:89], v[88:89], off
	v_perm_b32 v18, v97, v18, s2
	ds_write_b32 v95, v18 offset:2904
	s_waitcnt vmcnt(0)
	v_and_b32_e32 v18, 0x7f800000, v88
	v_cmp_ne_u32_e32 vcc, s6, v18
                                        ; implicit-def: $vgpr18
	s_and_saveexec_b64 s[26:27], vcc
	s_xor_b64 s[26:27], exec, s[26:27]
; %bb.102:                              ;   in Loop: Header=BB131_5 Depth=1
	v_bfe_u32 v18, v88, 16, 1
	v_add3_u32 v18, v88, v18, s7
; %bb.103:                              ;   in Loop: Header=BB131_5 Depth=1
	s_andn2_saveexec_b64 s[26:27], s[26:27]
; %bb.104:                              ;   in Loop: Header=BB131_5 Depth=1
	v_or_b32_e32 v18, 0x10000, v88
	v_cmp_eq_u32_sdwa vcc, v88, v19 src0_sel:WORD_0 src1_sel:DWORD
	s_nop 1
	v_cndmask_b32_e32 v18, v18, v88, vcc
; %bb.105:                              ;   in Loop: Header=BB131_5 Depth=1
	s_or_b64 exec, exec, s[26:27]
	v_and_b32_e32 v88, 0x7f800000, v89
	v_cmp_ne_u32_e32 vcc, s6, v88
                                        ; implicit-def: $vgpr97
	s_and_saveexec_b64 s[26:27], vcc
	s_xor_b64 s[26:27], exec, s[26:27]
; %bb.106:                              ;   in Loop: Header=BB131_5 Depth=1
	v_bfe_u32 v88, v89, 16, 1
	v_add3_u32 v97, v89, v88, s7
                                        ; implicit-def: $vgpr88_vgpr89
; %bb.107:                              ;   in Loop: Header=BB131_5 Depth=1
	s_andn2_saveexec_b64 s[26:27], s[26:27]
; %bb.108:                              ;   in Loop: Header=BB131_5 Depth=1
	v_or_b32_e32 v88, 0x10000, v89
	v_cmp_eq_u32_sdwa vcc, v89, v19 src0_sel:WORD_0 src1_sel:DWORD
	s_nop 1
	v_cndmask_b32_e32 v97, v88, v89, vcc
; %bb.109:                              ;   in Loop: Header=BB131_5 Depth=1
	s_or_b64 exec, exec, s[26:27]
	v_add_u32_e32 v88, s38, v94
	v_ashrrev_i32_e32 v89, 31, v88
	v_lshl_add_u64 v[88:89], v[88:89], 3, s[0:1]
	global_load_dwordx2 v[88:89], v[88:89], off
	v_perm_b32 v18, v97, v18, s2
	ds_write_b32 v95, v18 offset:3168
	s_waitcnt vmcnt(0)
	v_and_b32_e32 v18, 0x7f800000, v88
	v_cmp_ne_u32_e32 vcc, s6, v18
                                        ; implicit-def: $vgpr18
	s_and_saveexec_b64 s[26:27], vcc
	s_xor_b64 s[26:27], exec, s[26:27]
; %bb.110:                              ;   in Loop: Header=BB131_5 Depth=1
	v_bfe_u32 v18, v88, 16, 1
	v_add3_u32 v18, v88, v18, s7
; %bb.111:                              ;   in Loop: Header=BB131_5 Depth=1
	s_andn2_saveexec_b64 s[26:27], s[26:27]
; %bb.112:                              ;   in Loop: Header=BB131_5 Depth=1
	v_or_b32_e32 v18, 0x10000, v88
	v_cmp_eq_u32_sdwa vcc, v88, v19 src0_sel:WORD_0 src1_sel:DWORD
	s_nop 1
	v_cndmask_b32_e32 v18, v18, v88, vcc
; %bb.113:                              ;   in Loop: Header=BB131_5 Depth=1
	s_or_b64 exec, exec, s[26:27]
	v_and_b32_e32 v88, 0x7f800000, v89
	v_cmp_ne_u32_e32 vcc, s6, v88
                                        ; implicit-def: $vgpr97
	s_and_saveexec_b64 s[26:27], vcc
	s_xor_b64 s[26:27], exec, s[26:27]
; %bb.114:                              ;   in Loop: Header=BB131_5 Depth=1
	v_bfe_u32 v88, v89, 16, 1
	v_add3_u32 v97, v89, v88, s7
                                        ; implicit-def: $vgpr88_vgpr89
; %bb.115:                              ;   in Loop: Header=BB131_5 Depth=1
	s_andn2_saveexec_b64 s[26:27], s[26:27]
	s_cbranch_execz .LBB131_4
; %bb.116:                              ;   in Loop: Header=BB131_5 Depth=1
	v_or_b32_e32 v88, 0x10000, v89
	v_cmp_eq_u32_sdwa vcc, v89, v19 src0_sel:WORD_0 src1_sel:DWORD
	s_nop 1
	v_cndmask_b32_e32 v97, v88, v89, vcc
	s_branch .LBB131_4
.LBB131_117:
	s_or_b64 exec, exec, s[16:17]
	v_readlane_b32 s6, v102, 0
	v_readlane_b32 s27, v102, 2
	;; [unrolled: 1-line block ×3, first 2 shown]
.LBB131_118:
	s_or_b64 exec, exec, s[24:25]
	s_waitcnt lgkmcnt(0)
	s_mul_hi_i32 s1, s15, s4
	s_mul_i32 s0, s15, s4
	s_lshl_b64 s[0:1], s[0:1], 2
	v_mul_u32_u24_e32 v0, 0x308, v93
	v_lshlrev_b32_e32 v1, 2, v92
	v_or_b32_e32 v2, 12, v91
	s_mul_i32 s2, s3, s11
	s_add_u32 s4, s6, s0
	v_add3_u32 v0, 0, v0, v1
	v_and_b32_e32 v1, 0x3f0, v91
	v_and_b32_e32 v2, 0x3fc, v2
	s_addc_u32 s5, s7, s1
	s_ashr_i32 s3, s2, 31
	v_add_u32_e32 v1, v0, v1
	v_add_u32_e32 v0, v0, v2
	s_lshl_b64 s[0:1], s[2:3], 2
	s_barrier
	s_movk_i32 s2, 0x308
	ds_write2_b32 v1, a12, a13 offset1:1
	ds_write_b32 v1, a14 offset:8
	ds_write_b32 v0, a15
	ds_write2_b32 v1, a8, a9 offset0:16 offset1:17
	ds_write_b32 v1, a10 offset:72
	ds_write_b32 v0, a11 offset:64
	ds_write2_b32 v1, a4, a5 offset0:32 offset1:33
	ds_write_b32 v1, a6 offset:136
	ds_write_b32 v0, a7 offset:128
	;; [unrolled: 3-line block ×3, first 2 shown]
	v_lshl_add_u32 v1, v91, 2, 0
	v_mad_u32_u24 v8, v90, s2, v1
	s_waitcnt lgkmcnt(0)
	s_barrier
	ds_read2st64_b32 v[2:3], v8 offset1:1
	ds_read_b32 v4, v8 offset:512
	ds_read_b32 v9, v8 offset:2840
	;; [unrolled: 1-line block ×4, first 2 shown]
	s_waitcnt lgkmcnt(4)
	v_add_f32_e32 v2, 0, v2
	v_add_f32_e32 v2, v2, v3
	s_waitcnt lgkmcnt(3)
	v_add_f32_e32 v12, v2, v4
	v_add_u32_e32 v2, 24, v8
	ds_read2st64_b32 v[4:5], v2 offset0:9 offset1:10
	s_add_u32 s0, s4, s0
	v_add_u32_e32 v0, s27, v91
	s_addc_u32 s1, s5, s1
	v_mad_u64_u32 v[2:3], s[4:5], v90, s18, v[0:1]
	s_waitcnt lgkmcnt(0)
	v_add_f32_e32 v4, 0, v4
	v_add_f32_e32 v4, v4, v5
	;; [unrolled: 1-line block ×3, first 2 shown]
	v_add_u32_e32 v4, 48, v8
	ds_read2st64_b32 v[4:5], v4 offset0:18 offset1:19
	v_mov_b32_e32 v3, 0
	s_mul_i32 s3, s18, 3
	v_lshl_add_u64 v[6:7], v[2:3], 2, s[0:1]
	v_add_u32_e32 v2, s3, v2
	global_store_dword v[6:7], v12, off
	v_lshl_add_u64 v[6:7], v[2:3], 2, s[0:1]
	s_waitcnt lgkmcnt(0)
	v_add_f32_e32 v4, 0, v4
	global_store_dword v[6:7], v9, off
	v_add_f32_e32 v6, v4, v5
	v_add_u32_e32 v4, 0x48, v8
	ds_read2st64_b32 v[4:5], v4 offset0:27 offset1:28
	v_add_u32_e32 v2, s3, v2
	v_add_f32_e32 v8, v6, v10
	v_lshl_add_u64 v[6:7], v[2:3], 2, s[0:1]
	v_add_u32_e32 v2, s3, v2
	s_waitcnt lgkmcnt(0)
	v_add_f32_e32 v4, 0, v4
	v_add_f32_e32 v4, v4, v5
	global_store_dword v[6:7], v8, off
	v_add_f32_e32 v6, v4, v11
	v_lshl_add_u64 v[4:5], v[2:3], 2, s[0:1]
	v_cmp_gt_u32_e32 vcc, 2, v90
	global_store_dword v[4:5], v6, off
	s_and_saveexec_b64 s[4:5], vcc
	s_cbranch_execz .LBB131_120
; %bb.119:
	v_or_b32_e32 v2, 12, v90
	v_mad_u32_u24 v1, v2, s2, v1
	ds_read2st64_b32 v[4:5], v1 offset1:1
	ds_read_b32 v6, v1 offset:512
	v_mad_u64_u32 v[0:1], s[2:3], v2, s18, v[0:1]
	v_mov_b32_e32 v1, v3
	s_waitcnt lgkmcnt(1)
	v_add_f32_e32 v2, 0, v4
	v_add_f32_e32 v2, v2, v5
	s_waitcnt lgkmcnt(0)
	v_add_f32_e32 v2, v2, v6
	v_lshl_add_u64 v[0:1], v[0:1], 2, s[0:1]
	global_store_dword v[0:1], v2, off
.LBB131_120:
	s_endpgm
	.section	.rodata,"a",@progbits
	.p2align	6, 0x0
	.amdhsa_kernel _ZL9mul_mat_fI15__hip_bfloat162Li64ELi14ELi3ELb0EEvPKT_PKfPKiPfiiiiiiiiiiiiiiii
		.amdhsa_group_segment_fixed_size 0
		.amdhsa_private_segment_fixed_size 0
		.amdhsa_kernarg_size 96
		.amdhsa_user_sgpr_count 2
		.amdhsa_user_sgpr_dispatch_ptr 0
		.amdhsa_user_sgpr_queue_ptr 0
		.amdhsa_user_sgpr_kernarg_segment_ptr 1
		.amdhsa_user_sgpr_dispatch_id 0
		.amdhsa_user_sgpr_kernarg_preload_length 0
		.amdhsa_user_sgpr_kernarg_preload_offset 0
		.amdhsa_user_sgpr_private_segment_size 0
		.amdhsa_uses_dynamic_stack 0
		.amdhsa_enable_private_segment 0
		.amdhsa_system_sgpr_workgroup_id_x 1
		.amdhsa_system_sgpr_workgroup_id_y 1
		.amdhsa_system_sgpr_workgroup_id_z 1
		.amdhsa_system_sgpr_workgroup_info 0
		.amdhsa_system_vgpr_workitem_id 1
		.amdhsa_next_free_vgpr 128
		.amdhsa_next_free_sgpr 100
		.amdhsa_accum_offset 104
		.amdhsa_reserve_vcc 1
		.amdhsa_float_round_mode_32 0
		.amdhsa_float_round_mode_16_64 0
		.amdhsa_float_denorm_mode_32 3
		.amdhsa_float_denorm_mode_16_64 3
		.amdhsa_dx10_clamp 1
		.amdhsa_ieee_mode 1
		.amdhsa_fp16_overflow 0
		.amdhsa_tg_split 0
		.amdhsa_exception_fp_ieee_invalid_op 0
		.amdhsa_exception_fp_denorm_src 0
		.amdhsa_exception_fp_ieee_div_zero 0
		.amdhsa_exception_fp_ieee_overflow 0
		.amdhsa_exception_fp_ieee_underflow 0
		.amdhsa_exception_fp_ieee_inexact 0
		.amdhsa_exception_int_div_zero 0
	.end_amdhsa_kernel
	.section	.text._ZL9mul_mat_fI15__hip_bfloat162Li64ELi14ELi3ELb0EEvPKT_PKfPKiPfiiiiiiiiiiiiiiii,"axG",@progbits,_ZL9mul_mat_fI15__hip_bfloat162Li64ELi14ELi3ELb0EEvPKT_PKfPKiPfiiiiiiiiiiiiiiii,comdat
.Lfunc_end131:
	.size	_ZL9mul_mat_fI15__hip_bfloat162Li64ELi14ELi3ELb0EEvPKT_PKfPKiPfiiiiiiiiiiiiiiii, .Lfunc_end131-_ZL9mul_mat_fI15__hip_bfloat162Li64ELi14ELi3ELb0EEvPKT_PKfPKiPfiiiiiiiiiiiiiiii
                                        ; -- End function
	.section	.AMDGPU.csdata,"",@progbits
; Kernel info:
; codeLenInByte = 7504
; NumSgprs: 106
; NumVgprs: 103
; NumAgprs: 24
; TotalNumVgprs: 128
; ScratchSize: 0
; MemoryBound: 0
; FloatMode: 240
; IeeeMode: 1
; LDSByteSize: 0 bytes/workgroup (compile time only)
; SGPRBlocks: 13
; VGPRBlocks: 15
; NumSGPRsForWavesPerEU: 106
; NumVGPRsForWavesPerEU: 128
; AccumOffset: 104
; Occupancy: 4
; WaveLimiterHint : 0
; COMPUTE_PGM_RSRC2:SCRATCH_EN: 0
; COMPUTE_PGM_RSRC2:USER_SGPR: 2
; COMPUTE_PGM_RSRC2:TRAP_HANDLER: 0
; COMPUTE_PGM_RSRC2:TGID_X_EN: 1
; COMPUTE_PGM_RSRC2:TGID_Y_EN: 1
; COMPUTE_PGM_RSRC2:TGID_Z_EN: 1
; COMPUTE_PGM_RSRC2:TIDIG_COMP_CNT: 1
; COMPUTE_PGM_RSRC3_GFX90A:ACCUM_OFFSET: 25
; COMPUTE_PGM_RSRC3_GFX90A:TG_SPLIT: 0
	.section	.text._ZL13mul_mat_f_idsI15__hip_bfloat162Li64ELi14ELi4EEvPKT_PKfPKiS7_S7_Pfiiiiiiiiiiiiii15HIP_vector_typeIjLj3EESA_,"axG",@progbits,_ZL13mul_mat_f_idsI15__hip_bfloat162Li64ELi14ELi4EEvPKT_PKfPKiS7_S7_Pfiiiiiiiiiiiiii15HIP_vector_typeIjLj3EESA_,comdat
	.globl	_ZL13mul_mat_f_idsI15__hip_bfloat162Li64ELi14ELi4EEvPKT_PKfPKiS7_S7_Pfiiiiiiiiiiiiii15HIP_vector_typeIjLj3EESA_ ; -- Begin function _ZL13mul_mat_f_idsI15__hip_bfloat162Li64ELi14ELi4EEvPKT_PKfPKiS7_S7_Pfiiiiiiiiiiiiii15HIP_vector_typeIjLj3EESA_
	.p2align	8
	.type	_ZL13mul_mat_f_idsI15__hip_bfloat162Li64ELi14ELi4EEvPKT_PKfPKiS7_S7_Pfiiiiiiiiiiiiii15HIP_vector_typeIjLj3EESA_,@function
_ZL13mul_mat_f_idsI15__hip_bfloat162Li64ELi14ELi4EEvPKT_PKfPKiS7_S7_Pfiiiiiiiiiiiiii15HIP_vector_typeIjLj3EESA_: ; @_ZL13mul_mat_f_idsI15__hip_bfloat162Li64ELi14ELi4EEvPKT_PKfPKiS7_S7_Pfiiiiiiiiiiiiii15HIP_vector_typeIjLj3EESA_
; %bb.0:
	s_load_dwordx2 s[6:7], s[0:1], 0x20
	s_mov_b32 s34, s3
	s_ashr_i32 s35, s3, 31
	s_lshl_b64 s[8:9], s[34:35], 2
	s_waitcnt lgkmcnt(0)
	s_add_u32 s6, s6, s8
	s_addc_u32 s7, s7, s9
	s_load_dwordx2 s[26:27], s[6:7], 0x0
	s_waitcnt lgkmcnt(0)
	s_sub_i32 s33, s27, s26
	s_add_i32 s3, s33, 13
	s_mul_hi_i32 s5, s3, 0x92492493
	s_add_i32 s5, s5, s3
	s_lshr_b32 s3, s5, 31
	s_ashr_i32 s5, s5, 3
	s_add_i32 s5, s5, s3
	s_cmp_ge_i32 s4, s5
	s_cbranch_scc1 .LBB132_174
; %bb.1:
	v_bfe_u32 v16, v0, 10, 10
	v_lshlrev_b32_e32 v114, 6, v16
	v_and_b32_e32 v17, 0x3ff, v0
	s_load_dwordx4 s[12:15], s[0:1], 0x30
	s_load_dwordx2 s[20:21], s[0:1], 0x40
	s_load_dwordx4 s[8:11], s[0:1], 0x4c
	s_load_dwordx4 s[16:19], s[0:1], 0x68
	s_load_dwordx2 s[24:25], s[0:1], 0x78
	v_add_u32_e32 v116, v114, v17
	s_ashr_i32 s27, s26, 31
	s_waitcnt lgkmcnt(0)
	v_cmp_le_i32_e32 vcc, s12, v116
	v_and_b32_e32 v115, 15, v17
                                        ; implicit-def: $sgpr3
	s_and_saveexec_b64 s[6:7], vcc
	s_xor_b64 s[6:7], exec, s[6:7]
; %bb.2:
	v_and_b32_e32 v115, 15, v17
	s_mov_b32 s3, 0
                                        ; implicit-def: $vgpr116
; %bb.3:
	s_or_saveexec_b64 s[22:23], s[6:7]
	s_load_dwordx2 s[6:7], s[0:1], 0x18
                                        ; implicit-def: $vgpr119 : SGPR spill to VGPR lane
	s_lshl_b32 s11, s2, 6
	s_mul_i32 s2, s4, 14
	v_accvgpr_write_b32 a0, s3
	v_accvgpr_write_b32 a1, s3
	s_waitcnt lgkmcnt(0)
	v_writelane_b32 v119, s6, 0
	v_accvgpr_write_b32 a2, s3
	v_accvgpr_write_b32 a3, s3
	v_writelane_b32 v119, s7, 1
	s_load_dwordx2 s[6:7], s[0:1], 0x28
	v_accvgpr_write_b32 a4, s3
	v_accvgpr_write_b32 a5, s3
	;; [unrolled: 1-line block ×4, first 2 shown]
	s_waitcnt lgkmcnt(0)
	v_writelane_b32 v119, s6, 2
	v_accvgpr_write_b32 a8, s3
	v_accvgpr_write_b32 a9, s3
	v_writelane_b32 v119, s7, 3
	v_accvgpr_write_b32 a10, s3
	v_accvgpr_write_b32 a11, s3
	;; [unrolled: 1-line block ×6, first 2 shown]
	v_writelane_b32 v119, s22, 4
	s_nop 1
	v_writelane_b32 v119, s23, 5
	s_xor_b64 exec, exec, s[22:23]
	s_cbranch_execz .LBB132_161
; %bb.4:
	v_writelane_b32 v119, s24, 6
	s_load_dwordx4 s[4:7], s[0:1], 0x0
	s_load_dwordx2 s[22:23], s[0:1], 0x10
	v_writelane_b32 v119, s25, 7
	s_mul_i32 s0, s34, s8
	s_mul_i32 s24, s11, s15
	s_ashr_i32 s1, s0, 31
	s_ashr_i32 s25, s24, 31
	s_lshl_b64 s[24:25], s[24:25], 2
	s_lshl_b64 s[0:1], s[0:1], 2
	s_add_u32 s24, s0, s24
	v_writelane_b32 v119, s11, 8
	s_addc_u32 s25, s1, s25
	s_waitcnt lgkmcnt(0)
	s_add_u32 s0, s24, s4
	v_writelane_b32 v119, s26, 9
	s_addc_u32 s1, s25, s5
	s_movk_i32 s3, 0x1080
	v_writelane_b32 v119, s27, 10
	s_lshl_b64 s[26:27], s[26:27], 2
	s_add_u32 s8, s22, s26
	s_addc_u32 s11, s23, s27
	s_cmp_lt_i32 s2, s33
	v_mad_u32_u24 v1, v16, s3, 0
	s_cselect_b64 s[34:35], -1, 0
	s_ashr_i32 s3, s2, 31
	s_lshl_b64 s[22:23], s[2:3], 2
	s_add_u32 s36, s8, s22
	s_addc_u32 s37, s11, s23
	s_or_b32 s3, s2, 1
	s_cmp_lt_i32 s3, s33
	v_lshrrev_b32_e32 v3, 1, v17
	s_cselect_b64 s[38:39], -1, 0
	s_add_i32 s3, s2, 2
	v_mov_b32_e32 v19, 0
	v_lshlrev_b32_e32 v0, 2, v17
	v_mul_u32_u24_e32 v2, 0x108, v115
	v_and_b32_e32 v3, 0x1f8, v3
	s_cmp_lt_i32 s3, s33
	v_lshlrev_b32_e32 v18, 8, v16
	v_add_u32_e32 v117, v1, v0
	v_add3_u32 v118, v1, v2, v3
	s_cselect_b64 s[40:41], -1, 0
	s_add_i32 s3, s2, 3
	v_lshl_add_u64 v[2:3], s[24:25], 0, v[18:19]
	v_mov_b32_e32 v1, v19
	s_cmp_lt_i32 s3, s33
	v_lshl_add_u64 v[0:1], v[2:3], 0, v[0:1]
	s_cselect_b64 s[42:43], -1, 0
	s_add_i32 s3, s2, 4
	v_lshl_add_u64 v[20:21], s[4:5], 0, v[0:1]
	s_mul_i32 s4, s15, 3
	s_cmp_lt_i32 s3, s33
	v_writelane_b32 v119, s4, 11
	s_mul_i32 s4, s15, 5
	s_cselect_b64 s[44:45], -1, 0
	s_add_i32 s3, s2, 5
	v_writelane_b32 v119, s4, 12
	s_mul_i32 s4, s15, 6
	s_cmp_lt_i32 s3, s33
	v_writelane_b32 v119, s4, 13
	s_mul_i32 s4, s15, 7
	s_cselect_b64 s[46:47], -1, 0
	s_add_i32 s3, s2, 6
	v_writelane_b32 v119, s4, 14
	s_mul_i32 s4, s15, 9
	s_cmp_lt_i32 s3, s33
	v_writelane_b32 v119, s4, 15
	s_mul_i32 s4, s15, 10
	s_cselect_b64 s[48:49], -1, 0
	s_add_i32 s3, s2, 7
	v_writelane_b32 v119, s4, 16
	s_mul_i32 s4, s15, 11
	s_cmp_lt_i32 s3, s33
	v_writelane_b32 v119, s4, 17
	s_mul_i32 s4, s15, 12
	s_cselect_b64 s[50:51], -1, 0
	s_add_i32 s3, s2, 8
	v_writelane_b32 v119, s4, 18
	s_mul_i32 s4, s15, 13
	s_cmp_lt_i32 s3, s33
	v_writelane_b32 v119, s4, 19
	s_mul_i32 s4, s15, 14
	s_cselect_b64 s[52:53], -1, 0
	s_add_i32 s3, s2, 9
	v_writelane_b32 v119, s4, 20
	s_mul_i32 s4, s15, 15
	s_cmp_lt_i32 s3, s33
	v_writelane_b32 v119, s4, 21
	s_mul_i32 s4, s15, 17
	s_cselect_b64 s[54:55], -1, 0
	s_add_i32 s3, s2, 10
	v_writelane_b32 v119, s4, 22
	s_mul_i32 s4, s15, 18
	s_cmp_lt_i32 s3, s33
	v_writelane_b32 v119, s4, 23
	s_mul_i32 s4, s15, 19
	s_cselect_b64 s[56:57], -1, 0
	s_add_i32 s3, s2, 11
	v_writelane_b32 v119, s4, 24
	s_mul_i32 s4, s15, 20
	s_cmp_lt_i32 s3, s33
	v_writelane_b32 v119, s4, 25
	s_mul_i32 s4, s15, 21
	s_cselect_b64 s[58:59], -1, 0
	s_add_i32 s3, s2, 12
	v_writelane_b32 v119, s4, 26
	s_mul_i32 s4, s15, 22
	s_cmp_lt_i32 s3, s33
	v_writelane_b32 v119, s4, 27
	s_mul_i32 s4, s15, 23
	s_cselect_b64 s[60:61], -1, 0
	s_add_i32 s3, s2, 13
	v_writelane_b32 v119, s4, 28
	s_mul_i32 s4, s15, 24
	s_cmp_lt_i32 s3, s33
	v_writelane_b32 v119, s4, 29
	s_mul_i32 s4, s15, 25
	s_cselect_b64 s[62:63], -1, 0
	s_ashr_i32 s23, s15, 31
	s_mov_b32 s22, s15
	v_writelane_b32 v119, s4, 30
	s_mul_i32 s4, s15, 26
	s_lshl_b64 s[64:65], s[22:23], 2
	s_lshl_b32 s3, s15, 1
	s_lshl_b32 s70, s15, 2
	;; [unrolled: 1-line block ×4, first 2 shown]
	v_writelane_b32 v119, s4, 31
	s_mul_i32 s93, s15, 27
	v_accvgpr_write_b32 a15, 0
	v_accvgpr_write_b32 a14, 0
	;; [unrolled: 1-line block ×16, first 2 shown]
	s_mul_i32 s94, s15, 28
	s_mul_i32 s95, s15, 29
	;; [unrolled: 1-line block ×4, first 2 shown]
	s_lshl_b32 s98, s15, 5
	s_mul_i32 s99, s15, 33
	s_mul_i32 s24, s15, 34
	s_mul_i32 s25, s15, 35
	s_mul_i32 s28, s15, 36
	s_mul_i32 s29, s15, 37
	s_mul_i32 s22, s15, 38
	s_mul_i32 s23, s15, 39
	s_mul_i32 s11, s15, 40
	s_mul_i32 s30, s15, 41
	s_mul_i32 s31, s15, 42
	s_mul_i32 s26, s15, 43
	s_mul_i32 s27, s15, 44
	s_mul_i32 s8, s15, 45
	s_mul_i32 s71, s15, 46
	s_mul_i32 s72, s15, 47
	s_mul_i32 s73, s15, 48
	s_mul_i32 s75, s15, 49
	s_mul_i32 s76, s15, 50
	s_mul_i32 s77, s15, 51
	s_mul_i32 s78, s15, 52
	s_mul_i32 s79, s15, 53
	s_mul_i32 s80, s15, 54
	s_mul_i32 s81, s15, 55
	s_mul_i32 s83, s15, 56
	s_mul_i32 s84, s15, 57
	s_mul_i32 s85, s15, 58
	s_mul_i32 s86, s15, 59
	s_mul_i32 s87, s15, 60
	s_mul_i32 s88, s15, 61
	s_mul_i32 s89, s15, 62
	s_mul_i32 s15, s15, 63
	s_mov_b32 s90, 0x7f800000
	s_movk_i32 s91, 0x7fff
	s_mov_b32 s92, 0x7060302
	s_mov_b64 s[4:5], 0
	s_mov_b64 s[66:67], 0x400
	s_branch .LBB132_6
.LBB132_5:                              ;   in Loop: Header=BB132_6 Depth=1
	s_or_b64 exec, exec, s[68:69]
	v_perm_b32 v18, v86, v18, s92
	v_add_u32_e32 v86, 0xc00, v117
	ds_write2_b32 v86, v18, v19 offset0:90 offset1:156
	ds_write_b32 v117, v19 offset:3960
	ds_read2_b64 v[86:89], v118 offset1:4
	v_accvgpr_write_b32 a0, v12
	v_accvgpr_write_b32 a4, v8
	;; [unrolled: 1-line block ×16, first 2 shown]
	s_waitcnt lgkmcnt(0)
	v_mfma_f32_16x16x16_bf16 a[0:3], v[28:29], v[86:87], a[0:3]
	ds_read2_b64 v[0:3], v118 offset0:8 offset1:12
	v_add_u32_e32 v116, 0x100, v116
	v_cmp_le_i32_e32 vcc, s12, v116
	v_mfma_f32_16x16x16_bf16 a[4:7], v[54:55], v[86:87], a[4:7]
	v_lshl_add_u64 v[20:21], v[20:21], 0, s[66:67]
	s_or_b64 s[4:5], vcc, s[4:5]
	v_mfma_f32_16x16x16_bf16 a[8:11], v[68:69], v[86:87], a[8:11]
	v_mfma_f32_16x16x16_bf16 a[12:15], v[84:85], v[86:87], a[12:15]
	;; [unrolled: 1-line block ×6, first 2 shown]
	s_waitcnt lgkmcnt(0)
	v_mfma_f32_16x16x16_bf16 a[0:3], v[24:25], v[0:1], a[0:3]
	v_mfma_f32_16x16x16_bf16 a[4:7], v[48:49], v[0:1], a[4:7]
	v_mfma_f32_16x16x16_bf16 a[8:11], v[64:65], v[0:1], a[8:11]
	v_mfma_f32_16x16x16_bf16 a[12:15], v[78:79], v[0:1], a[12:15]
	v_mfma_f32_16x16x16_bf16 a[0:3], v[22:23], v[2:3], a[0:3]
	v_mfma_f32_16x16x16_bf16 a[4:7], v[46:47], v[2:3], a[4:7]
	v_mfma_f32_16x16x16_bf16 a[8:11], v[62:63], v[2:3], a[8:11]
	v_mfma_f32_16x16x16_bf16 a[12:15], v[74:75], v[2:3], a[12:15]
	ds_read2_b64 v[0:3], v118 offset0:16 offset1:20
	s_waitcnt lgkmcnt(0)
	v_mfma_f32_16x16x16_bf16 a[0:3], v[36:37], v[0:1], a[0:3]
	v_mfma_f32_16x16x16_bf16 a[4:7], v[44:45], v[0:1], a[4:7]
	;; [unrolled: 1-line block ×8, first 2 shown]
	ds_read2_b64 v[0:3], v118 offset0:24 offset1:28
	s_waitcnt lgkmcnt(0)
	v_mfma_f32_16x16x16_bf16 a[0:3], v[32:33], v[0:1], a[0:3]
	v_mfma_f32_16x16x16_bf16 a[4:7], v[40:41], v[0:1], a[4:7]
	;; [unrolled: 1-line block ×8, first 2 shown]
	s_andn2_b64 exec, exec, s[4:5]
	s_cbranch_execz .LBB132_160
.LBB132_6:                              ; =>This Inner Loop Header: Depth=1
	v_readlane_b32 s68, v119, 11
	v_lshl_add_u64 v[0:1], v[20:21], 0, s[64:65]
	global_load_dword v18, v[20:21], off
	global_load_dword v22, v[0:1], off
	v_add_u32_e32 v2, s68, v116
	v_readlane_b32 s68, v119, 12
	v_add_u32_e32 v0, s3, v116
	v_add_u32_e32 v12, s74, v116
	;; [unrolled: 1-line block ×3, first 2 shown]
	v_readlane_b32 s68, v119, 13
	v_ashrrev_i32_e32 v1, 31, v0
	v_add_u32_e32 v4, s70, v116
	v_add_u32_e32 v8, s68, v116
	v_readlane_b32 s68, v119, 14
	v_ashrrev_i32_e32 v13, 31, v12
	v_lshl_add_u64 v[0:1], v[0:1], 2, s[0:1]
	v_add_u32_e32 v10, s68, v116
	v_readlane_b32 s68, v119, 15
	v_ashrrev_i32_e32 v3, 31, v2
	v_ashrrev_i32_e32 v5, 31, v4
	v_add_u32_e32 v14, s68, v116
	v_ashrrev_i32_e32 v7, 31, v6
	v_ashrrev_i32_e32 v9, 31, v8
	;; [unrolled: 1-line block ×3, first 2 shown]
	v_lshl_add_u64 v[12:13], v[12:13], 2, s[0:1]
	v_ashrrev_i32_e32 v15, 31, v14
	v_readlane_b32 s68, v119, 16
	v_lshl_add_u64 v[2:3], v[2:3], 2, s[0:1]
	v_lshl_add_u64 v[4:5], v[4:5], 2, s[0:1]
	;; [unrolled: 1-line block ×6, first 2 shown]
	global_load_dword v23, v[0:1], off
	global_load_dword v24, v[2:3], off
	;; [unrolled: 1-line block ×6, first 2 shown]
	s_nop 0
	global_load_dword v12, v[12:13], off
	s_nop 0
	global_load_dword v13, v[14:15], off
	v_add_u32_e32 v0, s68, v116
	v_readlane_b32 s68, v119, 17
	v_ashrrev_i32_e32 v1, 31, v0
	v_lshl_add_u64 v[0:1], v[0:1], 2, s[0:1]
	v_add_u32_e32 v2, s68, v116
	v_readlane_b32 s68, v119, 18
	v_ashrrev_i32_e32 v3, 31, v2
	v_lshl_add_u64 v[2:3], v[2:3], 2, s[0:1]
	;; [unrolled: 4-line block ×5, first 2 shown]
	v_add_u32_e32 v10, s68, v116
	v_ashrrev_i32_e32 v11, 31, v10
	v_lshl_add_u64 v[10:11], v[10:11], 2, s[0:1]
	global_load_dword v14, v[0:1], off
	global_load_dword v15, v[2:3], off
	s_nop 0
	global_load_dword v4, v[4:5], off
	s_nop 0
	global_load_dword v5, v[6:7], off
	s_nop 0
	global_load_dword v6, v[8:9], off
	global_load_dword v7, v[10:11], off
	v_add_u32_e32 v0, s82, v116
	v_readlane_b32 s68, v119, 22
	v_ashrrev_i32_e32 v1, 31, v0
	v_lshl_add_u64 v[0:1], v[0:1], 2, s[0:1]
	v_add_u32_e32 v2, s68, v116
	v_ashrrev_i32_e32 v3, 31, v2
	v_readlane_b32 s68, v119, 23
	v_lshl_add_u64 v[2:3], v[2:3], 2, s[0:1]
	global_load_dword v38, v[0:1], off
	global_load_dword v39, v[2:3], off
	v_add_u32_e32 v0, s68, v116
	v_readlane_b32 s68, v119, 24
	v_ashrrev_i32_e32 v1, 31, v0
	v_lshl_add_u64 v[0:1], v[0:1], 2, s[0:1]
	v_add_u32_e32 v2, s68, v116
	v_readlane_b32 s68, v119, 25
	v_ashrrev_i32_e32 v3, 31, v2
	v_lshl_add_u64 v[2:3], v[2:3], 2, s[0:1]
	s_andn2_b64 vcc, exec, s[34:35]
	v_mov_b32_e32 v112, 0
	v_mov_b32_e32 v113, 0
	s_waitcnt vmcnt(17)
	ds_write_b32 v117, v18
	s_waitcnt vmcnt(16)
	ds_write_b32 v117, v22 offset:264
	s_waitcnt vmcnt(15)
	ds_write_b32 v117, v23 offset:528
	;; [unrolled: 2-line block ×15, first 2 shown]
	v_add_u32_e32 v4, s68, v116
	v_readlane_b32 s68, v119, 26
	v_ashrrev_i32_e32 v5, 31, v4
	ds_read_b64 v[28:29], v118
	ds_read_b64 v[26:27], v118 offset:32
	ds_read_b64 v[24:25], v118 offset:64
	;; [unrolled: 1-line block ×3, first 2 shown]
	v_add_u32_e32 v6, s68, v116
	v_readlane_b32 s68, v119, 27
	v_ashrrev_i32_e32 v7, 31, v6
	v_lshl_add_u64 v[4:5], v[4:5], 2, s[0:1]
	v_add_u32_e32 v8, s68, v116
	v_readlane_b32 s68, v119, 28
	v_ashrrev_i32_e32 v9, 31, v8
	v_lshl_add_u64 v[6:7], v[6:7], 2, s[0:1]
	v_add_u32_e32 v10, s68, v116
	v_readlane_b32 s68, v119, 29
	v_ashrrev_i32_e32 v11, 31, v10
	v_lshl_add_u64 v[8:9], v[8:9], 2, s[0:1]
	v_add_u32_e32 v12, s68, v116
	v_readlane_b32 s68, v119, 30
	v_ashrrev_i32_e32 v13, 31, v12
	v_lshl_add_u64 v[10:11], v[10:11], 2, s[0:1]
	v_add_u32_e32 v14, s68, v116
	v_ashrrev_i32_e32 v15, 31, v14
	v_readlane_b32 s68, v119, 31
	v_lshl_add_u64 v[12:13], v[12:13], 2, s[0:1]
	v_lshl_add_u64 v[14:15], v[14:15], 2, s[0:1]
	global_load_dword v18, v[0:1], off
	global_load_dword v40, v[2:3], off
	global_load_dword v41, v[4:5], off
	global_load_dword v42, v[6:7], off
	global_load_dword v43, v[8:9], off
	global_load_dword v44, v[10:11], off
	global_load_dword v45, v[12:13], off
	global_load_dword v46, v[14:15], off
	v_add_u32_e32 v0, s68, v116
	v_ashrrev_i32_e32 v1, 31, v0
	v_add_u32_e32 v2, s93, v116
	v_add_u32_e32 v4, s94, v116
	v_add_u32_e32 v6, s95, v116
	v_add_u32_e32 v8, s96, v116
	v_add_u32_e32 v10, s97, v116
	v_add_u32_e32 v12, s98, v116
	v_add_u32_e32 v14, s99, v116
	v_lshl_add_u64 v[0:1], v[0:1], 2, s[0:1]
	v_ashrrev_i32_e32 v3, 31, v2
	v_ashrrev_i32_e32 v5, 31, v4
	v_ashrrev_i32_e32 v7, 31, v6
	v_ashrrev_i32_e32 v9, 31, v8
	v_ashrrev_i32_e32 v11, 31, v10
	v_ashrrev_i32_e32 v13, 31, v12
	v_ashrrev_i32_e32 v15, 31, v14
	v_lshl_add_u64 v[2:3], v[2:3], 2, s[0:1]
	v_lshl_add_u64 v[4:5], v[4:5], 2, s[0:1]
	v_lshl_add_u64 v[6:7], v[6:7], 2, s[0:1]
	v_lshl_add_u64 v[8:9], v[8:9], 2, s[0:1]
	v_lshl_add_u64 v[10:11], v[10:11], 2, s[0:1]
	v_lshl_add_u64 v[12:13], v[12:13], 2, s[0:1]
	v_lshl_add_u64 v[14:15], v[14:15], 2, s[0:1]
	global_load_dword v47, v[0:1], off
	global_load_dword v48, v[2:3], off
	global_load_dword v49, v[4:5], off
	global_load_dword v50, v[6:7], off
	global_load_dword v51, v[8:9], off
	global_load_dword v52, v[10:11], off
	global_load_dword v53, v[12:13], off
	global_load_dword v56, v[14:15], off
	v_add_u32_e32 v0, s24, v116
	v_ashrrev_i32_e32 v1, 31, v0
	v_add_u32_e32 v2, s25, v116
	v_add_u32_e32 v4, s28, v116
	v_add_u32_e32 v6, s29, v116
	v_add_u32_e32 v8, s22, v116
	v_add_u32_e32 v10, s23, v116
	v_add_u32_e32 v12, s11, v116
	v_add_u32_e32 v14, s30, v116
	v_lshl_add_u64 v[0:1], v[0:1], 2, s[0:1]
	v_ashrrev_i32_e32 v3, 31, v2
	v_ashrrev_i32_e32 v5, 31, v4
	v_ashrrev_i32_e32 v7, 31, v6
	v_ashrrev_i32_e32 v9, 31, v8
	v_ashrrev_i32_e32 v11, 31, v10
	v_ashrrev_i32_e32 v13, 31, v12
	v_ashrrev_i32_e32 v15, 31, v14
	v_lshl_add_u64 v[2:3], v[2:3], 2, s[0:1]
	v_lshl_add_u64 v[4:5], v[4:5], 2, s[0:1]
	v_lshl_add_u64 v[6:7], v[6:7], 2, s[0:1]
	v_lshl_add_u64 v[8:9], v[8:9], 2, s[0:1]
	v_lshl_add_u64 v[10:11], v[10:11], 2, s[0:1]
	v_lshl_add_u64 v[12:13], v[12:13], 2, s[0:1]
	v_lshl_add_u64 v[14:15], v[14:15], 2, s[0:1]
	global_load_dword v57, v[0:1], off
	global_load_dword v58, v[2:3], off
	global_load_dword v59, v[4:5], off
	global_load_dword v60, v[6:7], off
	global_load_dword v61, v[8:9], off
	global_load_dword v62, v[10:11], off
	global_load_dword v63, v[12:13], off
	global_load_dword v64, v[14:15], off
	v_add_u32_e32 v0, s31, v116
	v_ashrrev_i32_e32 v1, 31, v0
	v_add_u32_e32 v2, s26, v116
	v_add_u32_e32 v4, s27, v116
	v_add_u32_e32 v6, s8, v116
	v_add_u32_e32 v8, s71, v116
	v_add_u32_e32 v10, s72, v116
	v_add_u32_e32 v12, s73, v116
	v_add_u32_e32 v14, s75, v116
	v_lshl_add_u64 v[0:1], v[0:1], 2, s[0:1]
	v_ashrrev_i32_e32 v3, 31, v2
	v_ashrrev_i32_e32 v5, 31, v4
	v_ashrrev_i32_e32 v7, 31, v6
	v_ashrrev_i32_e32 v9, 31, v8
	v_ashrrev_i32_e32 v11, 31, v10
	v_ashrrev_i32_e32 v13, 31, v12
	v_ashrrev_i32_e32 v15, 31, v14
	v_lshl_add_u64 v[2:3], v[2:3], 2, s[0:1]
	v_lshl_add_u64 v[4:5], v[4:5], 2, s[0:1]
	v_lshl_add_u64 v[6:7], v[6:7], 2, s[0:1]
	v_lshl_add_u64 v[8:9], v[8:9], 2, s[0:1]
	v_lshl_add_u64 v[10:11], v[10:11], 2, s[0:1]
	v_lshl_add_u64 v[12:13], v[12:13], 2, s[0:1]
	v_lshl_add_u64 v[14:15], v[14:15], 2, s[0:1]
	global_load_dword v65, v[0:1], off
	global_load_dword v66, v[2:3], off
	global_load_dword v67, v[4:5], off
	global_load_dword v68, v[6:7], off
	global_load_dword v69, v[8:9], off
	global_load_dword v70, v[10:11], off
	global_load_dword v71, v[12:13], off
	global_load_dword v72, v[14:15], off
	v_add_u32_e32 v0, s76, v116
	v_ashrrev_i32_e32 v1, 31, v0
	v_add_u32_e32 v2, s77, v116
	v_add_u32_e32 v4, s78, v116
	v_add_u32_e32 v6, s79, v116
	v_add_u32_e32 v8, s80, v116
	v_add_u32_e32 v10, s81, v116
	v_add_u32_e32 v12, s83, v116
	v_add_u32_e32 v14, s84, v116
	v_lshl_add_u64 v[0:1], v[0:1], 2, s[0:1]
	v_ashrrev_i32_e32 v3, 31, v2
	v_ashrrev_i32_e32 v5, 31, v4
	v_ashrrev_i32_e32 v7, 31, v6
	v_ashrrev_i32_e32 v9, 31, v8
	v_ashrrev_i32_e32 v11, 31, v10
	v_ashrrev_i32_e32 v13, 31, v12
	v_ashrrev_i32_e32 v15, 31, v14
	v_lshl_add_u64 v[2:3], v[2:3], 2, s[0:1]
	v_lshl_add_u64 v[4:5], v[4:5], 2, s[0:1]
	v_lshl_add_u64 v[6:7], v[6:7], 2, s[0:1]
	v_lshl_add_u64 v[8:9], v[8:9], 2, s[0:1]
	v_lshl_add_u64 v[10:11], v[10:11], 2, s[0:1]
	v_lshl_add_u64 v[12:13], v[12:13], 2, s[0:1]
	v_lshl_add_u64 v[14:15], v[14:15], 2, s[0:1]
	global_load_dword v73, v[0:1], off
	global_load_dword v74, v[2:3], off
	;; [unrolled: 1-line block ×8, first 2 shown]
	v_add_u32_e32 v0, s85, v116
	v_ashrrev_i32_e32 v1, 31, v0
	v_add_u32_e32 v2, s86, v116
	v_add_u32_e32 v4, s87, v116
	;; [unrolled: 1-line block ×5, first 2 shown]
	v_lshl_add_u64 v[0:1], v[0:1], 2, s[0:1]
	v_ashrrev_i32_e32 v3, 31, v2
	v_ashrrev_i32_e32 v5, 31, v4
	;; [unrolled: 1-line block ×5, first 2 shown]
	v_lshl_add_u64 v[2:3], v[2:3], 2, s[0:1]
	v_lshl_add_u64 v[4:5], v[4:5], 2, s[0:1]
	;; [unrolled: 1-line block ×5, first 2 shown]
	global_load_dword v81, v[0:1], off
	global_load_dword v82, v[2:3], off
	;; [unrolled: 1-line block ×6, first 2 shown]
	ds_read_b64 v[36:37], v118 offset:128
	ds_read_b64 v[34:35], v118 offset:160
	ds_read_b64 v[32:33], v118 offset:192
	ds_read_b64 v[30:31], v118 offset:224
	s_waitcnt vmcnt(47)
	ds_write_b32 v117, v38
	s_waitcnt vmcnt(46)
	ds_write_b32 v117, v39 offset:264
	s_waitcnt vmcnt(45)
	ds_write_b32 v117, v18 offset:528
	s_waitcnt vmcnt(44)
	ds_write_b32 v117, v40 offset:792
	s_waitcnt vmcnt(43)
	ds_write_b32 v117, v41 offset:1056
	s_waitcnt vmcnt(42)
	ds_write_b32 v117, v42 offset:1320
	s_waitcnt vmcnt(41)
	ds_write_b32 v117, v43 offset:1584
	s_waitcnt vmcnt(40)
	ds_write_b32 v117, v44 offset:1848
	s_waitcnt vmcnt(39)
	ds_write_b32 v117, v45 offset:2112
	s_waitcnt vmcnt(38)
	ds_write_b32 v117, v46 offset:2376
	s_waitcnt vmcnt(37)
	ds_write_b32 v117, v47 offset:2640
	s_waitcnt vmcnt(36)
	ds_write_b32 v117, v48 offset:2904
	s_waitcnt vmcnt(35)
	ds_write_b32 v117, v49 offset:3168
	s_waitcnt vmcnt(34)
	ds_write_b32 v117, v50 offset:3432
	s_waitcnt vmcnt(33)
	ds_write_b32 v117, v51 offset:3696
	s_waitcnt vmcnt(32)
	ds_write_b32 v117, v52 offset:3960
	ds_read_b64 v[54:55], v118
	ds_read_b64 v[50:51], v118 offset:32
	ds_read_b64 v[48:49], v118 offset:64
	ds_read_b64 v[46:47], v118 offset:96
	ds_read_b64 v[44:45], v118 offset:128
	ds_read_b64 v[42:43], v118 offset:160
	ds_read_b64 v[40:41], v118 offset:192
	ds_read_b64 v[38:39], v118 offset:224
	s_waitcnt vmcnt(31)
	ds_write_b32 v117, v53
	s_waitcnt vmcnt(30)
	ds_write_b32 v117, v56 offset:264
	s_waitcnt vmcnt(29)
	ds_write_b32 v117, v57 offset:528
	s_waitcnt vmcnt(28)
	ds_write_b32 v117, v58 offset:792
	s_waitcnt vmcnt(27)
	ds_write_b32 v117, v59 offset:1056
	s_waitcnt vmcnt(26)
	ds_write_b32 v117, v60 offset:1320
	s_waitcnt vmcnt(25)
	ds_write_b32 v117, v61 offset:1584
	s_waitcnt vmcnt(24)
	ds_write_b32 v117, v62 offset:1848
	s_waitcnt vmcnt(23)
	ds_write_b32 v117, v63 offset:2112
	s_waitcnt vmcnt(22)
	ds_write_b32 v117, v64 offset:2376
	s_waitcnt vmcnt(21)
	ds_write_b32 v117, v65 offset:2640
	s_waitcnt vmcnt(20)
	ds_write_b32 v117, v66 offset:2904
	s_waitcnt vmcnt(19)
	ds_write_b32 v117, v67 offset:3168
	s_waitcnt vmcnt(18)
	ds_write_b32 v117, v68 offset:3432
	s_waitcnt vmcnt(17)
	ds_write_b32 v117, v69 offset:3696
	s_waitcnt vmcnt(16)
	ds_write_b32 v117, v70 offset:3960
	ds_read_b64 v[68:69], v118
	ds_read_b64 v[66:67], v118 offset:32
	ds_read_b64 v[64:65], v118 offset:64
	ds_read_b64 v[62:63], v118 offset:96
	;; [unrolled: 40-line block ×3, first 2 shown]
	ds_read_b64 v[80:81], v118 offset:128
	ds_read_b64 v[76:77], v118 offset:160
	;; [unrolled: 1-line block ×4, first 2 shown]
	v_accvgpr_read_b32 v3, a15
	v_accvgpr_read_b32 v2, a14
	;; [unrolled: 1-line block ×16, first 2 shown]
	s_cbranch_vccnz .LBB132_9
; %bb.7:                                ;   in Loop: Header=BB132_6 Depth=1
	s_load_dword s68, s[36:37], 0x0
	v_mov_b32_e32 v113, 0
	v_mov_b32_e32 v112, 0
	s_waitcnt lgkmcnt(0)
	s_mul_hi_u32 s69, s68, s16
	s_add_i32 s69, s68, s69
	s_lshr_b32 s69, s69, s17
	s_cmp_ge_i32 s69, s13
	s_cbranch_scc1 .LBB132_9
; %bb.8:                                ;   in Loop: Header=BB132_6 Depth=1
	s_mul_i32 vcc_lo, s69, s18
	s_sub_i32 s68, s68, vcc_lo
	s_mul_i32 s69, s69, s20
	s_mul_i32 s68, s68, s9
	v_add_u32_e32 v18, s69, v116
	v_lshl_add_u32 v86, v18, 1, s68
	v_ashrrev_i32_e32 v87, 31, v86
	v_lshl_add_u64 v[86:87], v[86:87], 2, s[6:7]
	global_load_dwordx2 v[112:113], v[86:87], off
.LBB132_9:                              ;   in Loop: Header=BB132_6 Depth=1
	s_andn2_b64 vcc, exec, s[38:39]
	v_mov_b32_e32 v106, 0
	v_mov_b32_e32 v110, 0
	v_mov_b32_e32 v111, 0
	s_cbranch_vccnz .LBB132_12
; %bb.10:                               ;   in Loop: Header=BB132_6 Depth=1
	s_load_dword s68, s[36:37], 0x4
	v_mov_b32_e32 v111, 0
	v_mov_b32_e32 v110, 0
	s_waitcnt lgkmcnt(0)
	s_mul_hi_u32 s69, s68, s16
	s_add_i32 s69, s68, s69
	s_lshr_b32 s69, s69, s17
	s_cmp_ge_i32 s69, s13
	s_cbranch_scc1 .LBB132_12
; %bb.11:                               ;   in Loop: Header=BB132_6 Depth=1
	s_mul_i32 vcc_lo, s69, s18
	s_sub_i32 s68, s68, vcc_lo
	s_mul_i32 s69, s69, s20
	s_mul_i32 s68, s68, s9
	v_add_u32_e32 v18, s69, v116
	v_lshl_add_u32 v86, v18, 1, s68
	v_ashrrev_i32_e32 v87, 31, v86
	v_lshl_add_u64 v[86:87], v[86:87], 2, s[6:7]
	global_load_dwordx2 v[110:111], v[86:87], off
.LBB132_12:                             ;   in Loop: Header=BB132_6 Depth=1
	s_andn2_b64 vcc, exec, s[40:41]
	v_mov_b32_e32 v107, 0
	s_cbranch_vccnz .LBB132_15
; %bb.13:                               ;   in Loop: Header=BB132_6 Depth=1
	s_load_dword s68, s[36:37], 0x8
	v_mov_b32_e32 v107, 0
	v_mov_b32_e32 v106, 0
	s_waitcnt lgkmcnt(0)
	s_mul_hi_u32 s69, s68, s16
	s_add_i32 s69, s68, s69
	s_lshr_b32 s69, s69, s17
	s_cmp_ge_i32 s69, s13
	s_cbranch_scc1 .LBB132_15
; %bb.14:                               ;   in Loop: Header=BB132_6 Depth=1
	s_mul_i32 vcc_lo, s69, s18
	s_sub_i32 s68, s68, vcc_lo
	s_mul_i32 s69, s69, s20
	s_mul_i32 s68, s68, s9
	v_add_u32_e32 v18, s69, v116
	v_lshl_add_u32 v86, v18, 1, s68
	v_ashrrev_i32_e32 v87, 31, v86
	v_lshl_add_u64 v[86:87], v[86:87], 2, s[6:7]
	global_load_dwordx2 v[106:107], v[86:87], off
.LBB132_15:                             ;   in Loop: Header=BB132_6 Depth=1
	s_andn2_b64 vcc, exec, s[42:43]
	v_mov_b32_e32 v102, 0
	v_mov_b32_e32 v108, 0
	v_mov_b32_e32 v109, 0
	s_cbranch_vccnz .LBB132_18
; %bb.16:                               ;   in Loop: Header=BB132_6 Depth=1
	s_load_dword s68, s[36:37], 0xc
	v_mov_b32_e32 v109, 0
	v_mov_b32_e32 v108, 0
	s_waitcnt lgkmcnt(0)
	s_mul_hi_u32 s69, s68, s16
	s_add_i32 s69, s68, s69
	s_lshr_b32 s69, s69, s17
	s_cmp_ge_i32 s69, s13
	s_cbranch_scc1 .LBB132_18
; %bb.17:                               ;   in Loop: Header=BB132_6 Depth=1
	s_mul_i32 vcc_lo, s69, s18
	s_sub_i32 s68, s68, vcc_lo
	s_mul_i32 s69, s69, s20
	s_mul_i32 s68, s68, s9
	v_add_u32_e32 v18, s69, v116
	v_lshl_add_u32 v86, v18, 1, s68
	v_ashrrev_i32_e32 v87, 31, v86
	v_lshl_add_u64 v[86:87], v[86:87], 2, s[6:7]
	global_load_dwordx2 v[108:109], v[86:87], off
.LBB132_18:                             ;   in Loop: Header=BB132_6 Depth=1
	s_andn2_b64 vcc, exec, s[44:45]
	v_mov_b32_e32 v103, 0
	s_cbranch_vccnz .LBB132_21
; %bb.19:                               ;   in Loop: Header=BB132_6 Depth=1
	s_load_dword s68, s[36:37], 0x10
	v_mov_b32_e32 v103, 0
	v_mov_b32_e32 v102, 0
	s_waitcnt lgkmcnt(0)
	s_mul_hi_u32 s69, s68, s16
	s_add_i32 s69, s68, s69
	s_lshr_b32 s69, s69, s17
	s_cmp_ge_i32 s69, s13
	s_cbranch_scc1 .LBB132_21
; %bb.20:                               ;   in Loop: Header=BB132_6 Depth=1
	s_mul_i32 vcc_lo, s69, s18
	s_sub_i32 s68, s68, vcc_lo
	s_mul_i32 s69, s69, s20
	s_mul_i32 s68, s68, s9
	v_add_u32_e32 v18, s69, v116
	v_lshl_add_u32 v86, v18, 1, s68
	v_ashrrev_i32_e32 v87, 31, v86
	v_lshl_add_u64 v[86:87], v[86:87], 2, s[6:7]
	global_load_dwordx2 v[102:103], v[86:87], off
.LBB132_21:                             ;   in Loop: Header=BB132_6 Depth=1
	;; [unrolled: 50-line block ×6, first 2 shown]
	s_andn2_b64 vcc, exec, s[62:63]
	v_mov_b32_e32 v88, 0
	v_mov_b32_e32 v89, 0
	s_cbranch_vccnz .LBB132_48
; %bb.46:                               ;   in Loop: Header=BB132_6 Depth=1
	s_load_dword s68, s[36:37], 0x34
	v_mov_b32_e32 v89, 0
	v_mov_b32_e32 v88, 0
	s_waitcnt lgkmcnt(0)
	s_mul_hi_u32 s69, s68, s16
	s_add_i32 s69, s68, s69
	s_lshr_b32 s69, s69, s17
	s_cmp_ge_i32 s69, s13
	s_cbranch_scc1 .LBB132_48
; %bb.47:                               ;   in Loop: Header=BB132_6 Depth=1
	s_mul_i32 vcc_lo, s69, s18
	s_sub_i32 s68, s68, vcc_lo
	s_mul_i32 s69, s69, s20
	s_mul_i32 s68, s68, s9
	v_add_u32_e32 v18, s69, v116
	v_lshl_add_u32 v88, v18, 1, s68
	v_ashrrev_i32_e32 v89, 31, v88
	v_lshl_add_u64 v[88:89], v[88:89], 2, s[6:7]
	global_load_dwordx2 v[88:89], v[88:89], off
.LBB132_48:                             ;   in Loop: Header=BB132_6 Depth=1
	s_waitcnt vmcnt(0)
	v_and_b32_e32 v18, 0x7f800000, v112
	v_cmp_ne_u32_e32 vcc, s90, v18
                                        ; implicit-def: $vgpr18
	s_and_saveexec_b64 s[68:69], vcc
	s_xor_b64 s[68:69], exec, s[68:69]
; %bb.49:                               ;   in Loop: Header=BB132_6 Depth=1
	v_bfe_u32 v18, v112, 16, 1
	v_add3_u32 v18, v112, v18, s91
; %bb.50:                               ;   in Loop: Header=BB132_6 Depth=1
	s_andn2_saveexec_b64 s[68:69], s[68:69]
; %bb.51:                               ;   in Loop: Header=BB132_6 Depth=1
	v_or_b32_e32 v18, 0x10000, v112
	v_cmp_eq_u32_sdwa vcc, v112, v19 src0_sel:WORD_0 src1_sel:DWORD
	s_nop 1
	v_cndmask_b32_e32 v18, v18, v112, vcc
; %bb.52:                               ;   in Loop: Header=BB132_6 Depth=1
	s_or_b64 exec, exec, s[68:69]
	v_and_b32_e32 v112, 0x7f800000, v113
	v_cmp_ne_u32_e32 vcc, s90, v112
                                        ; implicit-def: $vgpr112
	s_and_saveexec_b64 s[68:69], vcc
	s_xor_b64 s[68:69], exec, s[68:69]
; %bb.53:                               ;   in Loop: Header=BB132_6 Depth=1
	v_bfe_u32 v112, v113, 16, 1
	v_add3_u32 v112, v113, v112, s91
                                        ; implicit-def: $vgpr113
; %bb.54:                               ;   in Loop: Header=BB132_6 Depth=1
	s_andn2_saveexec_b64 s[68:69], s[68:69]
; %bb.55:                               ;   in Loop: Header=BB132_6 Depth=1
	v_or_b32_e32 v112, 0x10000, v113
	v_cmp_eq_u32_sdwa vcc, v113, v19 src0_sel:WORD_0 src1_sel:DWORD
	s_nop 1
	v_cndmask_b32_e32 v112, v112, v113, vcc
; %bb.56:                               ;   in Loop: Header=BB132_6 Depth=1
	s_or_b64 exec, exec, s[68:69]
	v_perm_b32 v18, v112, v18, s92
	ds_write_b32 v117, v18
	v_and_b32_e32 v18, 0x7f800000, v110
	v_cmp_ne_u32_e32 vcc, s90, v18
                                        ; implicit-def: $vgpr18
	s_and_saveexec_b64 s[68:69], vcc
	s_xor_b64 s[68:69], exec, s[68:69]
; %bb.57:                               ;   in Loop: Header=BB132_6 Depth=1
	v_bfe_u32 v18, v110, 16, 1
	v_add3_u32 v18, v110, v18, s91
; %bb.58:                               ;   in Loop: Header=BB132_6 Depth=1
	s_andn2_saveexec_b64 s[68:69], s[68:69]
; %bb.59:                               ;   in Loop: Header=BB132_6 Depth=1
	v_or_b32_e32 v18, 0x10000, v110
	v_cmp_eq_u32_sdwa vcc, v110, v19 src0_sel:WORD_0 src1_sel:DWORD
	s_nop 1
	v_cndmask_b32_e32 v18, v18, v110, vcc
; %bb.60:                               ;   in Loop: Header=BB132_6 Depth=1
	s_or_b64 exec, exec, s[68:69]
	v_and_b32_e32 v110, 0x7f800000, v111
	v_cmp_ne_u32_e32 vcc, s90, v110
                                        ; implicit-def: $vgpr110
	s_and_saveexec_b64 s[68:69], vcc
	s_xor_b64 s[68:69], exec, s[68:69]
; %bb.61:                               ;   in Loop: Header=BB132_6 Depth=1
	v_bfe_u32 v110, v111, 16, 1
	v_add3_u32 v110, v111, v110, s91
                                        ; implicit-def: $vgpr111
; %bb.62:                               ;   in Loop: Header=BB132_6 Depth=1
	s_andn2_saveexec_b64 s[68:69], s[68:69]
; %bb.63:                               ;   in Loop: Header=BB132_6 Depth=1
	v_or_b32_e32 v110, 0x10000, v111
	v_cmp_eq_u32_sdwa vcc, v111, v19 src0_sel:WORD_0 src1_sel:DWORD
	s_nop 1
	v_cndmask_b32_e32 v110, v110, v111, vcc
; %bb.64:                               ;   in Loop: Header=BB132_6 Depth=1
	s_or_b64 exec, exec, s[68:69]
	v_perm_b32 v18, v110, v18, s92
	ds_write_b32 v117, v18 offset:264
	v_and_b32_e32 v18, 0x7f800000, v106
	v_cmp_ne_u32_e32 vcc, s90, v18
                                        ; implicit-def: $vgpr18
	s_and_saveexec_b64 s[68:69], vcc
	s_xor_b64 s[68:69], exec, s[68:69]
; %bb.65:                               ;   in Loop: Header=BB132_6 Depth=1
	v_bfe_u32 v18, v106, 16, 1
	v_add3_u32 v18, v106, v18, s91
; %bb.66:                               ;   in Loop: Header=BB132_6 Depth=1
	s_andn2_saveexec_b64 s[68:69], s[68:69]
; %bb.67:                               ;   in Loop: Header=BB132_6 Depth=1
	v_or_b32_e32 v18, 0x10000, v106
	v_cmp_eq_u32_sdwa vcc, v106, v19 src0_sel:WORD_0 src1_sel:DWORD
	s_nop 1
	v_cndmask_b32_e32 v18, v18, v106, vcc
; %bb.68:                               ;   in Loop: Header=BB132_6 Depth=1
	s_or_b64 exec, exec, s[68:69]
	v_and_b32_e32 v106, 0x7f800000, v107
	v_cmp_ne_u32_e32 vcc, s90, v106
                                        ; implicit-def: $vgpr106
	s_and_saveexec_b64 s[68:69], vcc
	s_xor_b64 s[68:69], exec, s[68:69]
; %bb.69:                               ;   in Loop: Header=BB132_6 Depth=1
	v_bfe_u32 v106, v107, 16, 1
	v_add3_u32 v106, v107, v106, s91
                                        ; implicit-def: $vgpr107
; %bb.70:                               ;   in Loop: Header=BB132_6 Depth=1
	s_andn2_saveexec_b64 s[68:69], s[68:69]
; %bb.71:                               ;   in Loop: Header=BB132_6 Depth=1
	v_or_b32_e32 v106, 0x10000, v107
	v_cmp_eq_u32_sdwa vcc, v107, v19 src0_sel:WORD_0 src1_sel:DWORD
	s_nop 1
	v_cndmask_b32_e32 v106, v106, v107, vcc
; %bb.72:                               ;   in Loop: Header=BB132_6 Depth=1
	s_or_b64 exec, exec, s[68:69]
	v_perm_b32 v18, v106, v18, s92
	ds_write_b32 v117, v18 offset:528
	v_and_b32_e32 v18, 0x7f800000, v108
	v_cmp_ne_u32_e32 vcc, s90, v18
                                        ; implicit-def: $vgpr18
	s_and_saveexec_b64 s[68:69], vcc
	s_xor_b64 s[68:69], exec, s[68:69]
; %bb.73:                               ;   in Loop: Header=BB132_6 Depth=1
	v_bfe_u32 v18, v108, 16, 1
	v_add3_u32 v18, v108, v18, s91
; %bb.74:                               ;   in Loop: Header=BB132_6 Depth=1
	s_andn2_saveexec_b64 s[68:69], s[68:69]
; %bb.75:                               ;   in Loop: Header=BB132_6 Depth=1
	v_or_b32_e32 v18, 0x10000, v108
	v_cmp_eq_u32_sdwa vcc, v108, v19 src0_sel:WORD_0 src1_sel:DWORD
	s_nop 1
	v_cndmask_b32_e32 v18, v18, v108, vcc
; %bb.76:                               ;   in Loop: Header=BB132_6 Depth=1
	s_or_b64 exec, exec, s[68:69]
	v_and_b32_e32 v106, 0x7f800000, v109
	v_cmp_ne_u32_e32 vcc, s90, v106
                                        ; implicit-def: $vgpr106
	s_and_saveexec_b64 s[68:69], vcc
	s_xor_b64 s[68:69], exec, s[68:69]
; %bb.77:                               ;   in Loop: Header=BB132_6 Depth=1
	v_bfe_u32 v106, v109, 16, 1
	v_add3_u32 v106, v109, v106, s91
                                        ; implicit-def: $vgpr109
; %bb.78:                               ;   in Loop: Header=BB132_6 Depth=1
	s_andn2_saveexec_b64 s[68:69], s[68:69]
; %bb.79:                               ;   in Loop: Header=BB132_6 Depth=1
	v_or_b32_e32 v106, 0x10000, v109
	v_cmp_eq_u32_sdwa vcc, v109, v19 src0_sel:WORD_0 src1_sel:DWORD
	s_nop 1
	v_cndmask_b32_e32 v106, v106, v109, vcc
; %bb.80:                               ;   in Loop: Header=BB132_6 Depth=1
	s_or_b64 exec, exec, s[68:69]
	v_perm_b32 v18, v106, v18, s92
	ds_write_b32 v117, v18 offset:792
	v_and_b32_e32 v18, 0x7f800000, v102
	v_cmp_ne_u32_e32 vcc, s90, v18
                                        ; implicit-def: $vgpr18
	s_and_saveexec_b64 s[68:69], vcc
	s_xor_b64 s[68:69], exec, s[68:69]
; %bb.81:                               ;   in Loop: Header=BB132_6 Depth=1
	v_bfe_u32 v18, v102, 16, 1
	v_add3_u32 v18, v102, v18, s91
; %bb.82:                               ;   in Loop: Header=BB132_6 Depth=1
	s_andn2_saveexec_b64 s[68:69], s[68:69]
; %bb.83:                               ;   in Loop: Header=BB132_6 Depth=1
	v_or_b32_e32 v18, 0x10000, v102
	v_cmp_eq_u32_sdwa vcc, v102, v19 src0_sel:WORD_0 src1_sel:DWORD
	s_nop 1
	v_cndmask_b32_e32 v18, v18, v102, vcc
; %bb.84:                               ;   in Loop: Header=BB132_6 Depth=1
	s_or_b64 exec, exec, s[68:69]
	v_and_b32_e32 v102, 0x7f800000, v103
	v_cmp_ne_u32_e32 vcc, s90, v102
                                        ; implicit-def: $vgpr102
	s_and_saveexec_b64 s[68:69], vcc
	s_xor_b64 s[68:69], exec, s[68:69]
; %bb.85:                               ;   in Loop: Header=BB132_6 Depth=1
	v_bfe_u32 v102, v103, 16, 1
	v_add3_u32 v102, v103, v102, s91
                                        ; implicit-def: $vgpr103
; %bb.86:                               ;   in Loop: Header=BB132_6 Depth=1
	s_andn2_saveexec_b64 s[68:69], s[68:69]
; %bb.87:                               ;   in Loop: Header=BB132_6 Depth=1
	v_or_b32_e32 v102, 0x10000, v103
	v_cmp_eq_u32_sdwa vcc, v103, v19 src0_sel:WORD_0 src1_sel:DWORD
	s_nop 1
	v_cndmask_b32_e32 v102, v102, v103, vcc
; %bb.88:                               ;   in Loop: Header=BB132_6 Depth=1
	s_or_b64 exec, exec, s[68:69]
	v_perm_b32 v18, v102, v18, s92
	ds_write_b32 v117, v18 offset:1056
	v_and_b32_e32 v18, 0x7f800000, v104
	v_cmp_ne_u32_e32 vcc, s90, v18
                                        ; implicit-def: $vgpr18
	s_and_saveexec_b64 s[68:69], vcc
	s_xor_b64 s[68:69], exec, s[68:69]
; %bb.89:                               ;   in Loop: Header=BB132_6 Depth=1
	v_bfe_u32 v18, v104, 16, 1
	v_add3_u32 v18, v104, v18, s91
; %bb.90:                               ;   in Loop: Header=BB132_6 Depth=1
	s_andn2_saveexec_b64 s[68:69], s[68:69]
; %bb.91:                               ;   in Loop: Header=BB132_6 Depth=1
	v_or_b32_e32 v18, 0x10000, v104
	v_cmp_eq_u32_sdwa vcc, v104, v19 src0_sel:WORD_0 src1_sel:DWORD
	s_nop 1
	v_cndmask_b32_e32 v18, v18, v104, vcc
; %bb.92:                               ;   in Loop: Header=BB132_6 Depth=1
	s_or_b64 exec, exec, s[68:69]
	v_and_b32_e32 v102, 0x7f800000, v105
	v_cmp_ne_u32_e32 vcc, s90, v102
                                        ; implicit-def: $vgpr102
	s_and_saveexec_b64 s[68:69], vcc
	s_xor_b64 s[68:69], exec, s[68:69]
; %bb.93:                               ;   in Loop: Header=BB132_6 Depth=1
	v_bfe_u32 v102, v105, 16, 1
	v_add3_u32 v102, v105, v102, s91
                                        ; implicit-def: $vgpr105
; %bb.94:                               ;   in Loop: Header=BB132_6 Depth=1
	s_andn2_saveexec_b64 s[68:69], s[68:69]
; %bb.95:                               ;   in Loop: Header=BB132_6 Depth=1
	v_or_b32_e32 v102, 0x10000, v105
	v_cmp_eq_u32_sdwa vcc, v105, v19 src0_sel:WORD_0 src1_sel:DWORD
	s_nop 1
	v_cndmask_b32_e32 v102, v102, v105, vcc
; %bb.96:                               ;   in Loop: Header=BB132_6 Depth=1
	s_or_b64 exec, exec, s[68:69]
	v_perm_b32 v18, v102, v18, s92
	ds_write_b32 v117, v18 offset:1320
	v_and_b32_e32 v18, 0x7f800000, v98
	v_cmp_ne_u32_e32 vcc, s90, v18
                                        ; implicit-def: $vgpr18
	s_and_saveexec_b64 s[68:69], vcc
	s_xor_b64 s[68:69], exec, s[68:69]
; %bb.97:                               ;   in Loop: Header=BB132_6 Depth=1
	v_bfe_u32 v18, v98, 16, 1
	v_add3_u32 v18, v98, v18, s91
; %bb.98:                               ;   in Loop: Header=BB132_6 Depth=1
	s_andn2_saveexec_b64 s[68:69], s[68:69]
; %bb.99:                               ;   in Loop: Header=BB132_6 Depth=1
	v_or_b32_e32 v18, 0x10000, v98
	v_cmp_eq_u32_sdwa vcc, v98, v19 src0_sel:WORD_0 src1_sel:DWORD
	s_nop 1
	v_cndmask_b32_e32 v18, v18, v98, vcc
; %bb.100:                              ;   in Loop: Header=BB132_6 Depth=1
	s_or_b64 exec, exec, s[68:69]
	v_and_b32_e32 v98, 0x7f800000, v99
	v_cmp_ne_u32_e32 vcc, s90, v98
                                        ; implicit-def: $vgpr98
	s_and_saveexec_b64 s[68:69], vcc
	s_xor_b64 s[68:69], exec, s[68:69]
; %bb.101:                              ;   in Loop: Header=BB132_6 Depth=1
	v_bfe_u32 v98, v99, 16, 1
	v_add3_u32 v98, v99, v98, s91
                                        ; implicit-def: $vgpr99
; %bb.102:                              ;   in Loop: Header=BB132_6 Depth=1
	s_andn2_saveexec_b64 s[68:69], s[68:69]
; %bb.103:                              ;   in Loop: Header=BB132_6 Depth=1
	v_or_b32_e32 v98, 0x10000, v99
	v_cmp_eq_u32_sdwa vcc, v99, v19 src0_sel:WORD_0 src1_sel:DWORD
	s_nop 1
	v_cndmask_b32_e32 v98, v98, v99, vcc
; %bb.104:                              ;   in Loop: Header=BB132_6 Depth=1
	s_or_b64 exec, exec, s[68:69]
	v_perm_b32 v18, v98, v18, s92
	ds_write_b32 v117, v18 offset:1584
	v_and_b32_e32 v18, 0x7f800000, v100
	v_cmp_ne_u32_e32 vcc, s90, v18
                                        ; implicit-def: $vgpr18
	s_and_saveexec_b64 s[68:69], vcc
	s_xor_b64 s[68:69], exec, s[68:69]
; %bb.105:                              ;   in Loop: Header=BB132_6 Depth=1
	v_bfe_u32 v18, v100, 16, 1
	v_add3_u32 v18, v100, v18, s91
; %bb.106:                              ;   in Loop: Header=BB132_6 Depth=1
	s_andn2_saveexec_b64 s[68:69], s[68:69]
; %bb.107:                              ;   in Loop: Header=BB132_6 Depth=1
	v_or_b32_e32 v18, 0x10000, v100
	v_cmp_eq_u32_sdwa vcc, v100, v19 src0_sel:WORD_0 src1_sel:DWORD
	s_nop 1
	v_cndmask_b32_e32 v18, v18, v100, vcc
; %bb.108:                              ;   in Loop: Header=BB132_6 Depth=1
	s_or_b64 exec, exec, s[68:69]
	v_and_b32_e32 v98, 0x7f800000, v101
	v_cmp_ne_u32_e32 vcc, s90, v98
                                        ; implicit-def: $vgpr98
	s_and_saveexec_b64 s[68:69], vcc
	s_xor_b64 s[68:69], exec, s[68:69]
; %bb.109:                              ;   in Loop: Header=BB132_6 Depth=1
	v_bfe_u32 v98, v101, 16, 1
	v_add3_u32 v98, v101, v98, s91
                                        ; implicit-def: $vgpr101
; %bb.110:                              ;   in Loop: Header=BB132_6 Depth=1
	s_andn2_saveexec_b64 s[68:69], s[68:69]
; %bb.111:                              ;   in Loop: Header=BB132_6 Depth=1
	v_or_b32_e32 v98, 0x10000, v101
	v_cmp_eq_u32_sdwa vcc, v101, v19 src0_sel:WORD_0 src1_sel:DWORD
	s_nop 1
	v_cndmask_b32_e32 v98, v98, v101, vcc
; %bb.112:                              ;   in Loop: Header=BB132_6 Depth=1
	s_or_b64 exec, exec, s[68:69]
	v_perm_b32 v18, v98, v18, s92
	ds_write_b32 v117, v18 offset:1848
	v_and_b32_e32 v18, 0x7f800000, v94
	v_cmp_ne_u32_e32 vcc, s90, v18
                                        ; implicit-def: $vgpr18
	s_and_saveexec_b64 s[68:69], vcc
	s_xor_b64 s[68:69], exec, s[68:69]
; %bb.113:                              ;   in Loop: Header=BB132_6 Depth=1
	v_bfe_u32 v18, v94, 16, 1
	v_add3_u32 v18, v94, v18, s91
; %bb.114:                              ;   in Loop: Header=BB132_6 Depth=1
	s_andn2_saveexec_b64 s[68:69], s[68:69]
; %bb.115:                              ;   in Loop: Header=BB132_6 Depth=1
	v_or_b32_e32 v18, 0x10000, v94
	v_cmp_eq_u32_sdwa vcc, v94, v19 src0_sel:WORD_0 src1_sel:DWORD
	s_nop 1
	v_cndmask_b32_e32 v18, v18, v94, vcc
; %bb.116:                              ;   in Loop: Header=BB132_6 Depth=1
	s_or_b64 exec, exec, s[68:69]
	v_and_b32_e32 v94, 0x7f800000, v95
	v_cmp_ne_u32_e32 vcc, s90, v94
                                        ; implicit-def: $vgpr94
	s_and_saveexec_b64 s[68:69], vcc
	s_xor_b64 s[68:69], exec, s[68:69]
; %bb.117:                              ;   in Loop: Header=BB132_6 Depth=1
	v_bfe_u32 v94, v95, 16, 1
	v_add3_u32 v94, v95, v94, s91
                                        ; implicit-def: $vgpr95
; %bb.118:                              ;   in Loop: Header=BB132_6 Depth=1
	s_andn2_saveexec_b64 s[68:69], s[68:69]
; %bb.119:                              ;   in Loop: Header=BB132_6 Depth=1
	v_or_b32_e32 v94, 0x10000, v95
	v_cmp_eq_u32_sdwa vcc, v95, v19 src0_sel:WORD_0 src1_sel:DWORD
	s_nop 1
	v_cndmask_b32_e32 v94, v94, v95, vcc
; %bb.120:                              ;   in Loop: Header=BB132_6 Depth=1
	s_or_b64 exec, exec, s[68:69]
	v_perm_b32 v18, v94, v18, s92
	ds_write_b32 v117, v18 offset:2112
	v_and_b32_e32 v18, 0x7f800000, v96
	v_cmp_ne_u32_e32 vcc, s90, v18
                                        ; implicit-def: $vgpr18
	s_and_saveexec_b64 s[68:69], vcc
	s_xor_b64 s[68:69], exec, s[68:69]
; %bb.121:                              ;   in Loop: Header=BB132_6 Depth=1
	v_bfe_u32 v18, v96, 16, 1
	v_add3_u32 v18, v96, v18, s91
; %bb.122:                              ;   in Loop: Header=BB132_6 Depth=1
	s_andn2_saveexec_b64 s[68:69], s[68:69]
; %bb.123:                              ;   in Loop: Header=BB132_6 Depth=1
	v_or_b32_e32 v18, 0x10000, v96
	v_cmp_eq_u32_sdwa vcc, v96, v19 src0_sel:WORD_0 src1_sel:DWORD
	s_nop 1
	v_cndmask_b32_e32 v18, v18, v96, vcc
; %bb.124:                              ;   in Loop: Header=BB132_6 Depth=1
	s_or_b64 exec, exec, s[68:69]
	v_and_b32_e32 v94, 0x7f800000, v97
	v_cmp_ne_u32_e32 vcc, s90, v94
                                        ; implicit-def: $vgpr94
	s_and_saveexec_b64 s[68:69], vcc
	s_xor_b64 s[68:69], exec, s[68:69]
; %bb.125:                              ;   in Loop: Header=BB132_6 Depth=1
	v_bfe_u32 v94, v97, 16, 1
	v_add3_u32 v94, v97, v94, s91
                                        ; implicit-def: $vgpr97
; %bb.126:                              ;   in Loop: Header=BB132_6 Depth=1
	s_andn2_saveexec_b64 s[68:69], s[68:69]
; %bb.127:                              ;   in Loop: Header=BB132_6 Depth=1
	v_or_b32_e32 v94, 0x10000, v97
	v_cmp_eq_u32_sdwa vcc, v97, v19 src0_sel:WORD_0 src1_sel:DWORD
	s_nop 1
	v_cndmask_b32_e32 v94, v94, v97, vcc
; %bb.128:                              ;   in Loop: Header=BB132_6 Depth=1
	s_or_b64 exec, exec, s[68:69]
	v_perm_b32 v18, v94, v18, s92
	ds_write_b32 v117, v18 offset:2376
	v_and_b32_e32 v18, 0x7f800000, v90
	v_cmp_ne_u32_e32 vcc, s90, v18
                                        ; implicit-def: $vgpr18
	s_and_saveexec_b64 s[68:69], vcc
	s_xor_b64 s[68:69], exec, s[68:69]
; %bb.129:                              ;   in Loop: Header=BB132_6 Depth=1
	v_bfe_u32 v18, v90, 16, 1
	v_add3_u32 v18, v90, v18, s91
; %bb.130:                              ;   in Loop: Header=BB132_6 Depth=1
	s_andn2_saveexec_b64 s[68:69], s[68:69]
; %bb.131:                              ;   in Loop: Header=BB132_6 Depth=1
	v_or_b32_e32 v18, 0x10000, v90
	v_cmp_eq_u32_sdwa vcc, v90, v19 src0_sel:WORD_0 src1_sel:DWORD
	s_nop 1
	v_cndmask_b32_e32 v18, v18, v90, vcc
; %bb.132:                              ;   in Loop: Header=BB132_6 Depth=1
	s_or_b64 exec, exec, s[68:69]
	v_and_b32_e32 v90, 0x7f800000, v91
	v_cmp_ne_u32_e32 vcc, s90, v90
                                        ; implicit-def: $vgpr90
	s_and_saveexec_b64 s[68:69], vcc
	s_xor_b64 s[68:69], exec, s[68:69]
; %bb.133:                              ;   in Loop: Header=BB132_6 Depth=1
	v_bfe_u32 v90, v91, 16, 1
	v_add3_u32 v90, v91, v90, s91
                                        ; implicit-def: $vgpr91
; %bb.134:                              ;   in Loop: Header=BB132_6 Depth=1
	s_andn2_saveexec_b64 s[68:69], s[68:69]
; %bb.135:                              ;   in Loop: Header=BB132_6 Depth=1
	v_or_b32_e32 v90, 0x10000, v91
	v_cmp_eq_u32_sdwa vcc, v91, v19 src0_sel:WORD_0 src1_sel:DWORD
	s_nop 1
	v_cndmask_b32_e32 v90, v90, v91, vcc
; %bb.136:                              ;   in Loop: Header=BB132_6 Depth=1
	s_or_b64 exec, exec, s[68:69]
	v_perm_b32 v18, v90, v18, s92
	ds_write_b32 v117, v18 offset:2640
	v_and_b32_e32 v18, 0x7f800000, v92
	v_cmp_ne_u32_e32 vcc, s90, v18
                                        ; implicit-def: $vgpr18
	s_and_saveexec_b64 s[68:69], vcc
	s_xor_b64 s[68:69], exec, s[68:69]
; %bb.137:                              ;   in Loop: Header=BB132_6 Depth=1
	v_bfe_u32 v18, v92, 16, 1
	v_add3_u32 v18, v92, v18, s91
; %bb.138:                              ;   in Loop: Header=BB132_6 Depth=1
	s_andn2_saveexec_b64 s[68:69], s[68:69]
; %bb.139:                              ;   in Loop: Header=BB132_6 Depth=1
	v_or_b32_e32 v18, 0x10000, v92
	v_cmp_eq_u32_sdwa vcc, v92, v19 src0_sel:WORD_0 src1_sel:DWORD
	s_nop 1
	v_cndmask_b32_e32 v18, v18, v92, vcc
; %bb.140:                              ;   in Loop: Header=BB132_6 Depth=1
	s_or_b64 exec, exec, s[68:69]
	v_and_b32_e32 v90, 0x7f800000, v93
	v_cmp_ne_u32_e32 vcc, s90, v90
                                        ; implicit-def: $vgpr90
	s_and_saveexec_b64 s[68:69], vcc
	s_xor_b64 s[68:69], exec, s[68:69]
; %bb.141:                              ;   in Loop: Header=BB132_6 Depth=1
	v_bfe_u32 v90, v93, 16, 1
	v_add3_u32 v90, v93, v90, s91
                                        ; implicit-def: $vgpr93
; %bb.142:                              ;   in Loop: Header=BB132_6 Depth=1
	s_andn2_saveexec_b64 s[68:69], s[68:69]
; %bb.143:                              ;   in Loop: Header=BB132_6 Depth=1
	v_or_b32_e32 v90, 0x10000, v93
	v_cmp_eq_u32_sdwa vcc, v93, v19 src0_sel:WORD_0 src1_sel:DWORD
	s_nop 1
	v_cndmask_b32_e32 v90, v90, v93, vcc
; %bb.144:                              ;   in Loop: Header=BB132_6 Depth=1
	s_or_b64 exec, exec, s[68:69]
	v_perm_b32 v18, v90, v18, s92
	ds_write_b32 v117, v18 offset:2904
	v_and_b32_e32 v18, 0x7f800000, v86
	v_cmp_ne_u32_e32 vcc, s90, v18
                                        ; implicit-def: $vgpr18
	s_and_saveexec_b64 s[68:69], vcc
	s_xor_b64 s[68:69], exec, s[68:69]
; %bb.145:                              ;   in Loop: Header=BB132_6 Depth=1
	v_bfe_u32 v18, v86, 16, 1
	v_add3_u32 v18, v86, v18, s91
; %bb.146:                              ;   in Loop: Header=BB132_6 Depth=1
	s_andn2_saveexec_b64 s[68:69], s[68:69]
; %bb.147:                              ;   in Loop: Header=BB132_6 Depth=1
	v_or_b32_e32 v18, 0x10000, v86
	v_cmp_eq_u32_sdwa vcc, v86, v19 src0_sel:WORD_0 src1_sel:DWORD
	s_nop 1
	v_cndmask_b32_e32 v18, v18, v86, vcc
; %bb.148:                              ;   in Loop: Header=BB132_6 Depth=1
	s_or_b64 exec, exec, s[68:69]
	v_and_b32_e32 v86, 0x7f800000, v87
	v_cmp_ne_u32_e32 vcc, s90, v86
                                        ; implicit-def: $vgpr86
	s_and_saveexec_b64 s[68:69], vcc
	s_xor_b64 s[68:69], exec, s[68:69]
; %bb.149:                              ;   in Loop: Header=BB132_6 Depth=1
	v_bfe_u32 v86, v87, 16, 1
	v_add3_u32 v86, v87, v86, s91
                                        ; implicit-def: $vgpr87
; %bb.150:                              ;   in Loop: Header=BB132_6 Depth=1
	s_andn2_saveexec_b64 s[68:69], s[68:69]
; %bb.151:                              ;   in Loop: Header=BB132_6 Depth=1
	v_or_b32_e32 v86, 0x10000, v87
	v_cmp_eq_u32_sdwa vcc, v87, v19 src0_sel:WORD_0 src1_sel:DWORD
	s_nop 1
	v_cndmask_b32_e32 v86, v86, v87, vcc
; %bb.152:                              ;   in Loop: Header=BB132_6 Depth=1
	s_or_b64 exec, exec, s[68:69]
	v_perm_b32 v18, v86, v18, s92
	ds_write_b32 v117, v18 offset:3168
	v_and_b32_e32 v18, 0x7f800000, v88
	v_cmp_ne_u32_e32 vcc, s90, v18
                                        ; implicit-def: $vgpr18
	s_and_saveexec_b64 s[68:69], vcc
	s_xor_b64 s[68:69], exec, s[68:69]
; %bb.153:                              ;   in Loop: Header=BB132_6 Depth=1
	v_bfe_u32 v18, v88, 16, 1
	v_add3_u32 v18, v88, v18, s91
; %bb.154:                              ;   in Loop: Header=BB132_6 Depth=1
	s_andn2_saveexec_b64 s[68:69], s[68:69]
; %bb.155:                              ;   in Loop: Header=BB132_6 Depth=1
	v_or_b32_e32 v18, 0x10000, v88
	v_cmp_eq_u32_sdwa vcc, v88, v19 src0_sel:WORD_0 src1_sel:DWORD
	s_nop 1
	v_cndmask_b32_e32 v18, v18, v88, vcc
; %bb.156:                              ;   in Loop: Header=BB132_6 Depth=1
	s_or_b64 exec, exec, s[68:69]
	v_and_b32_e32 v86, 0x7f800000, v89
	v_cmp_ne_u32_e32 vcc, s90, v86
                                        ; implicit-def: $vgpr86
	s_and_saveexec_b64 s[68:69], vcc
	s_xor_b64 s[68:69], exec, s[68:69]
; %bb.157:                              ;   in Loop: Header=BB132_6 Depth=1
	v_bfe_u32 v86, v89, 16, 1
	v_add3_u32 v86, v89, v86, s91
                                        ; implicit-def: $vgpr89
; %bb.158:                              ;   in Loop: Header=BB132_6 Depth=1
	s_andn2_saveexec_b64 s[68:69], s[68:69]
	s_cbranch_execz .LBB132_5
; %bb.159:                              ;   in Loop: Header=BB132_6 Depth=1
	v_or_b32_e32 v86, 0x10000, v89
	v_cmp_eq_u32_sdwa vcc, v89, v19 src0_sel:WORD_0 src1_sel:DWORD
	s_nop 1
	v_cndmask_b32_e32 v86, v86, v89, vcc
	s_branch .LBB132_5
.LBB132_160:
	s_or_b64 exec, exec, s[4:5]
	v_readlane_b32 s24, v119, 6
	v_readlane_b32 s26, v119, 9
	;; [unrolled: 1-line block ×5, first 2 shown]
.LBB132_161:
	v_readlane_b32 s0, v119, 4
	v_readlane_b32 s1, v119, 5
	s_or_b64 exec, exec, s[0:1]
	s_lshl_b64 s[0:1], s[26:27], 2
	v_readlane_b32 s4, v119, 0
	v_mul_u32_u24_e32 v0, 0x408, v115
	v_lshlrev_b32_e32 v1, 2, v114
	v_or_b32_e32 v2, 12, v17
	v_readlane_b32 s5, v119, 1
	s_add_u32 s4, s4, s0
	v_add3_u32 v0, 0, v0, v1
	v_and_b32_e32 v1, 0x3f0, v17
	v_and_b32_e32 v2, 0x3fc, v2
	s_addc_u32 s5, s5, s1
	v_add_u32_e32 v1, v0, v1
	v_add_u32_e32 v0, v0, v2
	s_barrier
	ds_write2_b32 v1, a0, a1 offset1:1
	ds_write_b32 v1, a2 offset:8
	ds_write_b32 v0, a3
	ds_write2_b32 v1, a4, a5 offset0:16 offset1:17
	ds_write_b32 v1, a6 offset:72
	ds_write_b32 v0, a7 offset:64
	ds_write2_b32 v1, a8, a9 offset0:32 offset1:33
	ds_write_b32 v1, a10 offset:136
	ds_write_b32 v0, a11 offset:128
	;; [unrolled: 3-line block ×3, first 2 shown]
	s_cmp_gt_i32 s14, 0
	v_add_u32_e32 v0, s2, v16
	s_cselect_b64 s[6:7], -1, 0
	v_cmp_gt_i32_e64 s[0:1], s33, v0
	v_cmp_gt_u32_e32 vcc, 14, v16
	s_and_b64 s[0:1], s[6:7], s[0:1]
	v_lshl_add_u32 v3, v17, 2, 0
	v_add_u32_e32 v2, s11, v17
	v_mul_u32_u24_e32 v4, 0x408, v16
	s_and_b64 s[8:9], vcc, s[0:1]
	s_waitcnt lgkmcnt(0)
	s_barrier
	s_and_saveexec_b64 s[0:1], s[8:9]
	s_cbranch_execz .LBB132_164
; %bb.162:
	v_ashrrev_i32_e32 v1, 31, v0
	v_lshl_add_u64 v[6:7], v[0:1], 2, s[4:5]
	global_load_dword v5, v[6:7], off
	s_waitcnt vmcnt(0)
	v_mul_hi_u32 v1, v5, s19
	v_add_u32_e32 v1, v5, v1
	v_lshrrev_b32_e32 v1, s24, v1
	v_cmp_gt_i32_e32 vcc, s13, v1
	s_and_b64 exec, exec, vcc
	s_cbranch_execz .LBB132_164
; %bb.163:
	v_add_u32_e32 v8, v3, v4
	ds_read2st64_b32 v[6:7], v8 offset1:1
	ds_read2st64_b32 v[8:9], v8 offset0:2 offset1:3
	v_mul_lo_u32 v10, v1, s25
	v_sub_u32_e32 v5, v5, v10
	v_mul_lo_u32 v5, v5, s10
	s_waitcnt lgkmcnt(1)
	v_add_f32_e32 v6, 0, v6
	v_add_f32_e32 v6, v6, v7
	s_waitcnt lgkmcnt(0)
	v_add_f32_e32 v6, v6, v8
	v_mul_lo_u32 v1, v1, s21
	v_readlane_b32 s8, v119, 2
	v_add_f32_e32 v8, v6, v9
	v_add3_u32 v6, v2, v1, v5
	v_mov_b32_e32 v7, 0
	v_readlane_b32 s9, v119, 3
	s_nop 1
	v_lshl_add_u64 v[6:7], v[6:7], 2, s[8:9]
	global_store_dword v[6:7], v8, off
.LBB132_164:
	s_or_b64 exec, exec, s[0:1]
	v_add_u32_e32 v1, 4, v0
	v_cmp_gt_i32_e64 s[0:1], s33, v1
	v_cmp_gt_u32_e32 vcc, 10, v16
	s_and_b64 s[0:1], s[6:7], s[0:1]
	s_and_b64 s[8:9], vcc, s[0:1]
	s_and_saveexec_b64 s[0:1], s[8:9]
	s_cbranch_execz .LBB132_167
; %bb.165:
	s_ashr_i32 s3, s2, 31
	v_mov_b32_e32 v17, 0
	v_lshl_add_u64 v[6:7], v[16:17], 0, s[2:3]
	v_lshl_add_u64 v[6:7], v[6:7], 2, s[4:5]
	global_load_dword v5, v[6:7], off offset:16
	s_waitcnt vmcnt(0)
	v_mul_hi_u32 v1, v5, s19
	v_add_u32_e32 v1, v5, v1
	v_lshrrev_b32_e32 v1, s24, v1
	v_cmp_gt_i32_e32 vcc, s13, v1
	s_and_b64 exec, exec, vcc
	s_cbranch_execz .LBB132_167
; %bb.166:
	v_add_u32_e32 v6, v4, v3
	v_add_u32_e32 v8, 32, v6
	ds_read2st64_b32 v[6:7], v8 offset0:16 offset1:17
	ds_read2st64_b32 v[8:9], v8 offset0:18 offset1:19
	v_mul_lo_u32 v10, v1, s25
	v_sub_u32_e32 v5, v5, v10
	v_mul_lo_u32 v5, v5, s10
	s_waitcnt lgkmcnt(1)
	v_add_f32_e32 v6, 0, v6
	v_add_f32_e32 v6, v6, v7
	s_waitcnt lgkmcnt(0)
	v_add_f32_e32 v6, v6, v8
	v_mul_lo_u32 v1, v1, s21
	v_readlane_b32 s8, v119, 2
	v_add_f32_e32 v8, v6, v9
	v_add3_u32 v6, v2, v1, v5
	v_mov_b32_e32 v7, v17
	v_readlane_b32 s9, v119, 3
	s_nop 1
	v_lshl_add_u64 v[6:7], v[6:7], 2, s[8:9]
	global_store_dword v[6:7], v8, off
.LBB132_167:
	s_or_b64 exec, exec, s[0:1]
	v_add_u32_e32 v0, 8, v0
	v_cmp_gt_i32_e64 s[0:1], s33, v0
	v_cmp_gt_u32_e32 vcc, 6, v16
	s_and_b64 s[0:1], s[6:7], s[0:1]
	s_and_b64 s[8:9], vcc, s[0:1]
	s_and_saveexec_b64 s[0:1], s[8:9]
	s_cbranch_execz .LBB132_170
; %bb.168:
	s_ashr_i32 s3, s2, 31
	v_mov_b32_e32 v17, 0
	v_lshl_add_u64 v[0:1], v[16:17], 0, s[2:3]
	v_lshl_add_u64 v[0:1], v[0:1], 2, s[4:5]
	global_load_dword v1, v[0:1], off offset:32
	s_waitcnt vmcnt(0)
	v_mul_hi_u32 v0, v1, s19
	v_add_u32_e32 v0, v1, v0
	v_lshrrev_b32_e32 v0, s24, v0
	v_cmp_gt_i32_e32 vcc, s13, v0
	s_and_b64 exec, exec, vcc
	s_cbranch_execz .LBB132_170
; %bb.169:
	v_add_u32_e32 v4, v3, v4
	v_add_u32_e32 v6, 64, v4
	ds_read2st64_b32 v[4:5], v6 offset0:32 offset1:33
	ds_read2st64_b32 v[6:7], v6 offset0:34 offset1:35
	v_mul_lo_u32 v8, v0, s25
	v_sub_u32_e32 v1, v1, v8
	v_mul_lo_u32 v1, v1, s10
	s_waitcnt lgkmcnt(1)
	v_add_f32_e32 v4, 0, v4
	v_add_f32_e32 v4, v4, v5
	v_mul_lo_u32 v0, v0, s21
	v_readlane_b32 s8, v119, 2
	s_waitcnt lgkmcnt(0)
	v_add_f32_e32 v4, v4, v6
	v_add3_u32 v0, v2, v0, v1
	v_mov_b32_e32 v1, v17
	v_readlane_b32 s9, v119, 3
	v_add_f32_e32 v4, v4, v7
	s_nop 0
	v_lshl_add_u64 v[0:1], v[0:1], 2, s[8:9]
	global_store_dword v[0:1], v4, off
.LBB132_170:
	s_or_b64 exec, exec, s[0:1]
	v_cmp_gt_u32_e32 vcc, 2, v16
	s_and_saveexec_b64 s[0:1], vcc
	s_cbranch_execz .LBB132_174
; %bb.171:
	v_or_b32_e32 v0, 12, v16
	v_add_u32_e32 v1, s2, v0
	v_cmp_gt_i32_e32 vcc, s33, v1
	s_and_b64 s[0:1], s[6:7], vcc
	s_and_b64 exec, exec, s[0:1]
	s_cbranch_execz .LBB132_174
; %bb.172:
	s_ashr_i32 s3, s2, 31
	v_mov_b32_e32 v17, 0
	v_lshl_add_u64 v[4:5], v[16:17], 0, s[2:3]
	v_lshl_add_u64 v[4:5], v[4:5], 2, s[4:5]
	global_load_dword v4, v[4:5], off offset:48
	s_waitcnt vmcnt(0)
	v_mul_hi_u32 v1, v4, s19
	v_add_u32_e32 v1, v4, v1
	v_lshrrev_b32_e32 v1, s24, v1
	v_cmp_gt_i32_e32 vcc, s13, v1
	s_and_b64 exec, exec, vcc
	s_cbranch_execz .LBB132_174
; %bb.173:
	s_movk_i32 s0, 0x408
	v_mad_u32_u24 v0, v0, s0, v3
	ds_read2st64_b32 v[6:7], v0 offset1:1
	ds_read2st64_b32 v[8:9], v0 offset0:2 offset1:3
	v_mul_lo_u32 v3, v1, s25
	v_sub_u32_e32 v0, v4, v3
	v_mul_lo_u32 v0, v0, s10
	s_waitcnt lgkmcnt(1)
	v_add_f32_e32 v3, 0, v6
	v_add_f32_e32 v3, v3, v7
	v_mul_lo_u32 v1, v1, s21
	v_readlane_b32 s0, v119, 2
	s_waitcnt lgkmcnt(0)
	v_add_f32_e32 v3, v3, v8
	v_add3_u32 v16, v2, v1, v0
	v_readlane_b32 s1, v119, 3
	v_add_f32_e32 v3, v3, v9
	s_nop 0
	v_lshl_add_u64 v[0:1], v[16:17], 2, s[0:1]
	global_store_dword v[0:1], v3, off
.LBB132_174:
	s_endpgm
	.section	.rodata,"a",@progbits
	.p2align	6, 0x0
	.amdhsa_kernel _ZL13mul_mat_f_idsI15__hip_bfloat162Li64ELi14ELi4EEvPKT_PKfPKiS7_S7_Pfiiiiiiiiiiiiii15HIP_vector_typeIjLj3EESA_
		.amdhsa_group_segment_fixed_size 0
		.amdhsa_private_segment_fixed_size 0
		.amdhsa_kernarg_size 128
		.amdhsa_user_sgpr_count 2
		.amdhsa_user_sgpr_dispatch_ptr 0
		.amdhsa_user_sgpr_queue_ptr 0
		.amdhsa_user_sgpr_kernarg_segment_ptr 1
		.amdhsa_user_sgpr_dispatch_id 0
		.amdhsa_user_sgpr_kernarg_preload_length 0
		.amdhsa_user_sgpr_kernarg_preload_offset 0
		.amdhsa_user_sgpr_private_segment_size 0
		.amdhsa_uses_dynamic_stack 0
		.amdhsa_enable_private_segment 0
		.amdhsa_system_sgpr_workgroup_id_x 1
		.amdhsa_system_sgpr_workgroup_id_y 1
		.amdhsa_system_sgpr_workgroup_id_z 1
		.amdhsa_system_sgpr_workgroup_info 0
		.amdhsa_system_vgpr_workitem_id 1
		.amdhsa_next_free_vgpr 136
		.amdhsa_next_free_sgpr 100
		.amdhsa_accum_offset 120
		.amdhsa_reserve_vcc 1
		.amdhsa_float_round_mode_32 0
		.amdhsa_float_round_mode_16_64 0
		.amdhsa_float_denorm_mode_32 3
		.amdhsa_float_denorm_mode_16_64 3
		.amdhsa_dx10_clamp 1
		.amdhsa_ieee_mode 1
		.amdhsa_fp16_overflow 0
		.amdhsa_tg_split 0
		.amdhsa_exception_fp_ieee_invalid_op 0
		.amdhsa_exception_fp_denorm_src 0
		.amdhsa_exception_fp_ieee_div_zero 0
		.amdhsa_exception_fp_ieee_overflow 0
		.amdhsa_exception_fp_ieee_underflow 0
		.amdhsa_exception_fp_ieee_inexact 0
		.amdhsa_exception_int_div_zero 0
	.end_amdhsa_kernel
	.section	.text._ZL13mul_mat_f_idsI15__hip_bfloat162Li64ELi14ELi4EEvPKT_PKfPKiS7_S7_Pfiiiiiiiiiiiiii15HIP_vector_typeIjLj3EESA_,"axG",@progbits,_ZL13mul_mat_f_idsI15__hip_bfloat162Li64ELi14ELi4EEvPKT_PKfPKiS7_S7_Pfiiiiiiiiiiiiii15HIP_vector_typeIjLj3EESA_,comdat
.Lfunc_end132:
	.size	_ZL13mul_mat_f_idsI15__hip_bfloat162Li64ELi14ELi4EEvPKT_PKfPKiS7_S7_Pfiiiiiiiiiiiiii15HIP_vector_typeIjLj3EESA_, .Lfunc_end132-_ZL13mul_mat_f_idsI15__hip_bfloat162Li64ELi14ELi4EEvPKT_PKfPKiS7_S7_Pfiiiiiiiiiiiiii15HIP_vector_typeIjLj3EESA_
                                        ; -- End function
	.section	.AMDGPU.csdata,"",@progbits
; Kernel info:
; codeLenInByte = 9460
; NumSgprs: 106
; NumVgprs: 120
; NumAgprs: 16
; TotalNumVgprs: 136
; ScratchSize: 0
; MemoryBound: 0
; FloatMode: 240
; IeeeMode: 1
; LDSByteSize: 0 bytes/workgroup (compile time only)
; SGPRBlocks: 13
; VGPRBlocks: 16
; NumSGPRsForWavesPerEU: 106
; NumVGPRsForWavesPerEU: 136
; AccumOffset: 120
; Occupancy: 3
; WaveLimiterHint : 1
; COMPUTE_PGM_RSRC2:SCRATCH_EN: 0
; COMPUTE_PGM_RSRC2:USER_SGPR: 2
; COMPUTE_PGM_RSRC2:TRAP_HANDLER: 0
; COMPUTE_PGM_RSRC2:TGID_X_EN: 1
; COMPUTE_PGM_RSRC2:TGID_Y_EN: 1
; COMPUTE_PGM_RSRC2:TGID_Z_EN: 1
; COMPUTE_PGM_RSRC2:TIDIG_COMP_CNT: 1
; COMPUTE_PGM_RSRC3_GFX90A:ACCUM_OFFSET: 29
; COMPUTE_PGM_RSRC3_GFX90A:TG_SPLIT: 0
	.section	.text._ZL9mul_mat_fI15__hip_bfloat162Li64ELi14ELi4ELb1EEvPKT_PKfPKiPfiiiiiiiiiiiiiiii,"axG",@progbits,_ZL9mul_mat_fI15__hip_bfloat162Li64ELi14ELi4ELb1EEvPKT_PKfPKiPfiiiiiiiiiiiiiiii,comdat
	.globl	_ZL9mul_mat_fI15__hip_bfloat162Li64ELi14ELi4ELb1EEvPKT_PKfPKiPfiiiiiiiiiiiiiiii ; -- Begin function _ZL9mul_mat_fI15__hip_bfloat162Li64ELi14ELi4ELb1EEvPKT_PKfPKiPfiiiiiiiiiiiiiiii
	.p2align	8
	.type	_ZL9mul_mat_fI15__hip_bfloat162Li64ELi14ELi4ELb1EEvPKT_PKfPKiPfiiiiiiiiiiiiiiii,@function
_ZL9mul_mat_fI15__hip_bfloat162Li64ELi14ELi4ELb1EEvPKT_PKfPKiPfiiiiiiiiiiiiiiii: ; @_ZL9mul_mat_fI15__hip_bfloat162Li64ELi14ELi4ELb1EEvPKT_PKfPKiPfiiiiiiiiiiiiiiii
; %bb.0:
	s_load_dwordx8 s[44:51], s[0:1], 0x20
	s_load_dword s7, s[0:1], 0x64
	s_load_dwordx4 s[52:55], s[0:1], 0x44
	s_load_dwordx2 s[8:9], s[0:1], 0x10
	v_and_b32_e32 v16, 0x3ff, v0
	v_bfe_u32 v17, v0, 10, 10
	s_waitcnt lgkmcnt(0)
	s_add_i32 s6, s45, 13
	s_mul_hi_i32 s5, s6, 0x92492493
	s_add_i32 s5, s5, s6
	s_lshr_b32 s6, s5, 31
	s_ashr_i32 s5, s5, 3
	s_add_i32 s5, s5, s6
	v_cvt_f32_u32_e32 v1, s5
	s_add_u32 s12, s0, 0x60
	s_addc_u32 s13, s1, 0
	s_sub_i32 s6, 0, s5
	v_rcp_iflag_f32_e32 v1, v1
	s_abs_i32 s22, s55
	v_mul_f32_e32 v1, 0x4f7ffffe, v1
	v_cvt_u32_f32_e32 v1, v1
	v_mul_lo_u32 v2, s6, v1
	v_mul_hi_u32 v2, v1, v2
	v_add_u32_e32 v1, v1, v2
	v_mul_hi_u32 v1, s7, v1
	v_mul_lo_u32 v2, v1, s5
	v_sub_u32_e32 v2, s7, v2
	v_add_u32_e32 v3, 1, v1
	v_subrev_u32_e32 v4, s5, v2
	v_cmp_le_u32_e32 vcc, s5, v2
	s_nop 1
	v_cndmask_b32_e32 v1, v1, v3, vcc
	v_cndmask_b32_e32 v2, v2, v4, vcc
	v_add_u32_e32 v3, 1, v1
	v_cmp_le_u32_e32 vcc, s5, v2
	s_nop 1
	v_cndmask_b32_e32 v1, v1, v3, vcc
	v_cvt_f32_u32_e32 v2, v1
	v_sub_u32_e32 v3, 0, v1
	v_cmp_eq_u32_e32 vcc, 0, v16
	v_rcp_iflag_f32_e32 v2, v2
	s_nop 0
	v_mul_f32_e32 v2, 0x4f7ffffe, v2
	v_cvt_u32_f32_e32 v2, v2
	v_mul_lo_u32 v3, v3, v2
	v_mul_hi_u32 v3, v2, v3
	v_add_u32_e32 v2, v2, v3
	v_mul_hi_u32 v2, s3, v2
	s_and_saveexec_b64 s[6:7], vcc
	s_cbranch_execz .LBB133_2
; %bb.1:
	v_mov_b32_e32 v3, 0x100
	v_lshl_add_u32 v3, v17, 2, v3
	v_mov_b32_e32 v4, -1
	ds_write_b32 v3, v4
.LBB133_2:
	s_or_b64 exec, exec, s[6:7]
	v_mul_lo_u32 v3, v2, v1
	v_sub_u32_e32 v3, s3, v3
	v_add_u32_e32 v4, 1, v2
	v_sub_u32_e32 v5, v3, v1
	v_cmp_ge_u32_e64 s[6:7], v3, v1
	v_cvt_f32_u32_e32 v9, s22
	s_nop 0
	v_cndmask_b32_e64 v2, v2, v4, s[6:7]
	v_cndmask_b32_e64 v3, v3, v5, s[6:7]
	v_add_u32_e32 v4, 1, v2
	v_cmp_ge_u32_e64 s[6:7], v3, v1
	s_nop 1
	v_cndmask_b32_e64 v2, v2, v4, s[6:7]
	v_mul_lo_u32 v92, v2, 14
	v_mul_lo_u32 v1, v2, v1
	v_mul_hi_i32 v3, v92, s51
	v_mul_lo_u32 v2, v92, s51
	v_sub_u32_e32 v8, s3, v1
	v_lshlrev_b64 v[2:3], 2, v[2:3]
	v_add_u32_e32 v1, v17, v92
	v_lshl_add_u64 v[2:3], s[8:9], 0, v[2:3]
	v_cmp_gt_i32_e64 s[8:9], s46, v16
	v_cmp_gt_i32_e64 s[24:25], s45, v1
	v_mov_b32_e32 v1, 0
	s_and_saveexec_b64 s[14:15], s[24:25]
	s_cbranch_execz .LBB133_10
; %bb.3:
	v_mov_b32_e32 v1, 0
	s_and_saveexec_b64 s[16:17], s[8:9]
	s_cbranch_execz .LBB133_9
; %bb.4:
	v_mul_lo_u32 v4, v17, s51
	v_ashrrev_i32_e32 v5, 31, v4
	v_mov_b32_e32 v1, 0x100
	v_lshl_add_u64 v[4:5], v[4:5], 2, v[2:3]
	v_lshl_add_u32 v10, v17, 2, v1
	v_mul_lo_u32 v6, v16, s50
	s_lshl_b32 s3, s50, 6
	s_mov_b64 s[18:19], 0
	v_mov_b32_e32 v1, 0
	v_mov_b32_e32 v11, v16
	s_branch .LBB133_6
.LBB133_5:                              ;   in Loop: Header=BB133_6 Depth=1
	s_or_b64 exec, exec, s[20:21]
	v_add_u32_e32 v11, 64, v11
	v_cmp_le_i32_e64 s[10:11], s46, v11
	s_xor_b64 s[6:7], s[6:7], -1
	s_or_b64 s[6:7], s[6:7], s[10:11]
	s_and_b64 s[6:7], exec, s[6:7]
	s_or_b64 s[18:19], s[6:7], s[18:19]
	v_add_u32_e32 v6, s3, v6
	s_andn2_b64 exec, exec, s[18:19]
	s_cbranch_execz .LBB133_8
.LBB133_6:                              ; =>This Inner Loop Header: Depth=1
	v_ashrrev_i32_e32 v7, 31, v6
	v_lshl_add_u64 v[12:13], v[6:7], 2, v[4:5]
	global_load_dword v7, v[12:13], off
	s_waitcnt vmcnt(0)
	v_cmp_ne_u32_e64 s[6:7], v7, v8
	v_cmp_eq_u32_e64 s[10:11], v7, v8
	s_and_saveexec_b64 s[20:21], s[10:11]
	s_cbranch_execz .LBB133_5
; %bb.7:                                ;   in Loop: Header=BB133_6 Depth=1
	v_mov_b32_e32 v1, 1
	ds_write_b32 v10, v11
	s_branch .LBB133_5
.LBB133_8:
	s_or_b64 exec, exec, s[18:19]
.LBB133_9:
	s_or_b64 exec, exec, s[16:17]
.LBB133_10:
	s_or_b64 exec, exec, s[14:15]
	v_rcp_iflag_f32_e32 v4, v9
	s_and_saveexec_b64 s[6:7], vcc
	s_cbranch_execz .LBB133_12
; %bb.11:
	v_mov_b32_e32 v5, 0x100
	v_lshl_add_u32 v5, v17, 2, v5
	v_mov_b32_e32 v6, -1
	ds_write_b32 v5, v6 offset:16
.LBB133_12:
	s_or_b64 exec, exec, s[6:7]
	v_add_u32_e32 v93, 4, v17
	v_mul_f32_e32 v9, 0x4f7ffffe, v4
	v_add_u32_e32 v4, v93, v92
	v_cmp_gt_i32_e64 s[6:7], s45, v4
	s_mov_b64 s[14:15], exec
                                        ; implicit-def: $vgpr103 : SGPR spill to VGPR lane
	s_nop 0
	v_writelane_b32 v103, s6, 0
	s_nop 1
	v_writelane_b32 v103, s7, 1
	s_and_b64 s[6:7], s[14:15], s[6:7]
	s_mov_b64 exec, s[6:7]
	s_cbranch_execz .LBB133_20
; %bb.13:
	s_and_saveexec_b64 s[16:17], s[8:9]
	s_cbranch_execz .LBB133_19
; %bb.14:
	v_mul_lo_u32 v4, v93, s51
	v_ashrrev_i32_e32 v5, 31, v4
	v_mov_b32_e32 v6, 0x100
	v_lshl_add_u64 v[4:5], v[4:5], 2, v[2:3]
	v_lshl_add_u32 v10, v17, 2, v6
	v_mul_lo_u32 v6, v16, s50
	s_lshl_b32 s3, s50, 6
	s_mov_b64 s[18:19], 0
	v_mov_b32_e32 v11, v16
	s_branch .LBB133_16
.LBB133_15:                             ;   in Loop: Header=BB133_16 Depth=1
	s_or_b64 exec, exec, s[20:21]
	v_add_u32_e32 v11, 64, v11
	v_cmp_le_i32_e64 s[10:11], s46, v11
	s_xor_b64 s[6:7], s[6:7], -1
	s_or_b64 s[6:7], s[6:7], s[10:11]
	s_and_b64 s[6:7], exec, s[6:7]
	s_or_b64 s[18:19], s[6:7], s[18:19]
	v_add_u32_e32 v6, s3, v6
	s_andn2_b64 exec, exec, s[18:19]
	s_cbranch_execz .LBB133_18
.LBB133_16:                             ; =>This Inner Loop Header: Depth=1
	v_ashrrev_i32_e32 v7, 31, v6
	v_lshl_add_u64 v[12:13], v[6:7], 2, v[4:5]
	global_load_dword v7, v[12:13], off
	s_waitcnt vmcnt(0)
	v_cmp_ne_u32_e64 s[6:7], v7, v8
	v_cmp_eq_u32_e64 s[10:11], v7, v8
	s_and_saveexec_b64 s[20:21], s[10:11]
	s_cbranch_execz .LBB133_15
; %bb.17:                               ;   in Loop: Header=BB133_16 Depth=1
	v_mov_b32_e32 v1, 1
	ds_write_b32 v10, v11 offset:16
	s_branch .LBB133_15
.LBB133_18:
	s_or_b64 exec, exec, s[18:19]
.LBB133_19:
	s_or_b64 exec, exec, s[16:17]
.LBB133_20:
	s_or_b64 exec, exec, s[14:15]
	v_cvt_u32_f32_e32 v9, v9
	s_sub_i32 s3, 0, s22
	s_and_saveexec_b64 s[6:7], vcc
	s_cbranch_execz .LBB133_22
; %bb.21:
	v_mov_b32_e32 v4, 0x100
	v_lshl_add_u32 v4, v17, 2, v4
	v_mov_b32_e32 v5, -1
	ds_write_b32 v4, v5 offset:32
.LBB133_22:
	s_or_b64 exec, exec, s[6:7]
	v_add_u32_e32 v94, 8, v17
	v_mul_lo_u32 v10, s3, v9
	v_add_u32_e32 v4, v94, v92
	v_cmp_gt_i32_e64 s[6:7], s45, v4
	s_mov_b64 s[14:15], exec
	s_nop 0
	v_writelane_b32 v103, s6, 2
	s_nop 1
	v_writelane_b32 v103, s7, 3
	s_and_b64 s[6:7], s[14:15], s[6:7]
	s_mov_b64 exec, s[6:7]
	s_cbranch_execz .LBB133_30
; %bb.23:
	s_and_saveexec_b64 s[16:17], s[8:9]
	s_cbranch_execz .LBB133_29
; %bb.24:
	v_mul_lo_u32 v4, v94, s51
	v_ashrrev_i32_e32 v5, 31, v4
	v_mov_b32_e32 v6, 0x100
	v_lshl_add_u64 v[4:5], v[4:5], 2, v[2:3]
	v_lshl_add_u32 v11, v17, 2, v6
	v_mul_lo_u32 v6, v16, s50
	s_lshl_b32 s3, s50, 6
	s_mov_b64 s[18:19], 0
	v_mov_b32_e32 v12, v16
	s_branch .LBB133_26
.LBB133_25:                             ;   in Loop: Header=BB133_26 Depth=1
	s_or_b64 exec, exec, s[20:21]
	v_add_u32_e32 v12, 64, v12
	v_cmp_le_i32_e64 s[10:11], s46, v12
	s_xor_b64 s[6:7], s[6:7], -1
	s_or_b64 s[6:7], s[6:7], s[10:11]
	s_and_b64 s[6:7], exec, s[6:7]
	s_or_b64 s[18:19], s[6:7], s[18:19]
	v_add_u32_e32 v6, s3, v6
	s_andn2_b64 exec, exec, s[18:19]
	s_cbranch_execz .LBB133_28
.LBB133_26:                             ; =>This Inner Loop Header: Depth=1
	v_ashrrev_i32_e32 v7, 31, v6
	v_lshl_add_u64 v[14:15], v[6:7], 2, v[4:5]
	global_load_dword v7, v[14:15], off
	s_waitcnt vmcnt(0)
	v_cmp_ne_u32_e64 s[6:7], v7, v8
	v_cmp_eq_u32_e64 s[10:11], v7, v8
	s_and_saveexec_b64 s[20:21], s[10:11]
	s_cbranch_execz .LBB133_25
; %bb.27:                               ;   in Loop: Header=BB133_26 Depth=1
	v_mov_b32_e32 v1, 1
	ds_write_b32 v11, v12 offset:32
	s_branch .LBB133_25
.LBB133_28:
	s_or_b64 exec, exec, s[18:19]
.LBB133_29:
	s_or_b64 exec, exec, s[16:17]
.LBB133_30:
	s_or_b64 exec, exec, s[14:15]
	v_mul_hi_u32 v4, v9, v10
	s_and_saveexec_b64 s[6:7], vcc
	s_cbranch_execz .LBB133_32
; %bb.31:
	v_mov_b32_e32 v5, 0x100
	v_lshl_add_u32 v5, v17, 2, v5
	v_mov_b32_e32 v6, -1
	ds_write_b32 v5, v6 offset:48
.LBB133_32:
	s_or_b64 exec, exec, s[6:7]
	s_load_dwordx4 s[28:31], s[0:1], 0x54
	v_add_u32_e32 v95, 12, v17
	s_abs_i32 s3, s4
	v_add_u32_e32 v6, v9, v4
	v_add_u32_e32 v4, v95, v92
	v_cmp_gt_i32_e64 s[6:7], s45, v4
	s_mov_b64 s[10:11], exec
	s_nop 0
	v_writelane_b32 v103, s6, 4
	s_nop 1
	v_writelane_b32 v103, s7, 5
	s_and_b64 s[6:7], s[10:11], s[6:7]
	s_mov_b64 exec, s[6:7]
	s_cbranch_execz .LBB133_40
; %bb.33:
	s_and_saveexec_b64 s[14:15], s[8:9]
	s_cbranch_execz .LBB133_39
; %bb.34:
	v_mul_lo_u32 v4, v95, s51
	v_ashrrev_i32_e32 v5, 31, v4
	v_lshl_add_u64 v[2:3], v[4:5], 2, v[2:3]
	v_mov_b32_e32 v4, 0x100
	v_lshl_add_u32 v7, v17, 2, v4
	v_mul_lo_u32 v4, v16, s50
	s_lshl_b32 s5, s50, 6
	s_mov_b64 s[16:17], 0
	v_mov_b32_e32 v9, v16
	s_branch .LBB133_36
.LBB133_35:                             ;   in Loop: Header=BB133_36 Depth=1
	s_or_b64 exec, exec, s[18:19]
	v_add_u32_e32 v9, 64, v9
	v_cmp_le_i32_e64 s[8:9], s46, v9
	s_xor_b64 s[6:7], vcc, -1
	s_or_b64 s[6:7], s[6:7], s[8:9]
	s_and_b64 s[6:7], exec, s[6:7]
	s_or_b64 s[16:17], s[6:7], s[16:17]
	v_add_u32_e32 v4, s5, v4
	s_andn2_b64 exec, exec, s[16:17]
	s_cbranch_execz .LBB133_38
.LBB133_36:                             ; =>This Inner Loop Header: Depth=1
	v_ashrrev_i32_e32 v5, 31, v4
	v_lshl_add_u64 v[10:11], v[4:5], 2, v[2:3]
	global_load_dword v5, v[10:11], off
	s_waitcnt vmcnt(0)
	v_cmp_ne_u32_e32 vcc, v5, v8
	v_cmp_eq_u32_e64 s[8:9], v5, v8
	s_and_saveexec_b64 s[18:19], s[8:9]
	s_cbranch_execz .LBB133_35
; %bb.37:                               ;   in Loop: Header=BB133_36 Depth=1
	v_mov_b32_e32 v1, 1
	ds_write_b32 v7, v9 offset:48
	s_branch .LBB133_35
.LBB133_38:
	s_or_b64 exec, exec, s[16:17]
.LBB133_39:
	s_or_b64 exec, exec, s[14:15]
.LBB133_40:
	s_or_b64 exec, exec, s[10:11]
	s_load_dwordx2 s[6:7], s[12:13], 0xc
	s_load_dwordx2 s[10:11], s[0:1], 0x8
	;; [unrolled: 1-line block ×3, first 2 shown]
	v_cmp_ne_u32_e32 vcc, 0, v1
	v_mul_hi_u32 v2, s3, v6
	s_waitcnt lgkmcnt(0)
	s_and_b32 s5, s7, 0xffff
	v_cndmask_b32_e64 v1, 0, 1, vcc
	v_writelane_b32 v103, s8, 6
	s_lshr_b32 s7, s6, 16
	v_or_b32_dpp v1, v1, v1 row_shl:1 row_mask:0xf bank_mask:0xf bound_ctrl:1
	s_and_b32 s6, s6, 0xffff
	v_writelane_b32 v103, s9, 7
	v_or_b32_dpp v1, v1, v1 row_shl:2 row_mask:0xf bank_mask:0xf bound_ctrl:1
	s_mul_i32 s8, s7, s6
	s_bfe_i32 s8, s8, 0x180000
	v_or_b32_dpp v1, v1, v1 row_shl:4 row_mask:0xf bank_mask:0xf bound_ctrl:1
	s_mul_i32 s5, s8, s5
	s_add_i32 s8, s5, 63
	v_or_b32_dpp v1, v1, v1 row_shl:8 row_mask:0xf bank_mask:0xf bound_ctrl:1
	s_bitcmp1_b32 exec_hi, 0
                                        ; kill: killed $sgpr12 killed $sgpr13
	s_nop 0
	v_mov_b32_dpp v3, v1 wave_shl:1 row_mask:0xf bank_mask:0xf bound_ctrl:1
	s_nop 1
	v_or_b32_dpp v1, v3, v1 row_mirror row_mask:0xf bank_mask:0xf bound_ctrl:1
	s_nop 0
	v_readlane_b32 s5, v1, 32
	s_cselect_b32 s5, s5, 0
	v_readlane_b32 s9, v1, 0
	s_or_b32 s5, s5, s9
	s_andn2_b32 s8, s8, 63
	s_cmp_lg_u32 s8, 64
	v_mov_b32_e32 v1, s5
	s_cbranch_scc0 .LBB133_47
; %bb.41:
	v_bfe_u32 v0, v0, 20, 10
	v_mbcnt_lo_u32_b32 v1, -1, 0
	v_mad_u32_u24 v0, v0, s7, v17
	v_mbcnt_hi_u32_b32 v3, -1, v1
	v_mad_u64_u32 v[0:1], s[6:7], v0, s6, v[16:17]
	v_lshrrev_b32_e32 v1, 6, v0
	v_or_b32_e32 v1, v3, v1
	v_cmp_eq_u32_e32 vcc, 0, v1
	s_and_saveexec_b64 s[8:9], vcc
	s_cbranch_execz .LBB133_43
; %bb.42:
	v_mov_b32_e32 v1, 0
	v_mov_b32_e32 v4, s5
	ds_write_b32 v1, v4
.LBB133_43:
	s_or_b64 exec, exec, s[8:9]
	v_cmp_eq_u32_e32 vcc, 0, v3
	v_cmp_lt_u32_e64 s[8:9], 63, v0
	s_and_b64 s[6:7], s[8:9], vcc
	s_waitcnt lgkmcnt(0)
	s_barrier
	s_and_saveexec_b64 s[8:9], s[6:7]
	s_cbranch_execz .LBB133_46
; %bb.44:
	v_mbcnt_lo_u32_b32 v0, exec_lo, 0
	v_mbcnt_hi_u32_b32 v0, exec_hi, v0
	v_cmp_eq_u32_e32 vcc, 0, v0
	s_and_b64 exec, exec, vcc
	s_cbranch_execz .LBB133_46
; %bb.45:
	v_mov_b32_e32 v0, 0
	v_mov_b32_e32 v1, s5
	ds_or_b32 v0, v1
.LBB133_46:
	s_or_b64 exec, exec, s[8:9]
	v_mov_b32_e32 v0, 0
	s_waitcnt lgkmcnt(0)
	s_barrier
	ds_read_b32 v1, v0
	s_waitcnt lgkmcnt(0)
	s_barrier
.LBB133_47:
	s_load_dwordx2 s[8:9], s[0:1], 0x0
	v_cmp_ne_u32_e32 vcc, 0, v1
	s_ashr_i32 s5, s4, 31
	s_ashr_i32 s6, s55, 31
	s_cbranch_vccz .LBB133_223
; %bb.48:
	v_lshlrev_b32_e32 v96, 6, v17
	v_add_u32_e32 v98, v96, v16
	v_cmp_le_i32_e32 vcc, s44, v98
	v_and_b32_e32 v97, 15, v16
                                        ; implicit-def: $sgpr7
	s_and_saveexec_b64 s[0:1], vcc
	s_xor_b64 s[0:1], exec, s[0:1]
; %bb.49:
	v_and_b32_e32 v97, 15, v16
	s_mov_b32 s7, 0
                                        ; implicit-def: $vgpr98
                                        ; implicit-def: $vgpr2
                                        ; implicit-def: $vgpr8
; %bb.50:
	s_or_saveexec_b64 s[0:1], s[0:1]
	s_lshl_b32 s12, s2, 6
	v_accvgpr_write_b32 a0, s7
	v_accvgpr_write_b32 a1, s7
	;; [unrolled: 1-line block ×16, first 2 shown]
	v_writelane_b32 v103, s0, 8
	s_nop 1
	v_writelane_b32 v103, s1, 9
	s_xor_b64 exec, exec, s[0:1]
	s_cbranch_execz .LBB133_208
; %bb.51:
	v_mul_lo_u32 v0, v2, s22
	v_sub_u32_e32 v0, s3, v0
	v_add_u32_e32 v1, 1, v2
	v_subrev_u32_e32 v3, s22, v0
	v_cmp_le_u32_e32 vcc, s22, v0
	s_xor_b32 s0, s5, s6
	v_writelane_b32 v103, s24, 10
	v_cndmask_b32_e32 v1, v2, v1, vcc
	v_cndmask_b32_e32 v0, v0, v3, vcc
	v_add_u32_e32 v2, 1, v1
	v_cmp_le_u32_e32 vcc, s22, v0
	v_writelane_b32 v103, s25, 11
	v_writelane_b32 v103, s12, 12
	v_cndmask_b32_e32 v0, v1, v2, vcc
	v_xor_b32_e32 v0, s0, v0
	v_subrev_u32_e32 v0, s0, v0
	v_mul_hi_i32 v1, v0, s28
	v_mul_lo_u32 v0, v0, s28
	v_mul_lo_u32 v2, v8, s52
	v_ashrrev_i32_e32 v3, 31, v2
	s_mul_i32 s0, s12, s47
	v_lshlrev_b64 v[0:1], 2, v[0:1]
	s_movk_i32 s2, 0x1080
	v_mov_b32_e32 v99, 0x100
	v_writelane_b32 v103, s4, 13
	s_waitcnt lgkmcnt(0)
	v_lshl_add_u64 v[4:5], s[8:9], 0, v[0:1]
	v_lshlrev_b64 v[2:3], 2, v[2:3]
	s_ashr_i32 s1, s0, 31
	v_mad_u32_u24 v6, v17, s2, v99
	s_mul_hi_i32 s3, s29, s4
	v_writelane_b32 v103, s28, 14
	s_mul_i32 s2, s29, s4
	v_lshl_add_u64 v[4:5], v[4:5], 0, v[2:3]
	s_lshl_b64 s[0:1], s[0:1], 2
	s_lshl_b64 s[2:3], s[2:3], 2
	v_lshl_add_u64 v[18:19], v[4:5], 0, s[0:1]
	v_writelane_b32 v103, s29, 15
	v_mul_hi_i32 v5, s48, v92
	v_mul_lo_u32 v4, s48, v92
	s_add_u32 s2, s10, s2
	v_writelane_b32 v103, s30, 16
	v_lshlrev_b64 v[4:5], 3, v[4:5]
	s_addc_u32 s3, s11, s3
	v_writelane_b32 v103, s31, 17
	v_lshl_add_u64 v[20:21], s[2:3], 0, v[4:5]
	s_lshl_b32 s2, s48, 3
	v_writelane_b32 v103, s2, 18
	s_mul_i32 s2, s48, 6
	v_writelane_b32 v103, s2, 19
	s_lshl_b32 s2, s48, 4
	v_writelane_b32 v103, s2, 20
	s_mul_i32 s2, s48, 10
	v_writelane_b32 v103, s2, 21
	s_mul_i32 s2, s48, 12
	v_writelane_b32 v103, s2, 22
	v_lshl_add_u64 v[0:1], v[0:1], 0, s[0:1]
	s_mul_i32 s0, s48, 26
	v_writelane_b32 v103, s0, 23
	s_mul_i32 s0, s48, 24
	v_writelane_b32 v103, s0, 24
	s_mul_i32 s0, s48, 22
	v_writelane_b32 v103, s0, 25
	s_mul_i32 s0, s48, 20
	v_writelane_b32 v103, s0, 26
	s_mul_i32 s0, s48, 18
	v_writelane_b32 v103, s0, 27
	s_mul_i32 s0, s48, 14
	v_writelane_b32 v103, s0, 28
	s_lshl_b32 s0, s48, 1
	v_writelane_b32 v103, s0, 29
	s_mul_i32 s0, s47, 3
	v_writelane_b32 v103, s0, 30
	s_mul_i32 s0, s47, 5
	;; [unrolled: 2-line block ×4, first 2 shown]
	v_lshrrev_b32_e32 v5, 1, v16
	v_writelane_b32 v103, s0, 33
	s_mul_i32 s0, s47, 9
	v_mul_u32_u24_e32 v4, 0x108, v97
	v_and_b32_e32 v5, 0x1f8, v5
	v_lshlrev_b32_e32 v22, 1, v16
	v_lshl_add_u64 v[0:1], v[0:1], 0, v[2:3]
	v_writelane_b32 v103, s0, 34
	s_mul_i32 s0, s47, 10
	v_lshl_add_u32 v100, v16, 2, v6
	v_add3_u32 v101, v6, v4, v5
	v_or_b32_e32 v4, 1, v92
	v_add_u32_e32 v5, 2, v92
	s_lshl_b32 s46, s48, 2
	v_add_u32_e32 v6, 3, v92
	v_add_u32_e32 v7, 4, v92
	v_add_u32_e32 v8, 5, v92
	v_add_u32_e32 v9, 6, v92
	v_add_u32_e32 v10, 7, v92
	v_add_u32_e32 v11, 8, v92
	v_add_u32_e32 v12, 9, v92
	v_add_u32_e32 v13, 10, v92
	v_add_u32_e32 v14, 11, v92
	v_add_u32_e32 v15, 12, v92
	v_add_u32_e32 v26, 13, v92
	s_ashr_i32 s3, s47, 31
	s_mov_b32 s2, s47
	v_lshl_add_u32 v102, v17, 7, v22
	v_lshlrev_b32_e32 v22, 2, v98
	v_mov_b32_e32 v23, 0
	v_lshl_add_u64 v[0:1], s[8:9], 0, v[0:1]
	v_writelane_b32 v103, s0, 35
	s_mul_i32 s0, s47, 11
	s_lshl_b64 s[2:3], s[2:3], 2
	v_lshl_add_u64 v[24:25], v[0:1], 0, v[22:23]
	s_lshl_b32 s70, s47, 1
	s_lshl_b32 s72, s47, 2
	s_lshl_b32 s76, s47, 3
	v_writelane_b32 v103, s0, 36
	s_mul_i32 s80, s47, 12
	s_mul_i32 s81, s47, 13
	;; [unrolled: 1-line block ×4, first 2 shown]
	s_lshl_b32 s84, s47, 4
	s_mul_i32 s85, s47, 17
	s_mul_i32 s86, s47, 18
	;; [unrolled: 1-line block ×15, first 2 shown]
	s_lshl_b32 s50, s47, 5
	s_mul_i32 s51, s47, 33
	s_mul_i32 s5, s47, 34
	;; [unrolled: 1-line block ×10, first 2 shown]
	v_cmp_gt_i32_e64 s[8:9], s45, v92
	s_mul_i32 s68, s47, 43
	s_mul_i32 s69, s47, 44
	v_accvgpr_write_b32 a15, 0
	v_accvgpr_write_b32 a14, 0
	;; [unrolled: 1-line block ×16, first 2 shown]
	s_mul_i32 s0, s47, 45
	s_mul_i32 s1, s47, 46
	;; [unrolled: 1-line block ×19, first 2 shown]
	s_mov_b32 s77, 0x7f800000
	s_movk_i32 s78, 0x7fff
	s_mov_b32 s79, 0x7060302
	v_cmp_gt_i32_e64 s[10:11], s45, v4
	v_cmp_gt_i32_e64 s[12:13], s45, v5
	;; [unrolled: 1-line block ×13, first 2 shown]
	s_mov_b32 s45, s46
	s_mov_b64 s[46:47], 0
	s_mov_b64 s[56:57], 0x400
	s_branch .LBB133_53
.LBB133_52:                             ;   in Loop: Header=BB133_53 Depth=1
	s_or_b64 exec, exec, s[60:61]
	v_perm_b32 v22, v90, v22, s79
	v_add_u32_e32 v90, 0xc00, v100
	ds_write2_b32 v90, v22, v23 offset0:106 offset1:172
	ds_write_b32 v100, v23 offset:4024
	ds_read2_b64 v[104:107], v101 offset0:8 offset1:12
	v_accvgpr_write_b32 a0, v0
	v_accvgpr_write_b32 a4, v4
	;; [unrolled: 1-line block ×16, first 2 shown]
	s_waitcnt lgkmcnt(0)
	v_mfma_f32_16x16x16_bf16 a[0:3], v[32:33], v[104:105], a[0:3]
	ds_read2_b64 v[0:3], v101 offset0:16 offset1:20
	v_add_u32_e32 v98, 0x100, v98
	v_cmp_le_i32_e32 vcc, s44, v98
	v_mfma_f32_16x16x16_bf16 a[4:7], v[58:59], v[104:105], a[4:7]
	v_add_u32_e32 v102, 0x200, v102
	v_lshl_add_u64 v[24:25], v[24:25], 0, s[56:57]
	s_or_b64 s[46:47], vcc, s[46:47]
	v_mfma_f32_16x16x16_bf16 a[8:11], v[72:73], v[104:105], a[8:11]
	v_mfma_f32_16x16x16_bf16 a[12:15], v[88:89], v[104:105], a[12:15]
	;; [unrolled: 1-line block ×6, first 2 shown]
	s_waitcnt lgkmcnt(0)
	v_mfma_f32_16x16x16_bf16 a[0:3], v[28:29], v[0:1], a[0:3]
	v_mfma_f32_16x16x16_bf16 a[4:7], v[52:53], v[0:1], a[4:7]
	;; [unrolled: 1-line block ×8, first 2 shown]
	ds_read2_b64 v[0:3], v101 offset0:24 offset1:28
	s_waitcnt lgkmcnt(0)
	v_mfma_f32_16x16x16_bf16 a[0:3], v[40:41], v[0:1], a[0:3]
	v_mfma_f32_16x16x16_bf16 a[4:7], v[48:49], v[0:1], a[4:7]
	;; [unrolled: 1-line block ×8, first 2 shown]
	ds_read2_b64 v[0:3], v101 offset0:32 offset1:36
	s_waitcnt lgkmcnt(0)
	v_mfma_f32_16x16x16_bf16 a[0:3], v[36:37], v[0:1], a[0:3]
	v_mfma_f32_16x16x16_bf16 a[4:7], v[44:45], v[0:1], a[4:7]
	;; [unrolled: 1-line block ×8, first 2 shown]
	s_andn2_b64 exec, exec, s[46:47]
	s_cbranch_execz .LBB133_207
.LBB133_53:                             ; =>This Inner Loop Header: Depth=1
	v_readlane_b32 s60, v103, 30
	v_lshl_add_u64 v[0:1], v[24:25], 0, s[2:3]
	global_load_dword v22, v[24:25], off
	global_load_dword v26, v[0:1], off
	v_add_u32_e32 v2, s60, v98
	v_readlane_b32 s60, v103, 31
	v_add_u32_e32 v0, s70, v98
	v_add_u32_e32 v4, s72, v98
	;; [unrolled: 1-line block ×3, first 2 shown]
	v_readlane_b32 s60, v103, 32
	v_add_u32_e32 v12, s76, v98
	v_ashrrev_i32_e32 v1, 31, v0
	v_add_u32_e32 v8, s60, v98
	v_readlane_b32 s60, v103, 33
	v_ashrrev_i32_e32 v5, 31, v4
	v_ashrrev_i32_e32 v7, 31, v6
	v_add_u32_e32 v10, s60, v98
	v_readlane_b32 s60, v103, 34
	v_ashrrev_i32_e32 v13, 31, v12
	v_lshl_add_u64 v[0:1], v[0:1], 2, v[18:19]
	v_add_u32_e32 v14, s60, v98
	v_ashrrev_i32_e32 v3, 31, v2
	v_lshl_add_u64 v[4:5], v[4:5], 2, v[18:19]
	v_lshl_add_u64 v[6:7], v[6:7], 2, v[18:19]
	v_ashrrev_i32_e32 v9, 31, v8
	v_ashrrev_i32_e32 v11, 31, v10
	v_lshl_add_u64 v[12:13], v[12:13], 2, v[18:19]
	v_ashrrev_i32_e32 v15, 31, v14
	v_readlane_b32 s60, v103, 35
	v_lshl_add_u64 v[2:3], v[2:3], 2, v[18:19]
	v_lshl_add_u64 v[8:9], v[8:9], 2, v[18:19]
	v_lshl_add_u64 v[10:11], v[10:11], 2, v[18:19]
	v_lshl_add_u64 v[14:15], v[14:15], 2, v[18:19]
	global_load_dword v27, v[0:1], off
	global_load_dword v28, v[2:3], off
	;; [unrolled: 1-line block ×6, first 2 shown]
	s_nop 0
	global_load_dword v12, v[12:13], off
	s_nop 0
	global_load_dword v13, v[14:15], off
	v_add_u32_e32 v0, s60, v98
	v_readlane_b32 s60, v103, 36
	v_add_u32_e32 v4, s80, v98
	v_add_u32_e32 v6, s81, v98
	v_ashrrev_i32_e32 v1, 31, v0
	v_add_u32_e32 v2, s60, v98
	v_ashrrev_i32_e32 v5, 31, v4
	v_ashrrev_i32_e32 v7, 31, v6
	v_add_u32_e32 v8, s82, v98
	v_add_u32_e32 v10, s83, v98
	v_lshl_add_u64 v[0:1], v[0:1], 2, v[18:19]
	v_ashrrev_i32_e32 v3, 31, v2
	v_lshl_add_u64 v[4:5], v[4:5], 2, v[18:19]
	v_lshl_add_u64 v[6:7], v[6:7], 2, v[18:19]
	v_ashrrev_i32_e32 v9, 31, v8
	v_ashrrev_i32_e32 v11, 31, v10
	v_lshl_add_u64 v[2:3], v[2:3], 2, v[18:19]
	v_lshl_add_u64 v[8:9], v[8:9], 2, v[18:19]
	;; [unrolled: 1-line block ×3, first 2 shown]
	global_load_dword v14, v[0:1], off
	global_load_dword v15, v[2:3], off
	s_nop 0
	global_load_dword v4, v[4:5], off
	s_nop 0
	;; [unrolled: 2-line block ×3, first 2 shown]
	global_load_dword v6, v[8:9], off
	global_load_dword v7, v[10:11], off
	v_add_u32_e32 v0, s84, v98
	v_add_u32_e32 v2, s85, v98
	v_ashrrev_i32_e32 v1, 31, v0
	v_ashrrev_i32_e32 v3, 31, v2
	v_lshl_add_u64 v[0:1], v[0:1], 2, v[18:19]
	v_lshl_add_u64 v[2:3], v[2:3], 2, v[18:19]
	global_load_dword v42, v[0:1], off
	global_load_dword v43, v[2:3], off
	v_add_u32_e32 v0, s86, v98
	v_ashrrev_i32_e32 v1, 31, v0
	v_add_u32_e32 v2, s87, v98
	v_add_u32_e32 v8, s90, v98
	;; [unrolled: 1-line block ×3, first 2 shown]
	v_lshl_add_u64 v[0:1], v[0:1], 2, v[18:19]
	v_ashrrev_i32_e32 v3, 31, v2
	v_ashrrev_i32_e32 v9, 31, v8
	;; [unrolled: 1-line block ×3, first 2 shown]
	v_lshl_add_u64 v[2:3], v[2:3], 2, v[18:19]
	v_lshl_add_u64 v[8:9], v[8:9], 2, v[18:19]
	;; [unrolled: 1-line block ×3, first 2 shown]
	s_andn2_b64 vcc, exec, s[8:9]
	s_waitcnt vmcnt(17)
	ds_write_b32 v100, v22 offset:64
	s_waitcnt vmcnt(16)
	ds_write_b32 v100, v26 offset:328
	;; [unrolled: 2-line block ×16, first 2 shown]
	v_add_u32_e32 v4, s88, v98
	v_add_u32_e32 v6, s89, v98
	;; [unrolled: 1-line block ×4, first 2 shown]
	v_ashrrev_i32_e32 v5, 31, v4
	v_ashrrev_i32_e32 v7, 31, v6
	;; [unrolled: 1-line block ×4, first 2 shown]
	ds_read_b64 v[32:33], v101 offset:64
	ds_read_b64 v[30:31], v101 offset:96
	;; [unrolled: 1-line block ×4, first 2 shown]
	v_lshl_add_u64 v[4:5], v[4:5], 2, v[18:19]
	v_lshl_add_u64 v[6:7], v[6:7], 2, v[18:19]
	v_lshl_add_u64 v[12:13], v[12:13], 2, v[18:19]
	v_lshl_add_u64 v[14:15], v[14:15], 2, v[18:19]
	global_load_dword v22, v[0:1], off
	global_load_dword v44, v[2:3], off
	global_load_dword v45, v[4:5], off
	global_load_dword v46, v[6:7], off
	global_load_dword v47, v[8:9], off
	global_load_dword v48, v[10:11], off
	global_load_dword v49, v[12:13], off
	global_load_dword v50, v[14:15], off
	v_add_u32_e32 v0, s94, v98
	v_ashrrev_i32_e32 v1, 31, v0
	v_add_u32_e32 v2, s95, v98
	v_add_u32_e32 v4, s96, v98
	v_add_u32_e32 v6, s97, v98
	v_add_u32_e32 v8, s98, v98
	v_add_u32_e32 v10, s99, v98
	v_add_u32_e32 v12, s50, v98
	v_add_u32_e32 v14, s51, v98
	v_lshl_add_u64 v[0:1], v[0:1], 2, v[18:19]
	v_ashrrev_i32_e32 v3, 31, v2
	v_ashrrev_i32_e32 v5, 31, v4
	v_ashrrev_i32_e32 v7, 31, v6
	v_ashrrev_i32_e32 v9, 31, v8
	v_ashrrev_i32_e32 v11, 31, v10
	v_ashrrev_i32_e32 v13, 31, v12
	v_ashrrev_i32_e32 v15, 31, v14
	v_lshl_add_u64 v[2:3], v[2:3], 2, v[18:19]
	v_lshl_add_u64 v[4:5], v[4:5], 2, v[18:19]
	v_lshl_add_u64 v[6:7], v[6:7], 2, v[18:19]
	v_lshl_add_u64 v[8:9], v[8:9], 2, v[18:19]
	v_lshl_add_u64 v[10:11], v[10:11], 2, v[18:19]
	v_lshl_add_u64 v[12:13], v[12:13], 2, v[18:19]
	v_lshl_add_u64 v[14:15], v[14:15], 2, v[18:19]
	global_load_dword v51, v[0:1], off
	global_load_dword v52, v[2:3], off
	global_load_dword v53, v[4:5], off
	global_load_dword v54, v[6:7], off
	global_load_dword v55, v[8:9], off
	global_load_dword v56, v[10:11], off
	global_load_dword v60, v[12:13], off
	global_load_dword v61, v[14:15], off
	v_add_u32_e32 v0, s5, v98
	v_ashrrev_i32_e32 v1, 31, v0
	v_add_u32_e32 v2, s58, v98
	v_add_u32_e32 v4, s55, v98
	v_add_u32_e32 v6, s62, v98
	v_add_u32_e32 v8, s63, v98
	v_add_u32_e32 v10, s64, v98
	v_add_u32_e32 v12, s65, v98
	v_add_u32_e32 v14, s66, v98
	v_lshl_add_u64 v[0:1], v[0:1], 2, v[18:19]
	v_ashrrev_i32_e32 v3, 31, v2
	v_ashrrev_i32_e32 v5, 31, v4
	v_ashrrev_i32_e32 v7, 31, v6
	v_ashrrev_i32_e32 v9, 31, v8
	v_ashrrev_i32_e32 v11, 31, v10
	v_ashrrev_i32_e32 v13, 31, v12
	v_ashrrev_i32_e32 v15, 31, v14
	v_lshl_add_u64 v[2:3], v[2:3], 2, v[18:19]
	v_lshl_add_u64 v[4:5], v[4:5], 2, v[18:19]
	v_lshl_add_u64 v[6:7], v[6:7], 2, v[18:19]
	;; [unrolled: 32-line block ×4, first 2 shown]
	v_lshl_add_u64 v[8:9], v[8:9], 2, v[18:19]
	v_lshl_add_u64 v[10:11], v[10:11], 2, v[18:19]
	;; [unrolled: 1-line block ×4, first 2 shown]
	global_load_dword v78, v[0:1], off
	global_load_dword v79, v[2:3], off
	;; [unrolled: 1-line block ×8, first 2 shown]
	v_add_u32_e32 v0, s48, v98
	v_ashrrev_i32_e32 v1, 31, v0
	v_add_u32_e32 v2, s71, v98
	v_add_u32_e32 v4, s4, v98
	;; [unrolled: 1-line block ×5, first 2 shown]
	v_lshl_add_u64 v[0:1], v[0:1], 2, v[18:19]
	v_ashrrev_i32_e32 v3, 31, v2
	v_ashrrev_i32_e32 v5, 31, v4
	;; [unrolled: 1-line block ×5, first 2 shown]
	v_lshl_add_u64 v[2:3], v[2:3], 2, v[18:19]
	v_lshl_add_u64 v[4:5], v[4:5], 2, v[18:19]
	;; [unrolled: 1-line block ×5, first 2 shown]
	global_load_dword v86, v[0:1], off
	global_load_dword v87, v[2:3], off
	;; [unrolled: 1-line block ×6, first 2 shown]
	ds_read_b64 v[40:41], v101 offset:192
	ds_read_b64 v[38:39], v101 offset:224
	ds_read_b64 v[36:37], v101 offset:256
	ds_read_b64 v[34:35], v101 offset:288
	s_waitcnt vmcnt(47)
	ds_write_b32 v100, v42 offset:64
	s_waitcnt vmcnt(46)
	ds_write_b32 v100, v43 offset:328
	s_waitcnt vmcnt(45)
	ds_write_b32 v100, v22 offset:592
	s_waitcnt vmcnt(44)
	ds_write_b32 v100, v44 offset:856
	s_waitcnt vmcnt(43)
	ds_write_b32 v100, v45 offset:1120
	s_waitcnt vmcnt(42)
	ds_write_b32 v100, v46 offset:1384
	s_waitcnt vmcnt(41)
	ds_write_b32 v100, v47 offset:1648
	s_waitcnt vmcnt(40)
	ds_write_b32 v100, v48 offset:1912
	s_waitcnt vmcnt(39)
	ds_write_b32 v100, v49 offset:2176
	s_waitcnt vmcnt(38)
	ds_write_b32 v100, v50 offset:2440
	s_waitcnt vmcnt(37)
	ds_write_b32 v100, v51 offset:2704
	s_waitcnt vmcnt(36)
	ds_write_b32 v100, v52 offset:2968
	s_waitcnt vmcnt(35)
	ds_write_b32 v100, v53 offset:3232
	s_waitcnt vmcnt(34)
	ds_write_b32 v100, v54 offset:3496
	s_waitcnt vmcnt(33)
	ds_write_b32 v100, v55 offset:3760
	s_waitcnt vmcnt(32)
	ds_write_b32 v100, v56 offset:4024
	ds_read_b64 v[58:59], v101 offset:64
	ds_read_b64 v[56:57], v101 offset:96
	ds_read_b64 v[52:53], v101 offset:128
	ds_read_b64 v[50:51], v101 offset:160
	ds_read_b64 v[48:49], v101 offset:192
	ds_read_b64 v[46:47], v101 offset:224
	ds_read_b64 v[44:45], v101 offset:256
	ds_read_b64 v[42:43], v101 offset:288
	s_waitcnt vmcnt(31)
	ds_write_b32 v100, v60 offset:64
	s_waitcnt vmcnt(30)
	ds_write_b32 v100, v61 offset:328
	s_waitcnt vmcnt(29)
	ds_write_b32 v100, v62 offset:592
	s_waitcnt vmcnt(28)
	ds_write_b32 v100, v63 offset:856
	s_waitcnt vmcnt(27)
	ds_write_b32 v100, v64 offset:1120
	s_waitcnt vmcnt(26)
	ds_write_b32 v100, v65 offset:1384
	s_waitcnt vmcnt(25)
	ds_write_b32 v100, v66 offset:1648
	s_waitcnt vmcnt(24)
	ds_write_b32 v100, v67 offset:1912
	s_waitcnt vmcnt(23)
	ds_write_b32 v100, v68 offset:2176
	s_waitcnt vmcnt(22)
	ds_write_b32 v100, v69 offset:2440
	s_waitcnt vmcnt(21)
	ds_write_b32 v100, v70 offset:2704
	s_waitcnt vmcnt(20)
	ds_write_b32 v100, v71 offset:2968
	s_waitcnt vmcnt(19)
	ds_write_b32 v100, v72 offset:3232
	s_waitcnt vmcnt(18)
	ds_write_b32 v100, v73 offset:3496
	s_waitcnt vmcnt(17)
	ds_write_b32 v100, v74 offset:3760
	s_waitcnt vmcnt(16)
	ds_write_b32 v100, v75 offset:4024
	ds_read_b64 v[72:73], v101 offset:64
	ds_read_b64 v[70:71], v101 offset:96
	ds_read_b64 v[68:69], v101 offset:128
	ds_read_b64 v[66:67], v101 offset:160
	;; [unrolled: 40-line block ×3, first 2 shown]
	ds_read_b64 v[84:85], v101 offset:192
	ds_read_b64 v[80:81], v101 offset:224
	ds_read_b64 v[76:77], v101 offset:256
	ds_read_b64 v[74:75], v101 offset:288
	v_accvgpr_read_b32 v3, a15
	v_accvgpr_read_b32 v2, a14
	;; [unrolled: 1-line block ×16, first 2 shown]
	v_mov_b32_e32 v90, 0
	v_mov_b32_e32 v91, 0
	s_cbranch_vccnz .LBB133_56
; %bb.54:                               ;   in Loop: Header=BB133_53 Depth=1
	ds_read_b32 v22, v99
	v_mov_b32_e32 v91, 0
	v_mov_b32_e32 v90, 0
	s_waitcnt lgkmcnt(0)
	v_cmp_gt_i32_e32 vcc, 0, v22
	s_cbranch_vccnz .LBB133_56
; %bb.55:                               ;   in Loop: Header=BB133_53 Depth=1
	v_mul_lo_u32 v22, v22, s53
	v_add_u32_e32 v90, v102, v22
	v_ashrrev_i32_e32 v91, 31, v90
	v_lshl_add_u64 v[90:91], v[90:91], 2, v[20:21]
	global_load_dwordx2 v[90:91], v[90:91], off
.LBB133_56:                             ;   in Loop: Header=BB133_53 Depth=1
	s_waitcnt vmcnt(0)
	v_and_b32_e32 v22, 0x7f800000, v90
	v_cmp_ne_u32_e32 vcc, s77, v22
                                        ; implicit-def: $vgpr22
	s_and_saveexec_b64 s[60:61], vcc
	s_xor_b64 s[60:61], exec, s[60:61]
; %bb.57:                               ;   in Loop: Header=BB133_53 Depth=1
	v_bfe_u32 v22, v90, 16, 1
	v_add3_u32 v22, v90, v22, s78
; %bb.58:                               ;   in Loop: Header=BB133_53 Depth=1
	s_andn2_saveexec_b64 s[60:61], s[60:61]
; %bb.59:                               ;   in Loop: Header=BB133_53 Depth=1
	v_or_b32_e32 v22, 0x10000, v90
	v_cmp_eq_u32_sdwa vcc, v90, v23 src0_sel:WORD_0 src1_sel:DWORD
	s_nop 1
	v_cndmask_b32_e32 v22, v22, v90, vcc
; %bb.60:                               ;   in Loop: Header=BB133_53 Depth=1
	s_or_b64 exec, exec, s[60:61]
	v_and_b32_e32 v90, 0x7f800000, v91
	v_cmp_ne_u32_e32 vcc, s77, v90
                                        ; implicit-def: $vgpr90
	s_and_saveexec_b64 s[60:61], vcc
	s_xor_b64 s[60:61], exec, s[60:61]
; %bb.61:                               ;   in Loop: Header=BB133_53 Depth=1
	v_bfe_u32 v90, v91, 16, 1
	v_add3_u32 v90, v91, v90, s78
                                        ; implicit-def: $vgpr91
; %bb.62:                               ;   in Loop: Header=BB133_53 Depth=1
	s_andn2_saveexec_b64 s[60:61], s[60:61]
; %bb.63:                               ;   in Loop: Header=BB133_53 Depth=1
	v_or_b32_e32 v90, 0x10000, v91
	v_cmp_eq_u32_sdwa vcc, v91, v23 src0_sel:WORD_0 src1_sel:DWORD
	s_nop 1
	v_cndmask_b32_e32 v90, v90, v91, vcc
; %bb.64:                               ;   in Loop: Header=BB133_53 Depth=1
	s_or_b64 exec, exec, s[60:61]
	v_perm_b32 v22, v90, v22, s79
	s_andn2_b64 vcc, exec, s[10:11]
	v_mov_b32_e32 v90, 0
	v_mov_b32_e32 v91, 0
	ds_write_b32 v100, v22 offset:64
	s_cbranch_vccnz .LBB133_67
; %bb.65:                               ;   in Loop: Header=BB133_53 Depth=1
	ds_read_b32 v22, v99 offset:4
	v_mov_b32_e32 v91, 0
	v_mov_b32_e32 v90, 0
	s_waitcnt lgkmcnt(0)
	v_cmp_gt_i32_e32 vcc, 0, v22
	s_cbranch_vccnz .LBB133_67
; %bb.66:                               ;   in Loop: Header=BB133_53 Depth=1
	v_mul_lo_u32 v22, v22, s53
	v_readlane_b32 s60, v103, 29
	s_nop 1
	v_add_u32_e32 v22, s60, v22
	v_add_u32_e32 v90, v22, v102
	v_ashrrev_i32_e32 v91, 31, v90
	v_lshl_add_u64 v[90:91], v[90:91], 2, v[20:21]
	global_load_dwordx2 v[90:91], v[90:91], off
.LBB133_67:                             ;   in Loop: Header=BB133_53 Depth=1
	s_waitcnt vmcnt(0)
	v_and_b32_e32 v22, 0x7f800000, v90
	v_cmp_ne_u32_e32 vcc, s77, v22
                                        ; implicit-def: $vgpr22
	s_and_saveexec_b64 s[60:61], vcc
	s_xor_b64 s[60:61], exec, s[60:61]
; %bb.68:                               ;   in Loop: Header=BB133_53 Depth=1
	v_bfe_u32 v22, v90, 16, 1
	v_add3_u32 v22, v90, v22, s78
; %bb.69:                               ;   in Loop: Header=BB133_53 Depth=1
	s_andn2_saveexec_b64 s[60:61], s[60:61]
; %bb.70:                               ;   in Loop: Header=BB133_53 Depth=1
	v_or_b32_e32 v22, 0x10000, v90
	v_cmp_eq_u32_sdwa vcc, v90, v23 src0_sel:WORD_0 src1_sel:DWORD
	s_nop 1
	v_cndmask_b32_e32 v22, v22, v90, vcc
; %bb.71:                               ;   in Loop: Header=BB133_53 Depth=1
	s_or_b64 exec, exec, s[60:61]
	v_and_b32_e32 v90, 0x7f800000, v91
	v_cmp_ne_u32_e32 vcc, s77, v90
                                        ; implicit-def: $vgpr90
	s_and_saveexec_b64 s[60:61], vcc
	s_xor_b64 s[60:61], exec, s[60:61]
; %bb.72:                               ;   in Loop: Header=BB133_53 Depth=1
	v_bfe_u32 v90, v91, 16, 1
	v_add3_u32 v90, v91, v90, s78
                                        ; implicit-def: $vgpr91
; %bb.73:                               ;   in Loop: Header=BB133_53 Depth=1
	s_andn2_saveexec_b64 s[60:61], s[60:61]
; %bb.74:                               ;   in Loop: Header=BB133_53 Depth=1
	v_or_b32_e32 v90, 0x10000, v91
	v_cmp_eq_u32_sdwa vcc, v91, v23 src0_sel:WORD_0 src1_sel:DWORD
	s_nop 1
	v_cndmask_b32_e32 v90, v90, v91, vcc
; %bb.75:                               ;   in Loop: Header=BB133_53 Depth=1
	s_or_b64 exec, exec, s[60:61]
	v_perm_b32 v22, v90, v22, s79
	s_andn2_b64 vcc, exec, s[12:13]
	v_mov_b32_e32 v90, 0
	v_mov_b32_e32 v91, 0
	ds_write_b32 v100, v22 offset:328
	s_cbranch_vccnz .LBB133_78
; %bb.76:                               ;   in Loop: Header=BB133_53 Depth=1
	ds_read_b32 v22, v99 offset:8
	v_mov_b32_e32 v91, 0
	v_mov_b32_e32 v90, 0
	s_waitcnt lgkmcnt(0)
	v_cmp_gt_i32_e32 vcc, 0, v22
	s_cbranch_vccnz .LBB133_78
; %bb.77:                               ;   in Loop: Header=BB133_53 Depth=1
	v_mul_lo_u32 v22, v22, s53
	v_add_u32_e32 v22, s45, v22
	v_add_u32_e32 v90, v22, v102
	v_ashrrev_i32_e32 v91, 31, v90
	v_lshl_add_u64 v[90:91], v[90:91], 2, v[20:21]
	global_load_dwordx2 v[90:91], v[90:91], off
.LBB133_78:                             ;   in Loop: Header=BB133_53 Depth=1
	s_waitcnt vmcnt(0)
	v_and_b32_e32 v22, 0x7f800000, v90
	v_cmp_ne_u32_e32 vcc, s77, v22
                                        ; implicit-def: $vgpr22
	s_and_saveexec_b64 s[60:61], vcc
	s_xor_b64 s[60:61], exec, s[60:61]
; %bb.79:                               ;   in Loop: Header=BB133_53 Depth=1
	v_bfe_u32 v22, v90, 16, 1
	v_add3_u32 v22, v90, v22, s78
; %bb.80:                               ;   in Loop: Header=BB133_53 Depth=1
	s_andn2_saveexec_b64 s[60:61], s[60:61]
; %bb.81:                               ;   in Loop: Header=BB133_53 Depth=1
	v_or_b32_e32 v22, 0x10000, v90
	v_cmp_eq_u32_sdwa vcc, v90, v23 src0_sel:WORD_0 src1_sel:DWORD
	s_nop 1
	v_cndmask_b32_e32 v22, v22, v90, vcc
; %bb.82:                               ;   in Loop: Header=BB133_53 Depth=1
	s_or_b64 exec, exec, s[60:61]
	v_and_b32_e32 v90, 0x7f800000, v91
	v_cmp_ne_u32_e32 vcc, s77, v90
                                        ; implicit-def: $vgpr90
	s_and_saveexec_b64 s[60:61], vcc
	s_xor_b64 s[60:61], exec, s[60:61]
; %bb.83:                               ;   in Loop: Header=BB133_53 Depth=1
	v_bfe_u32 v90, v91, 16, 1
	v_add3_u32 v90, v91, v90, s78
                                        ; implicit-def: $vgpr91
; %bb.84:                               ;   in Loop: Header=BB133_53 Depth=1
	s_andn2_saveexec_b64 s[60:61], s[60:61]
; %bb.85:                               ;   in Loop: Header=BB133_53 Depth=1
	v_or_b32_e32 v90, 0x10000, v91
	v_cmp_eq_u32_sdwa vcc, v91, v23 src0_sel:WORD_0 src1_sel:DWORD
	s_nop 1
	v_cndmask_b32_e32 v90, v90, v91, vcc
; %bb.86:                               ;   in Loop: Header=BB133_53 Depth=1
	s_or_b64 exec, exec, s[60:61]
	v_perm_b32 v22, v90, v22, s79
	s_andn2_b64 vcc, exec, s[14:15]
	v_mov_b32_e32 v90, 0
	v_mov_b32_e32 v91, 0
	ds_write_b32 v100, v22 offset:592
	s_cbranch_vccnz .LBB133_89
; %bb.87:                               ;   in Loop: Header=BB133_53 Depth=1
	ds_read_b32 v22, v99 offset:12
	v_mov_b32_e32 v91, 0
	v_mov_b32_e32 v90, 0
	s_waitcnt lgkmcnt(0)
	v_cmp_gt_i32_e32 vcc, 0, v22
	s_cbranch_vccnz .LBB133_89
; %bb.88:                               ;   in Loop: Header=BB133_53 Depth=1
	v_mul_lo_u32 v22, v22, s53
	v_readlane_b32 s60, v103, 19
	s_nop 1
	v_add_u32_e32 v22, s60, v22
	v_add_u32_e32 v90, v22, v102
	v_ashrrev_i32_e32 v91, 31, v90
	v_lshl_add_u64 v[90:91], v[90:91], 2, v[20:21]
	global_load_dwordx2 v[90:91], v[90:91], off
.LBB133_89:                             ;   in Loop: Header=BB133_53 Depth=1
	s_waitcnt vmcnt(0)
	v_and_b32_e32 v22, 0x7f800000, v90
	v_cmp_ne_u32_e32 vcc, s77, v22
                                        ; implicit-def: $vgpr22
	s_and_saveexec_b64 s[60:61], vcc
	s_xor_b64 s[60:61], exec, s[60:61]
; %bb.90:                               ;   in Loop: Header=BB133_53 Depth=1
	v_bfe_u32 v22, v90, 16, 1
	v_add3_u32 v22, v90, v22, s78
; %bb.91:                               ;   in Loop: Header=BB133_53 Depth=1
	s_andn2_saveexec_b64 s[60:61], s[60:61]
; %bb.92:                               ;   in Loop: Header=BB133_53 Depth=1
	v_or_b32_e32 v22, 0x10000, v90
	v_cmp_eq_u32_sdwa vcc, v90, v23 src0_sel:WORD_0 src1_sel:DWORD
	s_nop 1
	v_cndmask_b32_e32 v22, v22, v90, vcc
; %bb.93:                               ;   in Loop: Header=BB133_53 Depth=1
	s_or_b64 exec, exec, s[60:61]
	v_and_b32_e32 v90, 0x7f800000, v91
	v_cmp_ne_u32_e32 vcc, s77, v90
                                        ; implicit-def: $vgpr90
	s_and_saveexec_b64 s[60:61], vcc
	s_xor_b64 s[60:61], exec, s[60:61]
; %bb.94:                               ;   in Loop: Header=BB133_53 Depth=1
	v_bfe_u32 v90, v91, 16, 1
	v_add3_u32 v90, v91, v90, s78
                                        ; implicit-def: $vgpr91
; %bb.95:                               ;   in Loop: Header=BB133_53 Depth=1
	s_andn2_saveexec_b64 s[60:61], s[60:61]
; %bb.96:                               ;   in Loop: Header=BB133_53 Depth=1
	v_or_b32_e32 v90, 0x10000, v91
	v_cmp_eq_u32_sdwa vcc, v91, v23 src0_sel:WORD_0 src1_sel:DWORD
	s_nop 1
	v_cndmask_b32_e32 v90, v90, v91, vcc
; %bb.97:                               ;   in Loop: Header=BB133_53 Depth=1
	s_or_b64 exec, exec, s[60:61]
	v_perm_b32 v22, v90, v22, s79
	s_andn2_b64 vcc, exec, s[16:17]
	v_mov_b32_e32 v90, 0
	v_mov_b32_e32 v91, 0
	ds_write_b32 v100, v22 offset:856
	s_cbranch_vccnz .LBB133_100
; %bb.98:                               ;   in Loop: Header=BB133_53 Depth=1
	ds_read_b32 v22, v99 offset:16
	v_mov_b32_e32 v91, 0
	v_mov_b32_e32 v90, 0
	s_waitcnt lgkmcnt(0)
	v_cmp_gt_i32_e32 vcc, 0, v22
	s_cbranch_vccnz .LBB133_100
; %bb.99:                               ;   in Loop: Header=BB133_53 Depth=1
	v_mul_lo_u32 v22, v22, s53
	v_readlane_b32 s60, v103, 18
	s_nop 1
	v_add_u32_e32 v22, s60, v22
	v_add_u32_e32 v90, v22, v102
	v_ashrrev_i32_e32 v91, 31, v90
	v_lshl_add_u64 v[90:91], v[90:91], 2, v[20:21]
	global_load_dwordx2 v[90:91], v[90:91], off
.LBB133_100:                            ;   in Loop: Header=BB133_53 Depth=1
	s_waitcnt vmcnt(0)
	v_and_b32_e32 v22, 0x7f800000, v90
	v_cmp_ne_u32_e32 vcc, s77, v22
                                        ; implicit-def: $vgpr22
	s_and_saveexec_b64 s[60:61], vcc
	s_xor_b64 s[60:61], exec, s[60:61]
; %bb.101:                              ;   in Loop: Header=BB133_53 Depth=1
	v_bfe_u32 v22, v90, 16, 1
	v_add3_u32 v22, v90, v22, s78
; %bb.102:                              ;   in Loop: Header=BB133_53 Depth=1
	s_andn2_saveexec_b64 s[60:61], s[60:61]
; %bb.103:                              ;   in Loop: Header=BB133_53 Depth=1
	v_or_b32_e32 v22, 0x10000, v90
	v_cmp_eq_u32_sdwa vcc, v90, v23 src0_sel:WORD_0 src1_sel:DWORD
	s_nop 1
	v_cndmask_b32_e32 v22, v22, v90, vcc
; %bb.104:                              ;   in Loop: Header=BB133_53 Depth=1
	s_or_b64 exec, exec, s[60:61]
	v_and_b32_e32 v90, 0x7f800000, v91
	v_cmp_ne_u32_e32 vcc, s77, v90
                                        ; implicit-def: $vgpr90
	s_and_saveexec_b64 s[60:61], vcc
	s_xor_b64 s[60:61], exec, s[60:61]
; %bb.105:                              ;   in Loop: Header=BB133_53 Depth=1
	v_bfe_u32 v90, v91, 16, 1
	v_add3_u32 v90, v91, v90, s78
                                        ; implicit-def: $vgpr91
; %bb.106:                              ;   in Loop: Header=BB133_53 Depth=1
	s_andn2_saveexec_b64 s[60:61], s[60:61]
; %bb.107:                              ;   in Loop: Header=BB133_53 Depth=1
	v_or_b32_e32 v90, 0x10000, v91
	v_cmp_eq_u32_sdwa vcc, v91, v23 src0_sel:WORD_0 src1_sel:DWORD
	s_nop 1
	v_cndmask_b32_e32 v90, v90, v91, vcc
; %bb.108:                              ;   in Loop: Header=BB133_53 Depth=1
	s_or_b64 exec, exec, s[60:61]
	v_perm_b32 v22, v90, v22, s79
	s_andn2_b64 vcc, exec, s[18:19]
	v_mov_b32_e32 v90, 0
	v_mov_b32_e32 v91, 0
	ds_write_b32 v100, v22 offset:1120
	s_cbranch_vccnz .LBB133_111
; %bb.109:                              ;   in Loop: Header=BB133_53 Depth=1
	ds_read_b32 v22, v99 offset:20
	v_mov_b32_e32 v91, 0
	v_mov_b32_e32 v90, 0
	s_waitcnt lgkmcnt(0)
	v_cmp_gt_i32_e32 vcc, 0, v22
	s_cbranch_vccnz .LBB133_111
; %bb.110:                              ;   in Loop: Header=BB133_53 Depth=1
	v_mul_lo_u32 v22, v22, s53
	v_readlane_b32 s60, v103, 21
	s_nop 1
	v_add_u32_e32 v22, s60, v22
	v_add_u32_e32 v90, v22, v102
	v_ashrrev_i32_e32 v91, 31, v90
	v_lshl_add_u64 v[90:91], v[90:91], 2, v[20:21]
	global_load_dwordx2 v[90:91], v[90:91], off
.LBB133_111:                            ;   in Loop: Header=BB133_53 Depth=1
	s_waitcnt vmcnt(0)
	v_and_b32_e32 v22, 0x7f800000, v90
	v_cmp_ne_u32_e32 vcc, s77, v22
                                        ; implicit-def: $vgpr22
	s_and_saveexec_b64 s[60:61], vcc
	s_xor_b64 s[60:61], exec, s[60:61]
; %bb.112:                              ;   in Loop: Header=BB133_53 Depth=1
	v_bfe_u32 v22, v90, 16, 1
	v_add3_u32 v22, v90, v22, s78
; %bb.113:                              ;   in Loop: Header=BB133_53 Depth=1
	s_andn2_saveexec_b64 s[60:61], s[60:61]
; %bb.114:                              ;   in Loop: Header=BB133_53 Depth=1
	v_or_b32_e32 v22, 0x10000, v90
	v_cmp_eq_u32_sdwa vcc, v90, v23 src0_sel:WORD_0 src1_sel:DWORD
	s_nop 1
	v_cndmask_b32_e32 v22, v22, v90, vcc
; %bb.115:                              ;   in Loop: Header=BB133_53 Depth=1
	s_or_b64 exec, exec, s[60:61]
	v_and_b32_e32 v90, 0x7f800000, v91
	v_cmp_ne_u32_e32 vcc, s77, v90
                                        ; implicit-def: $vgpr90
	s_and_saveexec_b64 s[60:61], vcc
	s_xor_b64 s[60:61], exec, s[60:61]
; %bb.116:                              ;   in Loop: Header=BB133_53 Depth=1
	v_bfe_u32 v90, v91, 16, 1
	v_add3_u32 v90, v91, v90, s78
                                        ; implicit-def: $vgpr91
; %bb.117:                              ;   in Loop: Header=BB133_53 Depth=1
	s_andn2_saveexec_b64 s[60:61], s[60:61]
; %bb.118:                              ;   in Loop: Header=BB133_53 Depth=1
	v_or_b32_e32 v90, 0x10000, v91
	v_cmp_eq_u32_sdwa vcc, v91, v23 src0_sel:WORD_0 src1_sel:DWORD
	s_nop 1
	v_cndmask_b32_e32 v90, v90, v91, vcc
; %bb.119:                              ;   in Loop: Header=BB133_53 Depth=1
	s_or_b64 exec, exec, s[60:61]
	v_perm_b32 v22, v90, v22, s79
	s_andn2_b64 vcc, exec, s[20:21]
	v_mov_b32_e32 v90, 0
	v_mov_b32_e32 v91, 0
	ds_write_b32 v100, v22 offset:1384
	s_cbranch_vccnz .LBB133_122
; %bb.120:                              ;   in Loop: Header=BB133_53 Depth=1
	ds_read_b32 v22, v99 offset:24
	v_mov_b32_e32 v91, 0
	v_mov_b32_e32 v90, 0
	s_waitcnt lgkmcnt(0)
	v_cmp_gt_i32_e32 vcc, 0, v22
	s_cbranch_vccnz .LBB133_122
; %bb.121:                              ;   in Loop: Header=BB133_53 Depth=1
	v_mul_lo_u32 v22, v22, s53
	v_readlane_b32 s60, v103, 22
	s_nop 1
	v_add_u32_e32 v22, s60, v22
	v_add_u32_e32 v90, v22, v102
	v_ashrrev_i32_e32 v91, 31, v90
	v_lshl_add_u64 v[90:91], v[90:91], 2, v[20:21]
	global_load_dwordx2 v[90:91], v[90:91], off
.LBB133_122:                            ;   in Loop: Header=BB133_53 Depth=1
	;; [unrolled: 59-line block ×9, first 2 shown]
	s_waitcnt vmcnt(0)
	v_and_b32_e32 v22, 0x7f800000, v90
	v_cmp_ne_u32_e32 vcc, s77, v22
                                        ; implicit-def: $vgpr22
	s_and_saveexec_b64 s[60:61], vcc
	s_xor_b64 s[60:61], exec, s[60:61]
; %bb.200:                              ;   in Loop: Header=BB133_53 Depth=1
	v_bfe_u32 v22, v90, 16, 1
	v_add3_u32 v22, v90, v22, s78
; %bb.201:                              ;   in Loop: Header=BB133_53 Depth=1
	s_andn2_saveexec_b64 s[60:61], s[60:61]
; %bb.202:                              ;   in Loop: Header=BB133_53 Depth=1
	v_or_b32_e32 v22, 0x10000, v90
	v_cmp_eq_u32_sdwa vcc, v90, v23 src0_sel:WORD_0 src1_sel:DWORD
	s_nop 1
	v_cndmask_b32_e32 v22, v22, v90, vcc
; %bb.203:                              ;   in Loop: Header=BB133_53 Depth=1
	s_or_b64 exec, exec, s[60:61]
	v_and_b32_e32 v90, 0x7f800000, v91
	v_cmp_ne_u32_e32 vcc, s77, v90
                                        ; implicit-def: $vgpr90
	s_and_saveexec_b64 s[60:61], vcc
	s_xor_b64 s[60:61], exec, s[60:61]
; %bb.204:                              ;   in Loop: Header=BB133_53 Depth=1
	v_bfe_u32 v90, v91, 16, 1
	v_add3_u32 v90, v91, v90, s78
                                        ; implicit-def: $vgpr91
; %bb.205:                              ;   in Loop: Header=BB133_53 Depth=1
	s_andn2_saveexec_b64 s[60:61], s[60:61]
	s_cbranch_execz .LBB133_52
; %bb.206:                              ;   in Loop: Header=BB133_53 Depth=1
	v_or_b32_e32 v90, 0x10000, v91
	v_cmp_eq_u32_sdwa vcc, v91, v23 src0_sel:WORD_0 src1_sel:DWORD
	s_nop 1
	v_cndmask_b32_e32 v90, v90, v91, vcc
	s_branch .LBB133_52
.LBB133_207:
	s_or_b64 exec, exec, s[46:47]
	v_readlane_b32 s24, v103, 10
	v_readlane_b32 s28, v103, 14
	;; [unrolled: 1-line block ×8, first 2 shown]
.LBB133_208:
	v_readlane_b32 s0, v103, 8
	v_readlane_b32 s1, v103, 9
	s_or_b64 exec, exec, s[0:1]
	v_mul_u32_u24_e32 v0, 0x408, v97
	s_movk_i32 s1, 0x100
	v_lshlrev_b32_e32 v1, 2, v96
	v_add3_u32 v0, s1, v0, v1
	v_and_b32_e32 v2, 0x3f0, v16
	v_add_u32_e32 v3, v0, v2
	s_waitcnt lgkmcnt(0)
	s_barrier
	ds_write2_b32 v3, a12, a13 offset0:16 offset1:17
	v_or_b32_e32 v3, 12, v16
	v_add_u32_e32 v1, 64, v0
	v_and_b32_e32 v3, 0x3fc, v3
	v_add_u32_e32 v2, v1, v2
	v_add_u32_e32 v0, v0, v3
	ds_write_b32 v2, a14 offset:8
	ds_write_b32 v0, a15 offset:64
	ds_write2_b32 v2, a8, a9 offset0:16 offset1:17
	ds_write_b32 v2, a10 offset:72
	v_add_u32_e32 v0, v1, v3
	ds_write_b32 v0, a11 offset:64
	ds_write2_b32 v2, a4, a5 offset0:32 offset1:33
	ds_write_b32 v2, a6 offset:136
	ds_write_b32 v0, a7 offset:128
	ds_write2_b32 v2, a0, a1 offset0:48 offset1:49
	ds_write_b32 v2, a2 offset:200
	ds_write_b32 v0, a3 offset:192
	v_mov_b32_e32 v0, 0x100
	s_movk_i32 s0, 0x408
	v_lshl_add_u32 v7, v16, 2, v0
	v_mad_u32_u24 v1, v17, s0, v7
	s_waitcnt lgkmcnt(0)
	s_barrier
	ds_read2_b32 v[4:5], v1 offset0:16 offset1:80
	ds_read2_b32 v[2:3], v1 offset0:144 offset1:208
	v_cmp_gt_u32_e32 vcc, 14, v17
	v_mov_b32_e32 v8, -1
	s_and_saveexec_b64 s[0:1], vcc
	s_cbranch_execz .LBB133_210
; %bb.209:
	v_lshl_add_u32 v0, v17, 2, v0
	ds_read_b32 v8, v0
.LBB133_210:
	s_or_b64 exec, exec, s[0:1]
	s_mul_hi_i32 s1, s30, s4
	s_mul_i32 s0, s30, s4
	s_lshl_b64 s[0:1], s[0:1], 2
	v_readlane_b32 s2, v103, 6
	v_mul_hi_i32 v1, v92, s49
	v_mul_lo_u32 v0, v92, s49
	v_readlane_b32 s3, v103, 7
	s_add_u32 s0, s2, s0
	s_addc_u32 s1, s3, s1
	v_lshlrev_b64 v[0:1], 2, v[0:1]
	s_waitcnt lgkmcnt(0)
	v_cmp_lt_i32_e32 vcc, -1, v8
	v_mul_u32_u24_e32 v9, 0x408, v17
	v_add_u32_e32 v6, s12, v16
	v_lshl_add_u64 v[0:1], s[0:1], 0, v[0:1]
	s_and_b64 s[2:3], vcc, s[24:25]
	s_and_saveexec_b64 s[0:1], s[2:3]
	s_cbranch_execz .LBB133_212
; %bb.211:
	v_add_f32_e32 v4, 0, v4
	v_add_f32_e32 v4, v4, v5
	;; [unrolled: 1-line block ×4, first 2 shown]
	v_mul_lo_u32 v2, v8, s54
	v_mul_lo_u32 v3, v17, s49
	v_add3_u32 v2, v6, v3, v2
	v_mov_b32_e32 v3, 0
	v_lshl_add_u64 v[2:3], v[2:3], 2, v[0:1]
	global_store_dword v[2:3], v4, off
.LBB133_212:
	s_or_b64 exec, exec, s[0:1]
	v_add_u32_e32 v7, v9, v7
	v_add_u32_e32 v2, 0x60, v7
	ds_read2st64_b32 v[4:5], v2 offset0:16 offset1:17
	ds_read2st64_b32 v[2:3], v2 offset0:18 offset1:19
	v_cmp_gt_u32_e32 vcc, 10, v17
	v_mov_b32_e32 v8, -1
	s_and_saveexec_b64 s[0:1], vcc
	s_cbranch_execz .LBB133_214
; %bb.213:
	v_mov_b32_e32 v8, 0x100
	v_lshl_add_u32 v8, v17, 2, v8
	ds_read_b32 v8, v8 offset:16
.LBB133_214:
	s_or_b64 exec, exec, s[0:1]
	v_readlane_b32 s0, v103, 0
	s_waitcnt lgkmcnt(0)
	v_cmp_lt_i32_e32 vcc, -1, v8
	v_readlane_b32 s1, v103, 1
	s_and_b64 s[2:3], vcc, s[0:1]
	s_and_saveexec_b64 s[0:1], s[2:3]
	s_cbranch_execz .LBB133_216
; %bb.215:
	v_add_f32_e32 v4, 0, v4
	v_add_f32_e32 v4, v4, v5
	;; [unrolled: 1-line block ×4, first 2 shown]
	v_mul_lo_u32 v2, v8, s54
	v_mul_lo_u32 v3, v93, s49
	v_add3_u32 v2, v6, v3, v2
	v_mov_b32_e32 v3, 0
	v_lshl_add_u64 v[2:3], v[2:3], 2, v[0:1]
	global_store_dword v[2:3], v4, off
.LBB133_216:
	s_or_b64 exec, exec, s[0:1]
	v_add_u32_e32 v2, 0x80, v7
	ds_read2st64_b32 v[4:5], v2 offset0:32 offset1:33
	ds_read2st64_b32 v[2:3], v2 offset0:34 offset1:35
	v_cmp_gt_u32_e32 vcc, 6, v17
	v_mov_b32_e32 v8, -1
	s_and_saveexec_b64 s[0:1], vcc
	s_cbranch_execz .LBB133_218
; %bb.217:
	v_mov_b32_e32 v8, 0x100
	v_lshl_add_u32 v8, v17, 2, v8
	ds_read_b32 v8, v8 offset:32
.LBB133_218:
	s_or_b64 exec, exec, s[0:1]
	v_readlane_b32 s0, v103, 2
	s_waitcnt lgkmcnt(0)
	v_cmp_lt_i32_e32 vcc, -1, v8
	v_readlane_b32 s1, v103, 3
	s_and_b64 s[2:3], vcc, s[0:1]
	s_and_saveexec_b64 s[0:1], s[2:3]
	s_cbranch_execz .LBB133_220
; %bb.219:
	v_add_f32_e32 v4, 0, v4
	v_add_f32_e32 v4, v4, v5
	;; [unrolled: 1-line block ×4, first 2 shown]
	v_mul_lo_u32 v2, v8, s54
	v_mul_lo_u32 v3, v94, s49
	v_add3_u32 v2, v6, v3, v2
	v_mov_b32_e32 v3, 0
	v_lshl_add_u64 v[2:3], v[2:3], 2, v[0:1]
	global_store_dword v[2:3], v4, off
.LBB133_220:
	s_or_b64 exec, exec, s[0:1]
	v_cmp_gt_u32_e32 vcc, 2, v17
	s_and_saveexec_b64 s[0:1], vcc
	s_cbranch_execz .LBB133_223
; %bb.221:
	v_mov_b32_e32 v2, 0x100
	v_lshl_add_u32 v2, v17, 2, v2
	ds_read_b32 v2, v2 offset:48
	v_readlane_b32 s0, v103, 4
	v_readlane_b32 s1, v103, 5
	s_waitcnt lgkmcnt(0)
	v_cmp_lt_i32_e32 vcc, -1, v2
	s_and_b64 s[0:1], vcc, s[0:1]
	s_and_b64 exec, exec, s[0:1]
	s_cbranch_execz .LBB133_223
; %bb.222:
	v_add_u32_e32 v3, 0xa0, v7
	ds_read2st64_b32 v[4:5], v3 offset0:48 offset1:49
	v_mul_lo_u32 v7, v2, s54
	ds_read2st64_b32 v[2:3], v3 offset0:50 offset1:51
	v_mul_lo_u32 v8, v95, s49
	v_add3_u32 v6, v6, v8, v7
	s_waitcnt lgkmcnt(1)
	v_add_f32_e32 v4, 0, v4
	v_add_f32_e32 v4, v4, v5
	s_waitcnt lgkmcnt(0)
	v_add_f32_e32 v2, v4, v2
	v_mov_b32_e32 v7, 0
	v_add_f32_e32 v2, v2, v3
	v_lshl_add_u64 v[0:1], v[6:7], 2, v[0:1]
	global_store_dword v[0:1], v2, off
.LBB133_223:
	s_endpgm
	.section	.rodata,"a",@progbits
	.p2align	6, 0x0
	.amdhsa_kernel _ZL9mul_mat_fI15__hip_bfloat162Li64ELi14ELi4ELb1EEvPKT_PKfPKiPfiiiiiiiiiiiiiiii
		.amdhsa_group_segment_fixed_size 256
		.amdhsa_private_segment_fixed_size 0
		.amdhsa_kernarg_size 352
		.amdhsa_user_sgpr_count 2
		.amdhsa_user_sgpr_dispatch_ptr 0
		.amdhsa_user_sgpr_queue_ptr 0
		.amdhsa_user_sgpr_kernarg_segment_ptr 1
		.amdhsa_user_sgpr_dispatch_id 0
		.amdhsa_user_sgpr_kernarg_preload_length 0
		.amdhsa_user_sgpr_kernarg_preload_offset 0
		.amdhsa_user_sgpr_private_segment_size 0
		.amdhsa_uses_dynamic_stack 0
		.amdhsa_enable_private_segment 0
		.amdhsa_system_sgpr_workgroup_id_x 1
		.amdhsa_system_sgpr_workgroup_id_y 1
		.amdhsa_system_sgpr_workgroup_id_z 1
		.amdhsa_system_sgpr_workgroup_info 0
		.amdhsa_system_vgpr_workitem_id 2
		.amdhsa_next_free_vgpr 132
		.amdhsa_next_free_sgpr 100
		.amdhsa_accum_offset 108
		.amdhsa_reserve_vcc 1
		.amdhsa_float_round_mode_32 0
		.amdhsa_float_round_mode_16_64 0
		.amdhsa_float_denorm_mode_32 3
		.amdhsa_float_denorm_mode_16_64 3
		.amdhsa_dx10_clamp 1
		.amdhsa_ieee_mode 1
		.amdhsa_fp16_overflow 0
		.amdhsa_tg_split 0
		.amdhsa_exception_fp_ieee_invalid_op 0
		.amdhsa_exception_fp_denorm_src 0
		.amdhsa_exception_fp_ieee_div_zero 0
		.amdhsa_exception_fp_ieee_overflow 0
		.amdhsa_exception_fp_ieee_underflow 0
		.amdhsa_exception_fp_ieee_inexact 0
		.amdhsa_exception_int_div_zero 0
	.end_amdhsa_kernel
	.section	.text._ZL9mul_mat_fI15__hip_bfloat162Li64ELi14ELi4ELb1EEvPKT_PKfPKiPfiiiiiiiiiiiiiiii,"axG",@progbits,_ZL9mul_mat_fI15__hip_bfloat162Li64ELi14ELi4ELb1EEvPKT_PKfPKiPfiiiiiiiiiiiiiiii,comdat
.Lfunc_end133:
	.size	_ZL9mul_mat_fI15__hip_bfloat162Li64ELi14ELi4ELb1EEvPKT_PKfPKiPfiiiiiiiiiiiiiiii, .Lfunc_end133-_ZL9mul_mat_fI15__hip_bfloat162Li64ELi14ELi4ELb1EEvPKT_PKfPKiPfiiiiiiiiiiiiiiii
                                        ; -- End function
	.section	.AMDGPU.csdata,"",@progbits
; Kernel info:
; codeLenInByte = 11028
; NumSgprs: 106
; NumVgprs: 108
; NumAgprs: 24
; TotalNumVgprs: 132
; ScratchSize: 0
; MemoryBound: 0
; FloatMode: 240
; IeeeMode: 1
; LDSByteSize: 256 bytes/workgroup (compile time only)
; SGPRBlocks: 13
; VGPRBlocks: 16
; NumSGPRsForWavesPerEU: 106
; NumVGPRsForWavesPerEU: 132
; AccumOffset: 108
; Occupancy: 3
; WaveLimiterHint : 0
; COMPUTE_PGM_RSRC2:SCRATCH_EN: 0
; COMPUTE_PGM_RSRC2:USER_SGPR: 2
; COMPUTE_PGM_RSRC2:TRAP_HANDLER: 0
; COMPUTE_PGM_RSRC2:TGID_X_EN: 1
; COMPUTE_PGM_RSRC2:TGID_Y_EN: 1
; COMPUTE_PGM_RSRC2:TGID_Z_EN: 1
; COMPUTE_PGM_RSRC2:TIDIG_COMP_CNT: 2
; COMPUTE_PGM_RSRC3_GFX90A:ACCUM_OFFSET: 26
; COMPUTE_PGM_RSRC3_GFX90A:TG_SPLIT: 0
	.section	.text._ZL9mul_mat_fI15__hip_bfloat162Li64ELi14ELi4ELb0EEvPKT_PKfPKiPfiiiiiiiiiiiiiiii,"axG",@progbits,_ZL9mul_mat_fI15__hip_bfloat162Li64ELi14ELi4ELb0EEvPKT_PKfPKiPfiiiiiiiiiiiiiiii,comdat
	.globl	_ZL9mul_mat_fI15__hip_bfloat162Li64ELi14ELi4ELb0EEvPKT_PKfPKiPfiiiiiiiiiiiiiiii ; -- Begin function _ZL9mul_mat_fI15__hip_bfloat162Li64ELi14ELi4ELb0EEvPKT_PKfPKiPfiiiiiiiiiiiiiiii
	.p2align	8
	.type	_ZL9mul_mat_fI15__hip_bfloat162Li64ELi14ELi4ELb0EEvPKT_PKfPKiPfiiiiiiiiiiiiiiii,@function
_ZL9mul_mat_fI15__hip_bfloat162Li64ELi14ELi4ELb0EEvPKT_PKfPKiPfiiiiiiiiiiiiiiii: ; @_ZL9mul_mat_fI15__hip_bfloat162Li64ELi14ELi4ELb0EEvPKT_PKfPKiPfiiiiiiiiiiiiiiii
; %bb.0:
	s_load_dword s5, s[0:1], 0x20
	s_load_dwordx4 s[16:19], s[0:1], 0x2c
	v_bfe_u32 v90, v0, 10, 10
	v_lshlrev_b32_e32 v92, 6, v90
	v_and_b32_e32 v91, 0x3ff, v0
	v_add_u32_e32 v94, v92, v91
	s_mov_b32 s20, 0
	s_waitcnt lgkmcnt(0)
	s_ashr_i32 s19, s4, 31
	v_cmp_le_i32_e32 vcc, s5, v94
	v_and_b32_e32 v93, 15, v91
	s_and_saveexec_b64 s[6:7], vcc
	s_xor_b64 s[6:7], exec, s[6:7]
; %bb.1:
	v_and_b32_e32 v93, 15, v91
                                        ; implicit-def: $vgpr94
; %bb.2:
	s_or_saveexec_b64 s[24:25], s[6:7]
	s_load_dwordx8 s[8:15], s[0:1], 0x40
	s_load_dwordx2 s[6:7], s[0:1], 0x18
	s_lshl_b32 s27, s2, 6
	v_accvgpr_write_b32 a0, s20
	v_accvgpr_write_b32 a1, s20
	;; [unrolled: 1-line block ×16, first 2 shown]
	s_xor_b64 exec, exec, s[24:25]
	s_cbranch_execz .LBB134_118
; %bb.3:
	s_waitcnt lgkmcnt(0)
	s_abs_i32 s2, s8
	v_cvt_f32_u32_e32 v0, s2
                                        ; implicit-def: $vgpr102 : SGPR spill to VGPR lane
	s_abs_i32 s26, s4
	v_writelane_b32 v102, s6, 0
	v_lshrrev_b32_e32 v7, 1, v91
	v_rcp_iflag_f32_e32 v0, v0
	v_writelane_b32 v102, s7, 1
	s_abs_i32 s6, s12
	v_cvt_f32_u32_e32 v1, s6
	v_mul_f32_e32 v0, 0x4f7ffffe, v0
	v_cvt_u32_f32_e32 v0, v0
	s_sub_i32 s7, 0, s2
	v_rcp_iflag_f32_e32 v1, v1
	s_sub_i32 s20, 0, s6
	v_mul_lo_u32 v2, s7, v0
	v_mul_hi_u32 v2, v0, v2
	v_mul_f32_e32 v1, 0x4f7ffffe, v1
	v_cvt_u32_f32_e32 v1, v1
	s_abs_i32 s7, s3
	v_add_u32_e32 v0, v0, v2
	v_mul_hi_u32 v0, s7, v0
	v_mul_lo_u32 v3, s20, v1
	v_mul_lo_u32 v2, v0, s2
	v_mul_hi_u32 v3, v1, v3
	v_sub_u32_e32 v2, s7, v2
	v_add_u32_e32 v1, v1, v3
	v_add_u32_e32 v3, 1, v0
	v_subrev_u32_e32 v4, s2, v2
	v_cmp_le_u32_e32 vcc, s2, v2
	s_load_dwordx4 s[20:23], s[0:1], 0x0
	s_ashr_i32 s0, s3, 31
	v_cndmask_b32_e32 v0, v0, v3, vcc
	v_cndmask_b32_e32 v2, v2, v4, vcc
	s_ashr_i32 s1, s8, 31
	v_add_u32_e32 v3, 1, v0
	v_cmp_le_u32_e32 vcc, s2, v2
	s_xor_b32 s0, s0, s1
	v_mul_hi_u32 v1, s26, v1
	v_cndmask_b32_e32 v0, v0, v3, vcc
	v_xor_b32_e32 v0, s0, v0
	v_subrev_u32_e32 v2, s0, v0
	v_mul_lo_u32 v0, v1, s6
	v_sub_u32_e32 v0, s26, v0
	v_add_u32_e32 v3, 1, v1
	v_subrev_u32_e32 v4, s6, v0
	v_cmp_le_u32_e32 vcc, s6, v0
	s_ashr_i32 s8, s12, 31
	s_xor_b32 s0, s19, s8
	v_cndmask_b32_e32 v1, v1, v3, vcc
	v_cndmask_b32_e32 v0, v0, v4, vcc
	v_add_u32_e32 v3, 1, v1
	v_cmp_le_u32_e32 vcc, s6, v0
	v_mul_lo_u32 v2, v2, s9
	s_mul_i32 s8, s3, s10
	v_cndmask_b32_e32 v0, v1, v3, vcc
	v_xor_b32_e32 v0, s0, v0
	v_subrev_u32_e32 v0, s0, v0
	s_mul_i32 s0, s27, s16
	v_mul_hi_i32 v1, v0, s13
	v_mul_lo_u32 v0, v0, s13
	v_ashrrev_i32_e32 v3, 31, v2
	s_ashr_i32 s1, s0, 31
	v_lshlrev_b64 v[0:1], 2, v[0:1]
	s_lshl_b64 s[0:1], s[0:1], 2
	v_lshlrev_b64 v[2:3], 2, v[2:3]
	s_waitcnt lgkmcnt(0)
	v_lshl_add_u64 v[4:5], s[20:21], 0, v[0:1]
	s_mul_hi_i32 s7, s14, s4
	s_mul_i32 s6, s14, s4
	v_lshl_add_u64 v[2:3], v[2:3], 0, s[0:1]
	s_ashr_i32 s9, s8, 31
	s_movk_i32 s2, 0x1080
	v_lshl_add_u64 v[16:17], v[2:3], 0, v[4:5]
	s_lshl_b64 s[6:7], s[6:7], 2
	s_lshl_b64 s[0:1], s[8:9], 2
	v_mad_u32_u24 v5, v90, s2, 0
	v_lshlrev_b32_e32 v4, 2, v91
	v_mul_u32_u24_e32 v6, 0x108, v93
	v_and_b32_e32 v7, 0x1f8, v7
	v_lshlrev_b32_e32 v18, 8, v90
	v_mov_b32_e32 v19, 0
	v_lshl_add_u64 v[0:1], v[2:3], 0, v[0:1]
	s_add_u32 s22, s22, s0
	v_add_u32_e32 v95, v5, v4
	v_add3_u32 v96, v5, v6, v7
	v_lshl_add_u64 v[0:1], v[0:1], 0, v[18:19]
	v_mov_b32_e32 v5, v19
	s_addc_u32 s23, s23, s1
	v_lshl_add_u64 v[0:1], v[0:1], 0, v[4:5]
	v_lshlrev_b32_e32 v18, 9, v90
	s_add_u32 s0, s22, s6
	v_lshl_add_u64 v[20:21], s[20:21], 0, v[0:1]
	v_lshl_add_u64 v[0:1], s[6:7], 0, v[18:19]
	v_lshlrev_b32_e32 v18, 3, v91
	s_addc_u32 s1, s23, s7
	s_ashr_i32 s9, s16, 31
	s_mov_b32 s8, s16
	s_ashr_i32 s13, s17, 31
	s_mov_b32 s12, s17
	v_lshl_add_u64 v[0:1], v[0:1], 0, v[18:19]
	s_lshl_b64 s[8:9], s[8:9], 2
	s_lshl_b64 s[12:13], s[12:13], 3
	v_lshl_add_u64 v[22:23], s[22:23], 0, v[0:1]
	s_mul_i32 s10, s16, 63
	s_lshl_b32 s14, s17, 1
	s_mul_i32 s19, s17, 3
	s_lshl_b32 s28, s17, 2
	s_mul_i32 s29, s17, 5
	s_mul_i32 s30, s17, 6
	;; [unrolled: 1-line block ×3, first 2 shown]
	s_lshl_b32 s33, s17, 3
	s_mul_i32 s34, s17, 9
	s_mul_i32 s35, s17, 10
	;; [unrolled: 1-line block ×5, first 2 shown]
	s_lshl_b32 s39, s16, 1
	s_mul_i32 s40, s16, 3
	s_lshl_b32 s41, s16, 2
	s_mul_i32 s42, s16, 5
	s_mul_i32 s43, s16, 6
	;; [unrolled: 1-line block ×3, first 2 shown]
	s_lshl_b32 s45, s16, 3
	s_mul_i32 s46, s16, 9
	s_mul_i32 s47, s16, 10
	;; [unrolled: 1-line block ×7, first 2 shown]
	s_lshl_b32 s53, s16, 4
	s_mul_i32 s54, s16, 17
	s_mul_i32 s55, s16, 18
	;; [unrolled: 1-line block ×15, first 2 shown]
	s_lshl_b32 s69, s16, 5
	s_mul_i32 s70, s16, 33
	s_mul_i32 s71, s16, 34
	;; [unrolled: 1-line block ×11, first 2 shown]
	v_accvgpr_write_b32 a15, 0
	v_accvgpr_write_b32 a14, 0
	;; [unrolled: 1-line block ×16, first 2 shown]
	s_mul_i32 s81, s16, 44
	s_mul_i32 s82, s16, 45
	;; [unrolled: 1-line block ×19, first 2 shown]
	s_mov_b32 s6, 0x7f800000
	s_movk_i32 s7, 0x7fff
	s_mov_b32 s2, 0x7060302
	s_mov_b64 s[16:17], 0
	s_mov_b64 s[20:21], 0x400
	;; [unrolled: 1-line block ×3, first 2 shown]
	v_writelane_b32 v102, s27, 2
	s_branch .LBB134_5
.LBB134_4:                              ;   in Loop: Header=BB134_5 Depth=1
	s_or_b64 exec, exec, s[26:27]
	v_perm_b32 v18, v97, v18, s2
	v_add_u32_e32 v88, 0xc00, v95
	ds_write2_b32 v88, v18, v19 offset0:90 offset1:156
	ds_write_b32 v95, v19 offset:3960
	ds_read2_b64 v[98:101], v96 offset1:4
	v_accvgpr_write_b32 a0, v0
	v_accvgpr_write_b32 a4, v4
	;; [unrolled: 1-line block ×16, first 2 shown]
	s_waitcnt lgkmcnt(0)
	v_mfma_f32_16x16x16_bf16 a[0:3], v[42:43], v[98:99], a[0:3]
	ds_read2_b64 v[0:3], v96 offset0:8 offset1:12
	v_add_u32_e32 v94, 0x100, v94
	v_cmp_le_i32_e32 vcc, s5, v94
	v_mfma_f32_16x16x16_bf16 a[4:7], v[56:57], v[98:99], a[4:7]
	v_lshl_add_u64 v[20:21], v[20:21], 0, s[20:21]
	v_lshl_add_u64 v[22:23], v[22:23], 0, s[22:23]
	s_or_b64 s[16:17], vcc, s[16:17]
	v_mfma_f32_16x16x16_bf16 a[8:11], v[72:73], v[98:99], a[8:11]
	v_mfma_f32_16x16x16_bf16 a[12:15], v[86:87], v[98:99], a[12:15]
	;; [unrolled: 1-line block ×6, first 2 shown]
	s_waitcnt lgkmcnt(0)
	v_mfma_f32_16x16x16_bf16 a[0:3], v[34:35], v[0:1], a[0:3]
	v_mfma_f32_16x16x16_bf16 a[4:7], v[50:51], v[0:1], a[4:7]
	v_mfma_f32_16x16x16_bf16 a[8:11], v[68:69], v[0:1], a[8:11]
	v_mfma_f32_16x16x16_bf16 a[12:15], v[82:83], v[0:1], a[12:15]
	v_mfma_f32_16x16x16_bf16 a[0:3], v[32:33], v[2:3], a[0:3]
	v_mfma_f32_16x16x16_bf16 a[4:7], v[48:49], v[2:3], a[4:7]
	v_mfma_f32_16x16x16_bf16 a[8:11], v[64:65], v[2:3], a[8:11]
	v_mfma_f32_16x16x16_bf16 a[12:15], v[80:81], v[2:3], a[12:15]
	ds_read2_b64 v[0:3], v96 offset0:16 offset1:20
	s_waitcnt lgkmcnt(0)
	v_mfma_f32_16x16x16_bf16 a[0:3], v[30:31], v[0:1], a[0:3]
	v_mfma_f32_16x16x16_bf16 a[4:7], v[46:47], v[0:1], a[4:7]
	;; [unrolled: 1-line block ×8, first 2 shown]
	ds_read2_b64 v[0:3], v96 offset0:24 offset1:28
	s_waitcnt lgkmcnt(0)
	v_mfma_f32_16x16x16_bf16 a[0:3], v[26:27], v[0:1], a[0:3]
	v_mfma_f32_16x16x16_bf16 a[4:7], v[40:41], v[0:1], a[4:7]
	v_mfma_f32_16x16x16_bf16 a[16:19], v[58:59], v[0:1], a[8:11]
	v_mfma_f32_16x16x16_bf16 a[20:23], v[74:75], v[0:1], a[12:15]
	v_mfma_f32_16x16x16_bf16 a[12:15], v[24:25], v[2:3], a[0:3]
	v_mfma_f32_16x16x16_bf16 a[8:11], v[38:39], v[2:3], a[4:7]
	v_mfma_f32_16x16x16_bf16 a[4:7], v[52:53], v[2:3], a[16:19]
	v_mfma_f32_16x16x16_bf16 a[0:3], v[66:67], v[2:3], a[20:23]
	s_andn2_b64 exec, exec, s[16:17]
	s_cbranch_execz .LBB134_117
.LBB134_5:                              ; =>This Inner Loop Header: Depth=1
	v_lshl_add_u64 v[0:1], v[20:21], 0, s[8:9]
	global_load_dword v18, v[20:21], off
	global_load_dword v40, v[0:1], off
	v_add_u32_e32 v0, s39, v94
	v_ashrrev_i32_e32 v1, 31, v0
	v_add_u32_e32 v2, s40, v94
	v_add_u32_e32 v4, s41, v94
	;; [unrolled: 1-line block ×6, first 2 shown]
	v_lshl_add_u64 v[0:1], v[0:1], 2, v[16:17]
	v_ashrrev_i32_e32 v3, 31, v2
	v_ashrrev_i32_e32 v5, 31, v4
	;; [unrolled: 1-line block ×6, first 2 shown]
	v_lshl_add_u64 v[2:3], v[2:3], 2, v[16:17]
	v_lshl_add_u64 v[4:5], v[4:5], 2, v[16:17]
	;; [unrolled: 1-line block ×6, first 2 shown]
	global_load_dword v41, v[0:1], off
	global_load_dword v42, v[2:3], off
	;; [unrolled: 1-line block ×7, first 2 shown]
	v_add_u32_e32 v12, s46, v94
	v_ashrrev_i32_e32 v13, 31, v12
	v_add_u32_e32 v24, s47, v94
	v_add_u32_e32 v38, s54, v94
	v_lshl_add_u64 v[12:13], v[12:13], 2, v[16:17]
	v_add_u32_e32 v26, s48, v94
	v_add_u32_e32 v28, s49, v94
	;; [unrolled: 1-line block ×6, first 2 shown]
	v_ashrrev_i32_e32 v25, 31, v24
	v_ashrrev_i32_e32 v39, 31, v38
	global_load_dword v48, v[12:13], off
	v_ashrrev_i32_e32 v27, 31, v26
	v_ashrrev_i32_e32 v29, 31, v28
	v_ashrrev_i32_e32 v31, 31, v30
	v_ashrrev_i32_e32 v33, 31, v32
	v_ashrrev_i32_e32 v35, 31, v34
	v_ashrrev_i32_e32 v37, 31, v36
	v_lshl_add_u64 v[24:25], v[24:25], 2, v[16:17]
	v_lshl_add_u64 v[38:39], v[38:39], 2, v[16:17]
	;; [unrolled: 1-line block ×8, first 2 shown]
	v_add_u32_e32 v12, s55, v94
	v_ashrrev_i32_e32 v13, 31, v12
	v_lshl_add_u64 v[12:13], v[12:13], 2, v[16:17]
	v_accvgpr_read_b32 v3, a15
	v_accvgpr_read_b32 v2, a14
	;; [unrolled: 1-line block ×14, first 2 shown]
	s_waitcnt vmcnt(9)
	ds_write_b32 v95, v18
	s_waitcnt vmcnt(8)
	ds_write_b32 v95, v40 offset:264
	s_waitcnt vmcnt(7)
	ds_write_b32 v95, v41 offset:528
	;; [unrolled: 2-line block ×8, first 2 shown]
	global_load_dword v18, v[24:25], off
	global_load_dword v40, v[26:27], off
	global_load_dword v41, v[28:29], off
	global_load_dword v42, v[30:31], off
	global_load_dword v43, v[32:33], off
	global_load_dword v44, v[34:35], off
	global_load_dword v45, v[36:37], off
	s_nop 0
	global_load_dword v38, v[38:39], off
	v_add_u32_e32 v24, s56, v94
	v_add_u32_e32 v26, s57, v94
	;; [unrolled: 1-line block ×7, first 2 shown]
	v_ashrrev_i32_e32 v25, 31, v24
	v_ashrrev_i32_e32 v27, 31, v26
	v_ashrrev_i32_e32 v29, 31, v28
	v_ashrrev_i32_e32 v31, 31, v30
	v_ashrrev_i32_e32 v33, 31, v32
	v_ashrrev_i32_e32 v35, 31, v34
	v_ashrrev_i32_e32 v37, 31, v36
	v_lshl_add_u64 v[24:25], v[24:25], 2, v[16:17]
	v_lshl_add_u64 v[26:27], v[26:27], 2, v[16:17]
	v_lshl_add_u64 v[28:29], v[28:29], 2, v[16:17]
	v_lshl_add_u64 v[30:31], v[30:31], 2, v[16:17]
	v_lshl_add_u64 v[32:33], v[32:33], 2, v[16:17]
	v_lshl_add_u64 v[34:35], v[34:35], 2, v[16:17]
	v_lshl_add_u64 v[36:37], v[36:37], 2, v[16:17]
	global_load_dword v39, v[12:13], off
	global_load_dword v46, v[24:25], off
	global_load_dword v47, v[26:27], off
	global_load_dword v49, v[28:29], off
	global_load_dword v50, v[30:31], off
	global_load_dword v51, v[32:33], off
	global_load_dword v52, v[34:35], off
	global_load_dword v53, v[36:37], off
	v_add_u32_e32 v12, s63, v94
	v_ashrrev_i32_e32 v13, 31, v12
	v_add_u32_e32 v24, s64, v94
	v_add_u32_e32 v26, s65, v94
	v_add_u32_e32 v28, s66, v94
	v_add_u32_e32 v30, s67, v94
	v_add_u32_e32 v32, s68, v94
	v_add_u32_e32 v34, s69, v94
	v_add_u32_e32 v36, s70, v94
	v_lshl_add_u64 v[12:13], v[12:13], 2, v[16:17]
	v_ashrrev_i32_e32 v25, 31, v24
	v_ashrrev_i32_e32 v27, 31, v26
	v_ashrrev_i32_e32 v29, 31, v28
	v_ashrrev_i32_e32 v31, 31, v30
	v_ashrrev_i32_e32 v33, 31, v32
	v_ashrrev_i32_e32 v35, 31, v34
	v_ashrrev_i32_e32 v37, 31, v36
	v_lshl_add_u64 v[24:25], v[24:25], 2, v[16:17]
	v_lshl_add_u64 v[26:27], v[26:27], 2, v[16:17]
	v_lshl_add_u64 v[28:29], v[28:29], 2, v[16:17]
	v_lshl_add_u64 v[30:31], v[30:31], 2, v[16:17]
	v_lshl_add_u64 v[32:33], v[32:33], 2, v[16:17]
	v_lshl_add_u64 v[34:35], v[34:35], 2, v[16:17]
	v_lshl_add_u64 v[36:37], v[36:37], 2, v[16:17]
	global_load_dword v54, v[12:13], off
	global_load_dword v55, v[24:25], off
	global_load_dword v56, v[26:27], off
	global_load_dword v57, v[28:29], off
	global_load_dword v58, v[30:31], off
	global_load_dword v59, v[32:33], off
	global_load_dword v60, v[34:35], off
	global_load_dword v61, v[36:37], off
	v_add_u32_e32 v12, s71, v94
	v_ashrrev_i32_e32 v13, 31, v12
	v_add_u32_e32 v24, s72, v94
	v_add_u32_e32 v26, s73, v94
	v_add_u32_e32 v28, s74, v94
	v_add_u32_e32 v30, s75, v94
	v_add_u32_e32 v32, s76, v94
	v_add_u32_e32 v34, s77, v94
	v_add_u32_e32 v36, s78, v94
	v_lshl_add_u64 v[12:13], v[12:13], 2, v[16:17]
	;; [unrolled: 32-line block ×4, first 2 shown]
	v_ashrrev_i32_e32 v25, 31, v24
	v_ashrrev_i32_e32 v27, 31, v26
	;; [unrolled: 1-line block ×7, first 2 shown]
	v_lshl_add_u64 v[24:25], v[24:25], 2, v[16:17]
	v_lshl_add_u64 v[26:27], v[26:27], 2, v[16:17]
	;; [unrolled: 1-line block ×7, first 2 shown]
	global_load_dword v78, v[12:13], off
	global_load_dword v79, v[24:25], off
	global_load_dword v80, v[26:27], off
	global_load_dword v81, v[28:29], off
	global_load_dword v82, v[30:31], off
	global_load_dword v83, v[32:33], off
	global_load_dword v84, v[34:35], off
	global_load_dword v85, v[36:37], off
	v_add_u32_e32 v12, s95, v94
	v_ashrrev_i32_e32 v13, 31, v12
	v_add_u32_e32 v24, s96, v94
	v_add_u32_e32 v26, s97, v94
	;; [unrolled: 1-line block ×5, first 2 shown]
	v_lshl_add_u64 v[12:13], v[12:13], 2, v[16:17]
	v_ashrrev_i32_e32 v25, 31, v24
	v_ashrrev_i32_e32 v27, 31, v26
	;; [unrolled: 1-line block ×5, first 2 shown]
	v_lshl_add_u64 v[24:25], v[24:25], 2, v[16:17]
	v_lshl_add_u64 v[26:27], v[26:27], 2, v[16:17]
	;; [unrolled: 1-line block ×5, first 2 shown]
	global_load_dword v12, v[12:13], off
	s_nop 0
	global_load_dword v13, v[24:25], off
	global_load_dword v86, v[26:27], off
	;; [unrolled: 1-line block ×5, first 2 shown]
	s_waitcnt vmcnt(54)
	ds_write_b32 v95, v48 offset:2376
	s_waitcnt vmcnt(53)
	ds_write_b32 v95, v18 offset:2640
	;; [unrolled: 2-line block ×7, first 2 shown]
	global_load_dwordx2 v[88:89], v[22:23], off
	ds_read_b64 v[42:43], v96
	ds_read_b64 v[36:37], v96 offset:32
	ds_read_b64 v[34:35], v96 offset:64
	ds_read_b64 v[32:33], v96 offset:96
	ds_read_b64 v[30:31], v96 offset:128
	ds_read_b64 v[28:29], v96 offset:160
	ds_read_b64 v[26:27], v96 offset:192
	ds_read_b64 v[24:25], v96 offset:224
	s_waitcnt vmcnt(48)
	ds_write_b32 v95, v45
	s_waitcnt vmcnt(47)
	ds_write_b32 v95, v38 offset:264
	s_waitcnt vmcnt(46)
	ds_write_b32 v95, v39 offset:528
	s_waitcnt vmcnt(45)
	ds_write_b32 v95, v46 offset:792
	s_waitcnt vmcnt(44)
	ds_write_b32 v95, v47 offset:1056
	s_waitcnt vmcnt(43)
	ds_write_b32 v95, v49 offset:1320
	s_waitcnt vmcnt(42)
	ds_write_b32 v95, v50 offset:1584
	s_waitcnt vmcnt(41)
	ds_write_b32 v95, v51 offset:1848
	s_waitcnt vmcnt(40)
	ds_write_b32 v95, v52 offset:2112
	s_waitcnt vmcnt(39)
	ds_write_b32 v95, v53 offset:2376
	s_waitcnt vmcnt(38)
	ds_write_b32 v95, v54 offset:2640
	s_waitcnt vmcnt(37)
	ds_write_b32 v95, v55 offset:2904
	s_waitcnt vmcnt(36)
	ds_write_b32 v95, v56 offset:3168
	s_waitcnt vmcnt(35)
	ds_write_b32 v95, v57 offset:3432
	s_waitcnt vmcnt(34)
	ds_write_b32 v95, v58 offset:3696
	s_waitcnt vmcnt(33)
	ds_write_b32 v95, v59 offset:3960
	ds_read_b64 v[56:57], v96
	ds_read_b64 v[54:55], v96 offset:32
	ds_read_b64 v[50:51], v96 offset:64
	ds_read_b64 v[48:49], v96 offset:96
	ds_read_b64 v[46:47], v96 offset:128
	ds_read_b64 v[44:45], v96 offset:160
	ds_read_b64 v[40:41], v96 offset:192
	ds_read_b64 v[38:39], v96 offset:224
	s_waitcnt vmcnt(32)
	ds_write_b32 v95, v60
	s_waitcnt vmcnt(31)
	ds_write_b32 v95, v61 offset:264
	s_waitcnt vmcnt(30)
	ds_write_b32 v95, v62 offset:528
	s_waitcnt vmcnt(29)
	ds_write_b32 v95, v63 offset:792
	s_waitcnt vmcnt(28)
	ds_write_b32 v95, v64 offset:1056
	s_waitcnt vmcnt(27)
	ds_write_b32 v95, v65 offset:1320
	s_waitcnt vmcnt(26)
	ds_write_b32 v95, v66 offset:1584
	s_waitcnt vmcnt(25)
	ds_write_b32 v95, v67 offset:1848
	s_waitcnt vmcnt(24)
	ds_write_b32 v95, v68 offset:2112
	s_waitcnt vmcnt(23)
	ds_write_b32 v95, v69 offset:2376
	s_waitcnt vmcnt(22)
	ds_write_b32 v95, v70 offset:2640
	s_waitcnt vmcnt(21)
	ds_write_b32 v95, v71 offset:2904
	s_waitcnt vmcnt(20)
	ds_write_b32 v95, v72 offset:3168
	s_waitcnt vmcnt(19)
	ds_write_b32 v95, v73 offset:3432
	s_waitcnt vmcnt(18)
	ds_write_b32 v95, v74 offset:3696
	s_waitcnt vmcnt(17)
	ds_write_b32 v95, v75 offset:3960
	;; [unrolled: 40-line block ×3, first 2 shown]
	ds_read_b64 v[86:87], v96
	ds_read_b64 v[84:85], v96 offset:32
	ds_read_b64 v[82:83], v96 offset:64
	;; [unrolled: 1-line block ×7, first 2 shown]
	s_waitcnt vmcnt(0)
	v_and_b32_e32 v18, 0x7f800000, v88
	v_accvgpr_read_b32 v13, a1
	v_accvgpr_read_b32 v12, a0
	v_cmp_ne_u32_e32 vcc, s6, v18
                                        ; implicit-def: $vgpr18
	s_and_saveexec_b64 s[26:27], vcc
	s_xor_b64 s[26:27], exec, s[26:27]
; %bb.6:                                ;   in Loop: Header=BB134_5 Depth=1
	v_bfe_u32 v18, v88, 16, 1
	v_add3_u32 v18, v88, v18, s7
; %bb.7:                                ;   in Loop: Header=BB134_5 Depth=1
	s_andn2_saveexec_b64 s[26:27], s[26:27]
; %bb.8:                                ;   in Loop: Header=BB134_5 Depth=1
	v_or_b32_e32 v18, 0x10000, v88
	v_cmp_eq_u32_sdwa vcc, v88, v19 src0_sel:WORD_0 src1_sel:DWORD
	s_nop 1
	v_cndmask_b32_e32 v18, v18, v88, vcc
; %bb.9:                                ;   in Loop: Header=BB134_5 Depth=1
	s_or_b64 exec, exec, s[26:27]
	v_and_b32_e32 v88, 0x7f800000, v89
	v_cmp_ne_u32_e32 vcc, s6, v88
                                        ; implicit-def: $vgpr97
	s_and_saveexec_b64 s[26:27], vcc
	s_xor_b64 s[26:27], exec, s[26:27]
; %bb.10:                               ;   in Loop: Header=BB134_5 Depth=1
	v_bfe_u32 v88, v89, 16, 1
	v_add3_u32 v97, v89, v88, s7
                                        ; implicit-def: $vgpr88_vgpr89
; %bb.11:                               ;   in Loop: Header=BB134_5 Depth=1
	s_andn2_saveexec_b64 s[26:27], s[26:27]
; %bb.12:                               ;   in Loop: Header=BB134_5 Depth=1
	v_or_b32_e32 v88, 0x10000, v89
	v_cmp_eq_u32_sdwa vcc, v89, v19 src0_sel:WORD_0 src1_sel:DWORD
	s_nop 1
	v_cndmask_b32_e32 v97, v88, v89, vcc
; %bb.13:                               ;   in Loop: Header=BB134_5 Depth=1
	s_or_b64 exec, exec, s[26:27]
	v_lshl_add_u64 v[88:89], v[22:23], 0, s[12:13]
	global_load_dwordx2 v[88:89], v[88:89], off
	v_perm_b32 v18, v97, v18, s2
	ds_write_b32 v95, v18
	s_waitcnt vmcnt(0)
	v_and_b32_e32 v18, 0x7f800000, v88
	v_cmp_ne_u32_e32 vcc, s6, v18
                                        ; implicit-def: $vgpr18
	s_and_saveexec_b64 s[26:27], vcc
	s_xor_b64 s[26:27], exec, s[26:27]
; %bb.14:                               ;   in Loop: Header=BB134_5 Depth=1
	v_bfe_u32 v18, v88, 16, 1
	v_add3_u32 v18, v88, v18, s7
; %bb.15:                               ;   in Loop: Header=BB134_5 Depth=1
	s_andn2_saveexec_b64 s[26:27], s[26:27]
; %bb.16:                               ;   in Loop: Header=BB134_5 Depth=1
	v_or_b32_e32 v18, 0x10000, v88
	v_cmp_eq_u32_sdwa vcc, v88, v19 src0_sel:WORD_0 src1_sel:DWORD
	s_nop 1
	v_cndmask_b32_e32 v18, v18, v88, vcc
; %bb.17:                               ;   in Loop: Header=BB134_5 Depth=1
	s_or_b64 exec, exec, s[26:27]
	v_and_b32_e32 v88, 0x7f800000, v89
	v_cmp_ne_u32_e32 vcc, s6, v88
                                        ; implicit-def: $vgpr97
	s_and_saveexec_b64 s[26:27], vcc
	s_xor_b64 s[26:27], exec, s[26:27]
; %bb.18:                               ;   in Loop: Header=BB134_5 Depth=1
	v_bfe_u32 v88, v89, 16, 1
	v_add3_u32 v97, v89, v88, s7
                                        ; implicit-def: $vgpr88_vgpr89
; %bb.19:                               ;   in Loop: Header=BB134_5 Depth=1
	s_andn2_saveexec_b64 s[26:27], s[26:27]
; %bb.20:                               ;   in Loop: Header=BB134_5 Depth=1
	v_or_b32_e32 v88, 0x10000, v89
	v_cmp_eq_u32_sdwa vcc, v89, v19 src0_sel:WORD_0 src1_sel:DWORD
	s_nop 1
	v_cndmask_b32_e32 v97, v88, v89, vcc
; %bb.21:                               ;   in Loop: Header=BB134_5 Depth=1
	s_or_b64 exec, exec, s[26:27]
	v_add_u32_e32 v88, s14, v94
	v_ashrrev_i32_e32 v89, 31, v88
	v_lshl_add_u64 v[88:89], v[88:89], 3, s[0:1]
	global_load_dwordx2 v[88:89], v[88:89], off
	v_perm_b32 v18, v97, v18, s2
	ds_write_b32 v95, v18 offset:264
	s_waitcnt vmcnt(0)
	v_and_b32_e32 v18, 0x7f800000, v88
	v_cmp_ne_u32_e32 vcc, s6, v18
                                        ; implicit-def: $vgpr18
	s_and_saveexec_b64 s[26:27], vcc
	s_xor_b64 s[26:27], exec, s[26:27]
; %bb.22:                               ;   in Loop: Header=BB134_5 Depth=1
	v_bfe_u32 v18, v88, 16, 1
	v_add3_u32 v18, v88, v18, s7
; %bb.23:                               ;   in Loop: Header=BB134_5 Depth=1
	s_andn2_saveexec_b64 s[26:27], s[26:27]
; %bb.24:                               ;   in Loop: Header=BB134_5 Depth=1
	v_or_b32_e32 v18, 0x10000, v88
	v_cmp_eq_u32_sdwa vcc, v88, v19 src0_sel:WORD_0 src1_sel:DWORD
	s_nop 1
	v_cndmask_b32_e32 v18, v18, v88, vcc
; %bb.25:                               ;   in Loop: Header=BB134_5 Depth=1
	s_or_b64 exec, exec, s[26:27]
	v_and_b32_e32 v88, 0x7f800000, v89
	v_cmp_ne_u32_e32 vcc, s6, v88
                                        ; implicit-def: $vgpr97
	s_and_saveexec_b64 s[26:27], vcc
	s_xor_b64 s[26:27], exec, s[26:27]
; %bb.26:                               ;   in Loop: Header=BB134_5 Depth=1
	v_bfe_u32 v88, v89, 16, 1
	v_add3_u32 v97, v89, v88, s7
                                        ; implicit-def: $vgpr88_vgpr89
; %bb.27:                               ;   in Loop: Header=BB134_5 Depth=1
	s_andn2_saveexec_b64 s[26:27], s[26:27]
; %bb.28:                               ;   in Loop: Header=BB134_5 Depth=1
	v_or_b32_e32 v88, 0x10000, v89
	v_cmp_eq_u32_sdwa vcc, v89, v19 src0_sel:WORD_0 src1_sel:DWORD
	s_nop 1
	v_cndmask_b32_e32 v97, v88, v89, vcc
; %bb.29:                               ;   in Loop: Header=BB134_5 Depth=1
	s_or_b64 exec, exec, s[26:27]
	v_add_u32_e32 v88, s19, v94
	v_ashrrev_i32_e32 v89, 31, v88
	v_lshl_add_u64 v[88:89], v[88:89], 3, s[0:1]
	global_load_dwordx2 v[88:89], v[88:89], off
	v_perm_b32 v18, v97, v18, s2
	ds_write_b32 v95, v18 offset:528
	;; [unrolled: 42-line block ×10, first 2 shown]
	s_waitcnt vmcnt(0)
	v_and_b32_e32 v18, 0x7f800000, v88
	v_cmp_ne_u32_e32 vcc, s6, v18
                                        ; implicit-def: $vgpr18
	s_and_saveexec_b64 s[26:27], vcc
	s_xor_b64 s[26:27], exec, s[26:27]
; %bb.94:                               ;   in Loop: Header=BB134_5 Depth=1
	v_bfe_u32 v18, v88, 16, 1
	v_add3_u32 v18, v88, v18, s7
; %bb.95:                               ;   in Loop: Header=BB134_5 Depth=1
	s_andn2_saveexec_b64 s[26:27], s[26:27]
; %bb.96:                               ;   in Loop: Header=BB134_5 Depth=1
	v_or_b32_e32 v18, 0x10000, v88
	v_cmp_eq_u32_sdwa vcc, v88, v19 src0_sel:WORD_0 src1_sel:DWORD
	s_nop 1
	v_cndmask_b32_e32 v18, v18, v88, vcc
; %bb.97:                               ;   in Loop: Header=BB134_5 Depth=1
	s_or_b64 exec, exec, s[26:27]
	v_and_b32_e32 v88, 0x7f800000, v89
	v_cmp_ne_u32_e32 vcc, s6, v88
                                        ; implicit-def: $vgpr97
	s_and_saveexec_b64 s[26:27], vcc
	s_xor_b64 s[26:27], exec, s[26:27]
; %bb.98:                               ;   in Loop: Header=BB134_5 Depth=1
	v_bfe_u32 v88, v89, 16, 1
	v_add3_u32 v97, v89, v88, s7
                                        ; implicit-def: $vgpr88_vgpr89
; %bb.99:                               ;   in Loop: Header=BB134_5 Depth=1
	s_andn2_saveexec_b64 s[26:27], s[26:27]
; %bb.100:                              ;   in Loop: Header=BB134_5 Depth=1
	v_or_b32_e32 v88, 0x10000, v89
	v_cmp_eq_u32_sdwa vcc, v89, v19 src0_sel:WORD_0 src1_sel:DWORD
	s_nop 1
	v_cndmask_b32_e32 v97, v88, v89, vcc
; %bb.101:                              ;   in Loop: Header=BB134_5 Depth=1
	s_or_b64 exec, exec, s[26:27]
	v_add_u32_e32 v88, s37, v94
	v_ashrrev_i32_e32 v89, 31, v88
	v_lshl_add_u64 v[88:89], v[88:89], 3, s[0:1]
	global_load_dwordx2 v[88:89], v[88:89], off
	v_perm_b32 v18, v97, v18, s2
	ds_write_b32 v95, v18 offset:2904
	s_waitcnt vmcnt(0)
	v_and_b32_e32 v18, 0x7f800000, v88
	v_cmp_ne_u32_e32 vcc, s6, v18
                                        ; implicit-def: $vgpr18
	s_and_saveexec_b64 s[26:27], vcc
	s_xor_b64 s[26:27], exec, s[26:27]
; %bb.102:                              ;   in Loop: Header=BB134_5 Depth=1
	v_bfe_u32 v18, v88, 16, 1
	v_add3_u32 v18, v88, v18, s7
; %bb.103:                              ;   in Loop: Header=BB134_5 Depth=1
	s_andn2_saveexec_b64 s[26:27], s[26:27]
; %bb.104:                              ;   in Loop: Header=BB134_5 Depth=1
	v_or_b32_e32 v18, 0x10000, v88
	v_cmp_eq_u32_sdwa vcc, v88, v19 src0_sel:WORD_0 src1_sel:DWORD
	s_nop 1
	v_cndmask_b32_e32 v18, v18, v88, vcc
; %bb.105:                              ;   in Loop: Header=BB134_5 Depth=1
	s_or_b64 exec, exec, s[26:27]
	v_and_b32_e32 v88, 0x7f800000, v89
	v_cmp_ne_u32_e32 vcc, s6, v88
                                        ; implicit-def: $vgpr97
	s_and_saveexec_b64 s[26:27], vcc
	s_xor_b64 s[26:27], exec, s[26:27]
; %bb.106:                              ;   in Loop: Header=BB134_5 Depth=1
	v_bfe_u32 v88, v89, 16, 1
	v_add3_u32 v97, v89, v88, s7
                                        ; implicit-def: $vgpr88_vgpr89
; %bb.107:                              ;   in Loop: Header=BB134_5 Depth=1
	s_andn2_saveexec_b64 s[26:27], s[26:27]
; %bb.108:                              ;   in Loop: Header=BB134_5 Depth=1
	v_or_b32_e32 v88, 0x10000, v89
	v_cmp_eq_u32_sdwa vcc, v89, v19 src0_sel:WORD_0 src1_sel:DWORD
	s_nop 1
	v_cndmask_b32_e32 v97, v88, v89, vcc
; %bb.109:                              ;   in Loop: Header=BB134_5 Depth=1
	s_or_b64 exec, exec, s[26:27]
	v_add_u32_e32 v88, s38, v94
	v_ashrrev_i32_e32 v89, 31, v88
	v_lshl_add_u64 v[88:89], v[88:89], 3, s[0:1]
	global_load_dwordx2 v[88:89], v[88:89], off
	v_perm_b32 v18, v97, v18, s2
	ds_write_b32 v95, v18 offset:3168
	s_waitcnt vmcnt(0)
	v_and_b32_e32 v18, 0x7f800000, v88
	v_cmp_ne_u32_e32 vcc, s6, v18
                                        ; implicit-def: $vgpr18
	s_and_saveexec_b64 s[26:27], vcc
	s_xor_b64 s[26:27], exec, s[26:27]
; %bb.110:                              ;   in Loop: Header=BB134_5 Depth=1
	v_bfe_u32 v18, v88, 16, 1
	v_add3_u32 v18, v88, v18, s7
; %bb.111:                              ;   in Loop: Header=BB134_5 Depth=1
	s_andn2_saveexec_b64 s[26:27], s[26:27]
; %bb.112:                              ;   in Loop: Header=BB134_5 Depth=1
	v_or_b32_e32 v18, 0x10000, v88
	v_cmp_eq_u32_sdwa vcc, v88, v19 src0_sel:WORD_0 src1_sel:DWORD
	s_nop 1
	v_cndmask_b32_e32 v18, v18, v88, vcc
; %bb.113:                              ;   in Loop: Header=BB134_5 Depth=1
	s_or_b64 exec, exec, s[26:27]
	v_and_b32_e32 v88, 0x7f800000, v89
	v_cmp_ne_u32_e32 vcc, s6, v88
                                        ; implicit-def: $vgpr97
	s_and_saveexec_b64 s[26:27], vcc
	s_xor_b64 s[26:27], exec, s[26:27]
; %bb.114:                              ;   in Loop: Header=BB134_5 Depth=1
	v_bfe_u32 v88, v89, 16, 1
	v_add3_u32 v97, v89, v88, s7
                                        ; implicit-def: $vgpr88_vgpr89
; %bb.115:                              ;   in Loop: Header=BB134_5 Depth=1
	s_andn2_saveexec_b64 s[26:27], s[26:27]
	s_cbranch_execz .LBB134_4
; %bb.116:                              ;   in Loop: Header=BB134_5 Depth=1
	v_or_b32_e32 v88, 0x10000, v89
	v_cmp_eq_u32_sdwa vcc, v89, v19 src0_sel:WORD_0 src1_sel:DWORD
	s_nop 1
	v_cndmask_b32_e32 v97, v88, v89, vcc
	s_branch .LBB134_4
.LBB134_117:
	s_or_b64 exec, exec, s[16:17]
	v_readlane_b32 s6, v102, 0
	v_readlane_b32 s27, v102, 2
	;; [unrolled: 1-line block ×3, first 2 shown]
.LBB134_118:
	s_or_b64 exec, exec, s[24:25]
	s_waitcnt lgkmcnt(0)
	s_mul_hi_i32 s1, s15, s4
	s_mul_i32 s0, s15, s4
	s_lshl_b64 s[0:1], s[0:1], 2
	v_mul_u32_u24_e32 v0, 0x408, v93
	v_lshlrev_b32_e32 v1, 2, v92
	v_or_b32_e32 v2, 12, v91
	s_mul_i32 s2, s3, s11
	s_add_u32 s4, s6, s0
	v_add3_u32 v0, 0, v0, v1
	v_and_b32_e32 v1, 0x3f0, v91
	v_and_b32_e32 v2, 0x3fc, v2
	s_addc_u32 s5, s7, s1
	s_ashr_i32 s3, s2, 31
	v_add_u32_e32 v1, v0, v1
	v_add_u32_e32 v0, v0, v2
	s_lshl_b64 s[0:1], s[2:3], 2
	s_barrier
	s_movk_i32 s2, 0x408
	ds_write2_b32 v1, a12, a13 offset1:1
	ds_write_b32 v1, a14 offset:8
	ds_write_b32 v0, a15
	ds_write2_b32 v1, a8, a9 offset0:16 offset1:17
	ds_write_b32 v1, a10 offset:72
	ds_write_b32 v0, a11 offset:64
	ds_write2_b32 v1, a4, a5 offset0:32 offset1:33
	ds_write_b32 v1, a6 offset:136
	ds_write_b32 v0, a7 offset:128
	;; [unrolled: 3-line block ×3, first 2 shown]
	v_lshl_add_u32 v1, v91, 2, 0
	v_mad_u32_u24 v10, v90, s2, v1
	s_waitcnt lgkmcnt(0)
	s_barrier
	ds_read2st64_b32 v[2:3], v10 offset1:1
	ds_read2st64_b32 v[4:5], v10 offset0:2 offset1:3
	v_add_u32_e32 v6, 32, v10
	s_add_u32 s0, s4, s0
	v_add_u32_e32 v0, s27, v91
	s_waitcnt lgkmcnt(1)
	v_add_f32_e32 v2, 0, v2
	v_add_f32_e32 v2, v2, v3
	s_waitcnt lgkmcnt(0)
	v_add_f32_e32 v2, v2, v4
	v_add_f32_e32 v11, v2, v5
	ds_read2st64_b32 v[4:5], v6 offset0:16 offset1:17
	ds_read2st64_b32 v[6:7], v6 offset0:18 offset1:19
	s_addc_u32 s1, s5, s1
	v_mad_u64_u32 v[2:3], s[4:5], v90, s18, v[0:1]
	s_waitcnt lgkmcnt(1)
	v_add_f32_e32 v4, 0, v4
	v_mov_b32_e32 v3, 0
	v_add_f32_e32 v4, v4, v5
	v_lshl_add_u64 v[8:9], v[2:3], 2, s[0:1]
	s_waitcnt lgkmcnt(0)
	v_add_f32_e32 v4, v4, v6
	v_add_u32_e32 v6, 64, v10
	global_store_dword v[8:9], v11, off
	v_add_f32_e32 v11, v4, v7
	ds_read2st64_b32 v[4:5], v6 offset0:32 offset1:33
	ds_read2st64_b32 v[6:7], v6 offset0:34 offset1:35
	s_lshl_b32 s3, s18, 2
	v_add_u32_e32 v2, s3, v2
	v_lshl_add_u64 v[8:9], v[2:3], 2, s[0:1]
	s_waitcnt lgkmcnt(1)
	v_add_f32_e32 v4, 0, v4
	v_add_f32_e32 v4, v4, v5
	s_waitcnt lgkmcnt(0)
	v_add_f32_e32 v4, v4, v6
	v_add_u32_e32 v2, s3, v2
	v_add_f32_e32 v6, v4, v7
	v_lshl_add_u64 v[4:5], v[2:3], 2, s[0:1]
	v_cmp_gt_u32_e32 vcc, 2, v90
	global_store_dword v[8:9], v11, off
	global_store_dword v[4:5], v6, off
	s_and_saveexec_b64 s[4:5], vcc
	s_cbranch_execz .LBB134_120
; %bb.119:
	v_or_b32_e32 v2, 12, v90
	v_mad_u32_u24 v1, v2, s2, v1
	ds_read2st64_b32 v[4:5], v1 offset1:1
	ds_read2st64_b32 v[6:7], v1 offset0:2 offset1:3
	v_mad_u64_u32 v[0:1], s[2:3], v2, s18, v[0:1]
	v_mov_b32_e32 v1, v3
	s_waitcnt lgkmcnt(1)
	v_add_f32_e32 v2, 0, v4
	v_add_f32_e32 v2, v2, v5
	s_waitcnt lgkmcnt(0)
	v_add_f32_e32 v2, v2, v6
	v_add_f32_e32 v2, v2, v7
	v_lshl_add_u64 v[0:1], v[0:1], 2, s[0:1]
	global_store_dword v[0:1], v2, off
.LBB134_120:
	s_endpgm
	.section	.rodata,"a",@progbits
	.p2align	6, 0x0
	.amdhsa_kernel _ZL9mul_mat_fI15__hip_bfloat162Li64ELi14ELi4ELb0EEvPKT_PKfPKiPfiiiiiiiiiiiiiiii
		.amdhsa_group_segment_fixed_size 0
		.amdhsa_private_segment_fixed_size 0
		.amdhsa_kernarg_size 96
		.amdhsa_user_sgpr_count 2
		.amdhsa_user_sgpr_dispatch_ptr 0
		.amdhsa_user_sgpr_queue_ptr 0
		.amdhsa_user_sgpr_kernarg_segment_ptr 1
		.amdhsa_user_sgpr_dispatch_id 0
		.amdhsa_user_sgpr_kernarg_preload_length 0
		.amdhsa_user_sgpr_kernarg_preload_offset 0
		.amdhsa_user_sgpr_private_segment_size 0
		.amdhsa_uses_dynamic_stack 0
		.amdhsa_enable_private_segment 0
		.amdhsa_system_sgpr_workgroup_id_x 1
		.amdhsa_system_sgpr_workgroup_id_y 1
		.amdhsa_system_sgpr_workgroup_id_z 1
		.amdhsa_system_sgpr_workgroup_info 0
		.amdhsa_system_vgpr_workitem_id 1
		.amdhsa_next_free_vgpr 128
		.amdhsa_next_free_sgpr 100
		.amdhsa_accum_offset 104
		.amdhsa_reserve_vcc 1
		.amdhsa_float_round_mode_32 0
		.amdhsa_float_round_mode_16_64 0
		.amdhsa_float_denorm_mode_32 3
		.amdhsa_float_denorm_mode_16_64 3
		.amdhsa_dx10_clamp 1
		.amdhsa_ieee_mode 1
		.amdhsa_fp16_overflow 0
		.amdhsa_tg_split 0
		.amdhsa_exception_fp_ieee_invalid_op 0
		.amdhsa_exception_fp_denorm_src 0
		.amdhsa_exception_fp_ieee_div_zero 0
		.amdhsa_exception_fp_ieee_overflow 0
		.amdhsa_exception_fp_ieee_underflow 0
		.amdhsa_exception_fp_ieee_inexact 0
		.amdhsa_exception_int_div_zero 0
	.end_amdhsa_kernel
	.section	.text._ZL9mul_mat_fI15__hip_bfloat162Li64ELi14ELi4ELb0EEvPKT_PKfPKiPfiiiiiiiiiiiiiiii,"axG",@progbits,_ZL9mul_mat_fI15__hip_bfloat162Li64ELi14ELi4ELb0EEvPKT_PKfPKiPfiiiiiiiiiiiiiiii,comdat
.Lfunc_end134:
	.size	_ZL9mul_mat_fI15__hip_bfloat162Li64ELi14ELi4ELb0EEvPKT_PKfPKiPfiiiiiiiiiiiiiiii, .Lfunc_end134-_ZL9mul_mat_fI15__hip_bfloat162Li64ELi14ELi4ELb0EEvPKT_PKfPKiPfiiiiiiiiiiiiiiii
                                        ; -- End function
	.section	.AMDGPU.csdata,"",@progbits
; Kernel info:
; codeLenInByte = 7468
; NumSgprs: 106
; NumVgprs: 103
; NumAgprs: 24
; TotalNumVgprs: 128
; ScratchSize: 0
; MemoryBound: 0
; FloatMode: 240
; IeeeMode: 1
; LDSByteSize: 0 bytes/workgroup (compile time only)
; SGPRBlocks: 13
; VGPRBlocks: 15
; NumSGPRsForWavesPerEU: 106
; NumVGPRsForWavesPerEU: 128
; AccumOffset: 104
; Occupancy: 4
; WaveLimiterHint : 0
; COMPUTE_PGM_RSRC2:SCRATCH_EN: 0
; COMPUTE_PGM_RSRC2:USER_SGPR: 2
; COMPUTE_PGM_RSRC2:TRAP_HANDLER: 0
; COMPUTE_PGM_RSRC2:TGID_X_EN: 1
; COMPUTE_PGM_RSRC2:TGID_Y_EN: 1
; COMPUTE_PGM_RSRC2:TGID_Z_EN: 1
; COMPUTE_PGM_RSRC2:TIDIG_COMP_CNT: 1
; COMPUTE_PGM_RSRC3_GFX90A:ACCUM_OFFSET: 25
; COMPUTE_PGM_RSRC3_GFX90A:TG_SPLIT: 0
	.section	.text._ZL13mul_mat_f_idsI15__hip_bfloat162Li64ELi14ELi5EEvPKT_PKfPKiS7_S7_Pfiiiiiiiiiiiiii15HIP_vector_typeIjLj3EESA_,"axG",@progbits,_ZL13mul_mat_f_idsI15__hip_bfloat162Li64ELi14ELi5EEvPKT_PKfPKiS7_S7_Pfiiiiiiiiiiiiii15HIP_vector_typeIjLj3EESA_,comdat
	.globl	_ZL13mul_mat_f_idsI15__hip_bfloat162Li64ELi14ELi5EEvPKT_PKfPKiS7_S7_Pfiiiiiiiiiiiiii15HIP_vector_typeIjLj3EESA_ ; -- Begin function _ZL13mul_mat_f_idsI15__hip_bfloat162Li64ELi14ELi5EEvPKT_PKfPKiS7_S7_Pfiiiiiiiiiiiiii15HIP_vector_typeIjLj3EESA_
	.p2align	8
	.type	_ZL13mul_mat_f_idsI15__hip_bfloat162Li64ELi14ELi5EEvPKT_PKfPKiS7_S7_Pfiiiiiiiiiiiiii15HIP_vector_typeIjLj3EESA_,@function
_ZL13mul_mat_f_idsI15__hip_bfloat162Li64ELi14ELi5EEvPKT_PKfPKiS7_S7_Pfiiiiiiiiiiiiii15HIP_vector_typeIjLj3EESA_: ; @_ZL13mul_mat_f_idsI15__hip_bfloat162Li64ELi14ELi5EEvPKT_PKfPKiS7_S7_Pfiiiiiiiiiiiiii15HIP_vector_typeIjLj3EESA_
; %bb.0:
	s_load_dwordx2 s[6:7], s[0:1], 0x20
	s_mov_b32 s34, s3
	s_ashr_i32 s35, s3, 31
	s_lshl_b64 s[8:9], s[34:35], 2
	s_waitcnt lgkmcnt(0)
	s_add_u32 s6, s6, s8
	s_addc_u32 s7, s7, s9
	s_load_dwordx2 s[26:27], s[6:7], 0x0
	s_waitcnt lgkmcnt(0)
	s_sub_i32 s33, s27, s26
	s_add_i32 s3, s33, 13
	s_mul_hi_i32 s5, s3, 0x92492493
	s_add_i32 s5, s5, s3
	s_lshr_b32 s3, s5, 31
	s_ashr_i32 s5, s5, 3
	s_add_i32 s5, s5, s3
	s_cmp_ge_i32 s4, s5
	s_cbranch_scc1 .LBB135_171
; %bb.1:
	v_bfe_u32 v16, v0, 10, 10
	v_lshlrev_b32_e32 v114, 6, v16
	v_and_b32_e32 v17, 0x3ff, v0
	s_load_dwordx4 s[12:15], s[0:1], 0x30
	s_load_dwordx2 s[20:21], s[0:1], 0x40
	s_load_dwordx4 s[8:11], s[0:1], 0x4c
	s_load_dwordx4 s[16:19], s[0:1], 0x68
	s_load_dwordx2 s[24:25], s[0:1], 0x78
	v_add_u32_e32 v116, v114, v17
	s_ashr_i32 s27, s26, 31
	s_waitcnt lgkmcnt(0)
	v_cmp_le_i32_e32 vcc, s12, v116
	v_and_b32_e32 v115, 15, v17
                                        ; implicit-def: $sgpr3
	s_and_saveexec_b64 s[6:7], vcc
	s_xor_b64 s[6:7], exec, s[6:7]
; %bb.2:
	v_and_b32_e32 v115, 15, v17
	s_mov_b32 s3, 0
                                        ; implicit-def: $vgpr116
; %bb.3:
	s_or_saveexec_b64 s[22:23], s[6:7]
	s_load_dwordx2 s[6:7], s[0:1], 0x18
                                        ; implicit-def: $vgpr119 : SGPR spill to VGPR lane
	s_lshl_b32 s11, s2, 6
	s_mul_i32 s2, s4, 14
	v_mov_b32_e32 v15, s3
	v_mov_b32_e32 v14, s3
	s_waitcnt lgkmcnt(0)
	v_writelane_b32 v119, s6, 0
	v_mov_b32_e32 v13, s3
	v_mov_b32_e32 v12, s3
	v_writelane_b32 v119, s7, 1
	s_load_dwordx2 s[6:7], s[0:1], 0x28
	v_mov_b32_e32 v3, s3
	v_mov_b32_e32 v2, s3
	;; [unrolled: 1-line block ×4, first 2 shown]
	s_waitcnt lgkmcnt(0)
	v_writelane_b32 v119, s6, 2
	v_mov_b32_e32 v7, s3
	v_mov_b32_e32 v6, s3
	v_writelane_b32 v119, s7, 3
	v_mov_b32_e32 v5, s3
	v_mov_b32_e32 v4, s3
	;; [unrolled: 1-line block ×6, first 2 shown]
	v_writelane_b32 v119, s22, 4
	s_nop 1
	v_writelane_b32 v119, s23, 5
	s_xor_b64 exec, exec, s[22:23]
	s_cbranch_execz .LBB135_161
; %bb.4:
	v_writelane_b32 v119, s24, 6
	s_load_dwordx4 s[4:7], s[0:1], 0x0
	s_load_dwordx2 s[22:23], s[0:1], 0x10
	v_writelane_b32 v119, s25, 7
	s_mul_i32 s0, s34, s8
	s_mul_i32 s24, s11, s15
	s_ashr_i32 s1, s0, 31
	s_ashr_i32 s25, s24, 31
	s_lshl_b64 s[24:25], s[24:25], 2
	s_lshl_b64 s[0:1], s[0:1], 2
	s_add_u32 s24, s0, s24
	v_writelane_b32 v119, s11, 8
	s_addc_u32 s25, s1, s25
	s_waitcnt lgkmcnt(0)
	s_add_u32 s0, s24, s4
	v_writelane_b32 v119, s26, 9
	s_addc_u32 s1, s25, s5
	s_movk_i32 s3, 0x1080
	v_writelane_b32 v119, s27, 10
	s_lshl_b64 s[26:27], s[26:27], 2
	s_add_u32 s8, s22, s26
	s_addc_u32 s11, s23, s27
	s_cmp_lt_i32 s2, s33
	v_mad_u32_u24 v1, v16, s3, 0
	s_cselect_b64 s[34:35], -1, 0
	s_ashr_i32 s3, s2, 31
	s_lshl_b64 s[22:23], s[2:3], 2
	s_add_u32 s36, s8, s22
	s_addc_u32 s37, s11, s23
	s_or_b32 s3, s2, 1
	s_cmp_lt_i32 s3, s33
	v_lshrrev_b32_e32 v3, 1, v17
	s_cselect_b64 s[38:39], -1, 0
	s_add_i32 s3, s2, 2
	v_mov_b32_e32 v19, 0
	v_lshlrev_b32_e32 v0, 2, v17
	v_mul_u32_u24_e32 v2, 0x108, v115
	v_and_b32_e32 v3, 0x1f8, v3
	s_cmp_lt_i32 s3, s33
	v_lshlrev_b32_e32 v18, 8, v16
	v_add_u32_e32 v117, v1, v0
	v_add3_u32 v118, v1, v2, v3
	s_cselect_b64 s[40:41], -1, 0
	s_add_i32 s3, s2, 3
	v_lshl_add_u64 v[2:3], s[24:25], 0, v[18:19]
	v_mov_b32_e32 v1, v19
	s_cmp_lt_i32 s3, s33
	v_lshl_add_u64 v[0:1], v[2:3], 0, v[0:1]
	s_cselect_b64 s[42:43], -1, 0
	s_add_i32 s3, s2, 4
	v_lshl_add_u64 v[20:21], s[4:5], 0, v[0:1]
	s_mul_i32 s4, s15, 3
	s_cmp_lt_i32 s3, s33
	v_writelane_b32 v119, s4, 11
	s_mul_i32 s4, s15, 5
	s_cselect_b64 s[44:45], -1, 0
	s_add_i32 s3, s2, 5
	v_writelane_b32 v119, s4, 12
	s_mul_i32 s4, s15, 6
	s_cmp_lt_i32 s3, s33
	v_writelane_b32 v119, s4, 13
	s_mul_i32 s4, s15, 7
	s_cselect_b64 s[46:47], -1, 0
	s_add_i32 s3, s2, 6
	v_writelane_b32 v119, s4, 14
	s_mul_i32 s4, s15, 9
	s_cmp_lt_i32 s3, s33
	v_writelane_b32 v119, s4, 15
	s_mul_i32 s4, s15, 10
	s_cselect_b64 s[48:49], -1, 0
	s_add_i32 s3, s2, 7
	v_writelane_b32 v119, s4, 16
	s_mul_i32 s4, s15, 11
	s_cmp_lt_i32 s3, s33
	v_writelane_b32 v119, s4, 17
	s_mul_i32 s4, s15, 12
	s_cselect_b64 s[50:51], -1, 0
	s_add_i32 s3, s2, 8
	v_writelane_b32 v119, s4, 18
	s_mul_i32 s4, s15, 13
	s_cmp_lt_i32 s3, s33
	v_writelane_b32 v119, s4, 19
	s_mul_i32 s4, s15, 14
	s_cselect_b64 s[52:53], -1, 0
	s_add_i32 s3, s2, 9
	v_writelane_b32 v119, s4, 20
	s_mul_i32 s4, s15, 15
	s_cmp_lt_i32 s3, s33
	v_writelane_b32 v119, s4, 21
	s_mul_i32 s4, s15, 17
	s_cselect_b64 s[54:55], -1, 0
	s_add_i32 s3, s2, 10
	v_writelane_b32 v119, s4, 22
	s_mul_i32 s4, s15, 18
	s_cmp_lt_i32 s3, s33
	v_writelane_b32 v119, s4, 23
	s_mul_i32 s4, s15, 19
	s_cselect_b64 s[56:57], -1, 0
	s_add_i32 s3, s2, 11
	v_writelane_b32 v119, s4, 24
	s_mul_i32 s4, s15, 20
	s_cmp_lt_i32 s3, s33
	v_writelane_b32 v119, s4, 25
	s_mul_i32 s4, s15, 21
	s_cselect_b64 s[58:59], -1, 0
	s_add_i32 s3, s2, 12
	v_writelane_b32 v119, s4, 26
	s_mul_i32 s4, s15, 22
	s_cmp_lt_i32 s3, s33
	v_writelane_b32 v119, s4, 27
	s_mul_i32 s4, s15, 23
	s_cselect_b64 s[60:61], -1, 0
	s_add_i32 s3, s2, 13
	v_writelane_b32 v119, s4, 28
	s_mul_i32 s4, s15, 24
	s_cmp_lt_i32 s3, s33
	v_writelane_b32 v119, s4, 29
	s_mul_i32 s4, s15, 25
	s_cselect_b64 s[62:63], -1, 0
	s_ashr_i32 s23, s15, 31
	s_mov_b32 s22, s15
	v_writelane_b32 v119, s4, 30
	s_mul_i32 s4, s15, 26
	s_lshl_b64 s[64:65], s[22:23], 2
	s_lshl_b32 s3, s15, 1
	s_lshl_b32 s70, s15, 2
	;; [unrolled: 1-line block ×4, first 2 shown]
	v_writelane_b32 v119, s4, 31
	s_mul_i32 s93, s15, 27
	v_mov_b32_e32 v8, 0
	v_mov_b32_e32 v9, v19
	;; [unrolled: 1-line block ×16, first 2 shown]
	s_mul_i32 s94, s15, 28
	s_mul_i32 s95, s15, 29
	;; [unrolled: 1-line block ×4, first 2 shown]
	s_lshl_b32 s98, s15, 5
	s_mul_i32 s99, s15, 33
	s_mul_i32 s24, s15, 34
	;; [unrolled: 1-line block ×31, first 2 shown]
	s_mov_b32 s90, 0x7f800000
	s_movk_i32 s91, 0x7fff
	s_mov_b32 s92, 0x7060302
	s_mov_b64 s[4:5], 0
	s_mov_b64 s[66:67], 0x500
	s_branch .LBB135_6
.LBB135_5:                              ;   in Loop: Header=BB135_6 Depth=1
	s_or_b64 exec, exec, s[68:69]
	v_perm_b32 v18, v86, v18, s92
	v_add_u32_e32 v86, 0xc00, v117
	ds_write2_b32 v86, v18, v19 offset0:90 offset1:156
	ds_write_b32 v117, v19 offset:3960
	ds_read2_b64 v[86:89], v118 offset1:4
	v_add_u32_e32 v116, 0x140, v116
	v_cmp_le_i32_e32 vcc, s12, v116
	v_lshl_add_u64 v[20:21], v[20:21], 0, s[66:67]
	s_waitcnt lgkmcnt(0)
	v_mfma_f32_16x16x16_bf16 v[0:3], v[70:71], v[86:87], v[0:3]
	s_or_b64 s[4:5], vcc, s[4:5]
	v_mfma_f32_16x16x16_bf16 v[8:11], v[38:39], v[86:87], v[8:11]
	v_mfma_f32_16x16x16_bf16 v[4:7], v[54:55], v[86:87], v[4:7]
	v_mfma_f32_16x16x16_bf16 v[12:15], v[84:85], v[86:87], v[12:15]
	v_mfma_f32_16x16x16_bf16 v[0:3], v[68:69], v[88:89], v[0:3]
	ds_read2_b64 v[68:71], v118 offset0:8 offset1:12
	v_mfma_f32_16x16x16_bf16 v[8:11], v[34:35], v[88:89], v[8:11]
	v_mfma_f32_16x16x16_bf16 v[4:7], v[50:51], v[88:89], v[4:7]
	v_mfma_f32_16x16x16_bf16 v[12:15], v[82:83], v[88:89], v[12:15]
	s_waitcnt lgkmcnt(0)
	v_mfma_f32_16x16x16_bf16 v[8:11], v[32:33], v[68:69], v[8:11]
	v_mfma_f32_16x16x16_bf16 v[4:7], v[48:49], v[68:69], v[4:7]
	v_mfma_f32_16x16x16_bf16 v[0:3], v[66:67], v[68:69], v[0:3]
	v_mfma_f32_16x16x16_bf16 v[12:15], v[78:79], v[68:69], v[12:15]
	v_mfma_f32_16x16x16_bf16 v[8:11], v[30:31], v[70:71], v[8:11]
	ds_read2_b64 v[30:33], v118 offset0:16 offset1:20
	v_mfma_f32_16x16x16_bf16 v[4:7], v[46:47], v[70:71], v[4:7]
	v_mfma_f32_16x16x16_bf16 v[0:3], v[64:65], v[70:71], v[0:3]
	v_mfma_f32_16x16x16_bf16 v[12:15], v[74:75], v[70:71], v[12:15]
	s_waitcnt lgkmcnt(0)
	v_mfma_f32_16x16x16_bf16 v[8:11], v[28:29], v[30:31], v[8:11]
	;; [unrolled: 10-line block ×3, first 2 shown]
	v_mfma_f32_16x16x16_bf16 v[4:7], v[40:41], v[26:27], v[4:7]
	v_mfma_f32_16x16x16_bf16 v[0:3], v[56:57], v[26:27], v[0:3]
	;; [unrolled: 1-line block ×7, first 2 shown]
	s_andn2_b64 exec, exec, s[4:5]
	s_cbranch_execz .LBB135_160
.LBB135_6:                              ; =>This Inner Loop Header: Depth=1
	v_readlane_b32 s68, v119, 11
	v_lshl_add_u64 v[22:23], v[20:21], 0, s[64:65]
	global_load_dword v18, v[20:21], off
	global_load_dword v48, v[22:23], off
	v_add_u32_e32 v24, s68, v116
	v_readlane_b32 s68, v119, 12
	v_add_u32_e32 v22, s3, v116
	v_ashrrev_i32_e32 v23, 31, v22
	v_add_u32_e32 v28, s68, v116
	v_readlane_b32 s68, v119, 13
	v_add_u32_e32 v26, s70, v116
	v_lshl_add_u64 v[22:23], v[22:23], 2, s[0:1]
	v_add_u32_e32 v30, s68, v116
	v_readlane_b32 s68, v119, 14
	v_ashrrev_i32_e32 v25, 31, v24
	v_ashrrev_i32_e32 v27, 31, v26
	v_add_u32_e32 v32, s68, v116
	v_ashrrev_i32_e32 v29, 31, v28
	v_ashrrev_i32_e32 v31, 31, v30
	;; [unrolled: 1-line block ×3, first 2 shown]
	v_lshl_add_u64 v[24:25], v[24:25], 2, s[0:1]
	v_lshl_add_u64 v[26:27], v[26:27], 2, s[0:1]
	;; [unrolled: 1-line block ×5, first 2 shown]
	global_load_dword v49, v[22:23], off
	global_load_dword v50, v[24:25], off
	global_load_dword v51, v[26:27], off
	global_load_dword v52, v[28:29], off
	global_load_dword v53, v[30:31], off
	global_load_dword v54, v[32:33], off
	v_readlane_b32 s68, v119, 15
	v_add_u32_e32 v22, s74, v116
	v_add_u32_e32 v38, s82, v116
	;; [unrolled: 1-line block ×3, first 2 shown]
	v_readlane_b32 s68, v119, 16
	v_ashrrev_i32_e32 v23, 31, v22
	v_ashrrev_i32_e32 v25, 31, v24
	v_add_u32_e32 v26, s68, v116
	v_readlane_b32 s68, v119, 17
	v_ashrrev_i32_e32 v27, 31, v26
	v_ashrrev_i32_e32 v39, 31, v38
	v_add_u32_e32 v28, s68, v116
	v_readlane_b32 s68, v119, 18
	v_ashrrev_i32_e32 v29, 31, v28
	v_lshl_add_u64 v[22:23], v[22:23], 2, s[0:1]
	v_add_u32_e32 v30, s68, v116
	v_readlane_b32 s68, v119, 19
	v_ashrrev_i32_e32 v31, 31, v30
	v_lshl_add_u64 v[24:25], v[24:25], 2, s[0:1]
	;; [unrolled: 4-line block ×6, first 2 shown]
	v_add_u32_e32 v42, s68, v116
	v_readlane_b32 s68, v119, 24
	v_lshl_add_u64 v[32:33], v[32:33], 2, s[0:1]
	v_lshl_add_u64 v[34:35], v[34:35], 2, s[0:1]
	v_add_u32_e32 v44, s68, v116
	v_readlane_b32 s68, v119, 25
	v_lshl_add_u64 v[36:37], v[36:37], 2, s[0:1]
	v_lshl_add_u64 v[38:39], v[38:39], 2, s[0:1]
	v_add_u32_e32 v46, s68, v116
	v_readlane_b32 s68, v119, 26
	global_load_dword v55, v[22:23], off
	global_load_dword v56, v[24:25], off
	;; [unrolled: 1-line block ×9, first 2 shown]
	s_nop 0
	global_load_dword v40, v[40:41], off
	v_add_u32_e32 v22, s68, v116
	v_readlane_b32 s68, v119, 27
	v_ashrrev_i32_e32 v43, 31, v42
	v_ashrrev_i32_e32 v45, 31, v44
	v_add_u32_e32 v24, s68, v116
	v_readlane_b32 s68, v119, 28
	v_ashrrev_i32_e32 v47, 31, v46
	v_ashrrev_i32_e32 v23, 31, v22
	v_add_u32_e32 v26, s68, v116
	v_readlane_b32 s68, v119, 29
	v_lshl_add_u64 v[42:43], v[42:43], 2, s[0:1]
	v_lshl_add_u64 v[44:45], v[44:45], 2, s[0:1]
	v_add_u32_e32 v28, s68, v116
	v_readlane_b32 s68, v119, 30
	v_lshl_add_u64 v[46:47], v[46:47], 2, s[0:1]
	s_waitcnt vmcnt(17)
	ds_write_b32 v117, v18
	s_waitcnt vmcnt(16)
	ds_write_b32 v117, v48 offset:264
	s_waitcnt vmcnt(15)
	ds_write_b32 v117, v49 offset:528
	;; [unrolled: 2-line block ×7, first 2 shown]
	v_add_u32_e32 v30, s68, v116
	v_lshl_add_u64 v[22:23], v[22:23], 2, s[0:1]
	v_ashrrev_i32_e32 v25, 31, v24
	v_ashrrev_i32_e32 v27, 31, v26
	;; [unrolled: 1-line block ×4, first 2 shown]
	v_readlane_b32 s68, v119, 31
	v_lshl_add_u64 v[24:25], v[24:25], 2, s[0:1]
	v_lshl_add_u64 v[26:27], v[26:27], 2, s[0:1]
	;; [unrolled: 1-line block ×4, first 2 shown]
	global_load_dword v18, v[42:43], off
	global_load_dword v41, v[44:45], off
	s_nop 0
	global_load_dword v42, v[46:47], off
	global_load_dword v43, v[22:23], off
	;; [unrolled: 1-line block ×4, first 2 shown]
	s_nop 0
	global_load_dword v46, v[28:29], off
	global_load_dword v47, v[30:31], off
	v_add_u32_e32 v22, s68, v116
	v_ashrrev_i32_e32 v23, 31, v22
	v_add_u32_e32 v24, s93, v116
	v_add_u32_e32 v26, s94, v116
	v_add_u32_e32 v28, s95, v116
	v_add_u32_e32 v30, s96, v116
	v_add_u32_e32 v32, s97, v116
	v_add_u32_e32 v34, s98, v116
	v_add_u32_e32 v36, s99, v116
	v_lshl_add_u64 v[22:23], v[22:23], 2, s[0:1]
	v_ashrrev_i32_e32 v25, 31, v24
	v_ashrrev_i32_e32 v27, 31, v26
	v_ashrrev_i32_e32 v29, 31, v28
	v_ashrrev_i32_e32 v31, 31, v30
	v_ashrrev_i32_e32 v33, 31, v32
	v_ashrrev_i32_e32 v35, 31, v34
	v_ashrrev_i32_e32 v37, 31, v36
	v_lshl_add_u64 v[24:25], v[24:25], 2, s[0:1]
	v_lshl_add_u64 v[26:27], v[26:27], 2, s[0:1]
	v_lshl_add_u64 v[28:29], v[28:29], 2, s[0:1]
	v_lshl_add_u64 v[30:31], v[30:31], 2, s[0:1]
	v_lshl_add_u64 v[32:33], v[32:33], 2, s[0:1]
	v_lshl_add_u64 v[34:35], v[34:35], 2, s[0:1]
	v_lshl_add_u64 v[36:37], v[36:37], 2, s[0:1]
	global_load_dword v48, v[22:23], off
	global_load_dword v49, v[24:25], off
	global_load_dword v50, v[26:27], off
	global_load_dword v51, v[28:29], off
	global_load_dword v52, v[30:31], off
	global_load_dword v53, v[32:33], off
	global_load_dword v64, v[34:35], off
	global_load_dword v65, v[36:37], off
	v_add_u32_e32 v22, s24, v116
	v_ashrrev_i32_e32 v23, 31, v22
	v_add_u32_e32 v24, s25, v116
	v_add_u32_e32 v26, s22, v116
	v_add_u32_e32 v28, s23, v116
	v_add_u32_e32 v30, s28, v116
	v_add_u32_e32 v32, s29, v116
	v_add_u32_e32 v34, s11, v116
	v_add_u32_e32 v36, s30, v116
	v_lshl_add_u64 v[22:23], v[22:23], 2, s[0:1]
	v_ashrrev_i32_e32 v25, 31, v24
	v_ashrrev_i32_e32 v27, 31, v26
	v_ashrrev_i32_e32 v29, 31, v28
	v_ashrrev_i32_e32 v31, 31, v30
	v_ashrrev_i32_e32 v33, 31, v32
	v_ashrrev_i32_e32 v35, 31, v34
	v_ashrrev_i32_e32 v37, 31, v36
	v_lshl_add_u64 v[24:25], v[24:25], 2, s[0:1]
	v_lshl_add_u64 v[26:27], v[26:27], 2, s[0:1]
	v_lshl_add_u64 v[28:29], v[28:29], 2, s[0:1]
	v_lshl_add_u64 v[30:31], v[30:31], 2, s[0:1]
	v_lshl_add_u64 v[32:33], v[32:33], 2, s[0:1]
	v_lshl_add_u64 v[34:35], v[34:35], 2, s[0:1]
	v_lshl_add_u64 v[36:37], v[36:37], 2, s[0:1]
	global_load_dword v66, v[22:23], off
	global_load_dword v67, v[24:25], off
	global_load_dword v68, v[26:27], off
	global_load_dword v69, v[28:29], off
	global_load_dword v70, v[30:31], off
	global_load_dword v71, v[32:33], off
	;; [unrolled: 32-line block ×4, first 2 shown]
	global_load_dword v88, v[34:35], off
	global_load_dword v89, v[36:37], off
	v_add_u32_e32 v22, s85, v116
	v_ashrrev_i32_e32 v23, 31, v22
	v_add_u32_e32 v24, s86, v116
	v_add_u32_e32 v26, s87, v116
	;; [unrolled: 1-line block ×5, first 2 shown]
	v_lshl_add_u64 v[22:23], v[22:23], 2, s[0:1]
	v_ashrrev_i32_e32 v25, 31, v24
	v_ashrrev_i32_e32 v27, 31, v26
	;; [unrolled: 1-line block ×5, first 2 shown]
	v_lshl_add_u64 v[24:25], v[24:25], 2, s[0:1]
	v_lshl_add_u64 v[26:27], v[26:27], 2, s[0:1]
	;; [unrolled: 1-line block ×5, first 2 shown]
	global_load_dword v90, v[22:23], off
	global_load_dword v91, v[24:25], off
	;; [unrolled: 1-line block ×6, first 2 shown]
	s_waitcnt vmcnt(55)
	ds_write_b32 v117, v55 offset:2112
	s_waitcnt vmcnt(54)
	ds_write_b32 v117, v56 offset:2376
	s_waitcnt vmcnt(53)
	ds_write_b32 v117, v57 offset:2640
	s_waitcnt vmcnt(52)
	ds_write_b32 v117, v58 offset:2904
	s_waitcnt vmcnt(51)
	ds_write_b32 v117, v59 offset:3168
	s_waitcnt vmcnt(50)
	ds_write_b32 v117, v60 offset:3432
	s_waitcnt vmcnt(49)
	ds_write_b32 v117, v61 offset:3696
	s_waitcnt vmcnt(48)
	ds_write_b32 v117, v62 offset:3960
	ds_read_b64 v[38:39], v118
	ds_read_b64 v[34:35], v118 offset:32
	ds_read_b64 v[32:33], v118 offset:64
	ds_read_b64 v[30:31], v118 offset:96
	ds_read_b64 v[28:29], v118 offset:128
	ds_read_b64 v[26:27], v118 offset:160
	ds_read_b64 v[24:25], v118 offset:192
	ds_read_b64 v[22:23], v118 offset:224
	s_waitcnt vmcnt(47)
	ds_write_b32 v117, v63
	s_waitcnt vmcnt(46)
	ds_write_b32 v117, v40 offset:264
	s_waitcnt vmcnt(45)
	ds_write_b32 v117, v18 offset:528
	s_waitcnt vmcnt(44)
	ds_write_b32 v117, v41 offset:792
	s_waitcnt vmcnt(43)
	ds_write_b32 v117, v42 offset:1056
	s_waitcnt vmcnt(42)
	ds_write_b32 v117, v43 offset:1320
	s_waitcnt vmcnt(41)
	ds_write_b32 v117, v44 offset:1584
	s_waitcnt vmcnt(40)
	ds_write_b32 v117, v45 offset:1848
	s_waitcnt vmcnt(39)
	ds_write_b32 v117, v46 offset:2112
	s_waitcnt vmcnt(38)
	ds_write_b32 v117, v47 offset:2376
	s_waitcnt vmcnt(37)
	ds_write_b32 v117, v48 offset:2640
	s_waitcnt vmcnt(36)
	ds_write_b32 v117, v49 offset:2904
	s_waitcnt vmcnt(35)
	ds_write_b32 v117, v50 offset:3168
	s_waitcnt vmcnt(34)
	ds_write_b32 v117, v51 offset:3432
	s_waitcnt vmcnt(33)
	ds_write_b32 v117, v52 offset:3696
	s_waitcnt vmcnt(32)
	ds_write_b32 v117, v53 offset:3960
	ds_read_b64 v[54:55], v118
	ds_read_b64 v[50:51], v118 offset:32
	ds_read_b64 v[48:49], v118 offset:64
	ds_read_b64 v[46:47], v118 offset:96
	ds_read_b64 v[44:45], v118 offset:128
	ds_read_b64 v[42:43], v118 offset:160
	ds_read_b64 v[40:41], v118 offset:192
	ds_read_b64 v[36:37], v118 offset:224
	s_waitcnt vmcnt(31)
	ds_write_b32 v117, v64
	s_waitcnt vmcnt(30)
	ds_write_b32 v117, v65 offset:264
	s_waitcnt vmcnt(29)
	ds_write_b32 v117, v66 offset:528
	s_waitcnt vmcnt(28)
	ds_write_b32 v117, v67 offset:792
	s_waitcnt vmcnt(27)
	ds_write_b32 v117, v68 offset:1056
	s_waitcnt vmcnt(26)
	ds_write_b32 v117, v69 offset:1320
	s_waitcnt vmcnt(25)
	ds_write_b32 v117, v70 offset:1584
	s_waitcnt vmcnt(24)
	ds_write_b32 v117, v71 offset:1848
	;; [unrolled: 40-line block ×3, first 2 shown]
	s_waitcnt vmcnt(7)
	ds_write_b32 v117, v88 offset:2112
	s_waitcnt vmcnt(6)
	ds_write_b32 v117, v89 offset:2376
	;; [unrolled: 2-line block ×8, first 2 shown]
	ds_read_b64 v[84:85], v118
	ds_read_b64 v[82:83], v118 offset:32
	ds_read_b64 v[78:79], v118 offset:64
	;; [unrolled: 1-line block ×7, first 2 shown]
	s_andn2_b64 vcc, exec, s[34:35]
	v_mov_b32_e32 v112, 0
	v_mov_b32_e32 v113, 0
	s_cbranch_vccnz .LBB135_9
; %bb.7:                                ;   in Loop: Header=BB135_6 Depth=1
	s_load_dword s68, s[36:37], 0x0
	v_mov_b32_e32 v113, 0
	v_mov_b32_e32 v112, 0
	s_waitcnt lgkmcnt(0)
	s_mul_hi_u32 s69, s68, s16
	s_add_i32 s69, s68, s69
	s_lshr_b32 s69, s69, s17
	s_cmp_ge_i32 s69, s13
	s_cbranch_scc1 .LBB135_9
; %bb.8:                                ;   in Loop: Header=BB135_6 Depth=1
	s_mul_i32 vcc_lo, s69, s18
	s_sub_i32 s68, s68, vcc_lo
	s_mul_i32 s69, s69, s20
	s_mul_i32 s68, s68, s9
	v_add_u32_e32 v18, s69, v116
	v_lshl_add_u32 v86, v18, 1, s68
	v_ashrrev_i32_e32 v87, 31, v86
	v_lshl_add_u64 v[86:87], v[86:87], 2, s[6:7]
	global_load_dwordx2 v[112:113], v[86:87], off
.LBB135_9:                              ;   in Loop: Header=BB135_6 Depth=1
	s_andn2_b64 vcc, exec, s[38:39]
	v_mov_b32_e32 v106, 0
	v_mov_b32_e32 v110, 0
	v_mov_b32_e32 v111, 0
	s_cbranch_vccnz .LBB135_12
; %bb.10:                               ;   in Loop: Header=BB135_6 Depth=1
	s_load_dword s68, s[36:37], 0x4
	v_mov_b32_e32 v111, 0
	v_mov_b32_e32 v110, 0
	s_waitcnt lgkmcnt(0)
	s_mul_hi_u32 s69, s68, s16
	s_add_i32 s69, s68, s69
	s_lshr_b32 s69, s69, s17
	s_cmp_ge_i32 s69, s13
	s_cbranch_scc1 .LBB135_12
; %bb.11:                               ;   in Loop: Header=BB135_6 Depth=1
	s_mul_i32 vcc_lo, s69, s18
	s_sub_i32 s68, s68, vcc_lo
	s_mul_i32 s69, s69, s20
	s_mul_i32 s68, s68, s9
	v_add_u32_e32 v18, s69, v116
	v_lshl_add_u32 v86, v18, 1, s68
	v_ashrrev_i32_e32 v87, 31, v86
	v_lshl_add_u64 v[86:87], v[86:87], 2, s[6:7]
	global_load_dwordx2 v[110:111], v[86:87], off
.LBB135_12:                             ;   in Loop: Header=BB135_6 Depth=1
	s_andn2_b64 vcc, exec, s[40:41]
	v_mov_b32_e32 v107, 0
	s_cbranch_vccnz .LBB135_15
; %bb.13:                               ;   in Loop: Header=BB135_6 Depth=1
	s_load_dword s68, s[36:37], 0x8
	v_mov_b32_e32 v107, 0
	v_mov_b32_e32 v106, 0
	s_waitcnt lgkmcnt(0)
	s_mul_hi_u32 s69, s68, s16
	s_add_i32 s69, s68, s69
	s_lshr_b32 s69, s69, s17
	s_cmp_ge_i32 s69, s13
	s_cbranch_scc1 .LBB135_15
; %bb.14:                               ;   in Loop: Header=BB135_6 Depth=1
	s_mul_i32 vcc_lo, s69, s18
	s_sub_i32 s68, s68, vcc_lo
	s_mul_i32 s69, s69, s20
	s_mul_i32 s68, s68, s9
	v_add_u32_e32 v18, s69, v116
	v_lshl_add_u32 v86, v18, 1, s68
	v_ashrrev_i32_e32 v87, 31, v86
	v_lshl_add_u64 v[86:87], v[86:87], 2, s[6:7]
	global_load_dwordx2 v[106:107], v[86:87], off
.LBB135_15:                             ;   in Loop: Header=BB135_6 Depth=1
	s_andn2_b64 vcc, exec, s[42:43]
	v_mov_b32_e32 v102, 0
	v_mov_b32_e32 v108, 0
	v_mov_b32_e32 v109, 0
	s_cbranch_vccnz .LBB135_18
; %bb.16:                               ;   in Loop: Header=BB135_6 Depth=1
	s_load_dword s68, s[36:37], 0xc
	v_mov_b32_e32 v109, 0
	v_mov_b32_e32 v108, 0
	s_waitcnt lgkmcnt(0)
	s_mul_hi_u32 s69, s68, s16
	s_add_i32 s69, s68, s69
	s_lshr_b32 s69, s69, s17
	s_cmp_ge_i32 s69, s13
	s_cbranch_scc1 .LBB135_18
; %bb.17:                               ;   in Loop: Header=BB135_6 Depth=1
	s_mul_i32 vcc_lo, s69, s18
	s_sub_i32 s68, s68, vcc_lo
	s_mul_i32 s69, s69, s20
	s_mul_i32 s68, s68, s9
	v_add_u32_e32 v18, s69, v116
	v_lshl_add_u32 v86, v18, 1, s68
	v_ashrrev_i32_e32 v87, 31, v86
	v_lshl_add_u64 v[86:87], v[86:87], 2, s[6:7]
	global_load_dwordx2 v[108:109], v[86:87], off
.LBB135_18:                             ;   in Loop: Header=BB135_6 Depth=1
	s_andn2_b64 vcc, exec, s[44:45]
	v_mov_b32_e32 v103, 0
	s_cbranch_vccnz .LBB135_21
; %bb.19:                               ;   in Loop: Header=BB135_6 Depth=1
	s_load_dword s68, s[36:37], 0x10
	v_mov_b32_e32 v103, 0
	v_mov_b32_e32 v102, 0
	s_waitcnt lgkmcnt(0)
	s_mul_hi_u32 s69, s68, s16
	s_add_i32 s69, s68, s69
	s_lshr_b32 s69, s69, s17
	s_cmp_ge_i32 s69, s13
	s_cbranch_scc1 .LBB135_21
; %bb.20:                               ;   in Loop: Header=BB135_6 Depth=1
	s_mul_i32 vcc_lo, s69, s18
	s_sub_i32 s68, s68, vcc_lo
	s_mul_i32 s69, s69, s20
	s_mul_i32 s68, s68, s9
	v_add_u32_e32 v18, s69, v116
	v_lshl_add_u32 v86, v18, 1, s68
	v_ashrrev_i32_e32 v87, 31, v86
	v_lshl_add_u64 v[86:87], v[86:87], 2, s[6:7]
	global_load_dwordx2 v[102:103], v[86:87], off
.LBB135_21:                             ;   in Loop: Header=BB135_6 Depth=1
	;; [unrolled: 50-line block ×6, first 2 shown]
	s_andn2_b64 vcc, exec, s[62:63]
	v_mov_b32_e32 v88, 0
	v_mov_b32_e32 v89, 0
	s_cbranch_vccnz .LBB135_48
; %bb.46:                               ;   in Loop: Header=BB135_6 Depth=1
	s_load_dword s68, s[36:37], 0x34
	v_mov_b32_e32 v89, 0
	v_mov_b32_e32 v88, 0
	s_waitcnt lgkmcnt(0)
	s_mul_hi_u32 s69, s68, s16
	s_add_i32 s69, s68, s69
	s_lshr_b32 s69, s69, s17
	s_cmp_ge_i32 s69, s13
	s_cbranch_scc1 .LBB135_48
; %bb.47:                               ;   in Loop: Header=BB135_6 Depth=1
	s_mul_i32 vcc_lo, s69, s18
	s_sub_i32 s68, s68, vcc_lo
	s_mul_i32 s69, s69, s20
	s_mul_i32 s68, s68, s9
	v_add_u32_e32 v18, s69, v116
	v_lshl_add_u32 v88, v18, 1, s68
	v_ashrrev_i32_e32 v89, 31, v88
	v_lshl_add_u64 v[88:89], v[88:89], 2, s[6:7]
	global_load_dwordx2 v[88:89], v[88:89], off
.LBB135_48:                             ;   in Loop: Header=BB135_6 Depth=1
	s_waitcnt vmcnt(0)
	v_and_b32_e32 v18, 0x7f800000, v112
	v_cmp_ne_u32_e32 vcc, s90, v18
                                        ; implicit-def: $vgpr18
	s_and_saveexec_b64 s[68:69], vcc
	s_xor_b64 s[68:69], exec, s[68:69]
; %bb.49:                               ;   in Loop: Header=BB135_6 Depth=1
	v_bfe_u32 v18, v112, 16, 1
	v_add3_u32 v18, v112, v18, s91
; %bb.50:                               ;   in Loop: Header=BB135_6 Depth=1
	s_andn2_saveexec_b64 s[68:69], s[68:69]
; %bb.51:                               ;   in Loop: Header=BB135_6 Depth=1
	v_or_b32_e32 v18, 0x10000, v112
	v_cmp_eq_u32_sdwa vcc, v112, v19 src0_sel:WORD_0 src1_sel:DWORD
	s_nop 1
	v_cndmask_b32_e32 v18, v18, v112, vcc
; %bb.52:                               ;   in Loop: Header=BB135_6 Depth=1
	s_or_b64 exec, exec, s[68:69]
	v_and_b32_e32 v112, 0x7f800000, v113
	v_cmp_ne_u32_e32 vcc, s90, v112
                                        ; implicit-def: $vgpr112
	s_and_saveexec_b64 s[68:69], vcc
	s_xor_b64 s[68:69], exec, s[68:69]
; %bb.53:                               ;   in Loop: Header=BB135_6 Depth=1
	v_bfe_u32 v112, v113, 16, 1
	v_add3_u32 v112, v113, v112, s91
                                        ; implicit-def: $vgpr113
; %bb.54:                               ;   in Loop: Header=BB135_6 Depth=1
	s_andn2_saveexec_b64 s[68:69], s[68:69]
; %bb.55:                               ;   in Loop: Header=BB135_6 Depth=1
	v_or_b32_e32 v112, 0x10000, v113
	v_cmp_eq_u32_sdwa vcc, v113, v19 src0_sel:WORD_0 src1_sel:DWORD
	s_nop 1
	v_cndmask_b32_e32 v112, v112, v113, vcc
; %bb.56:                               ;   in Loop: Header=BB135_6 Depth=1
	s_or_b64 exec, exec, s[68:69]
	v_perm_b32 v18, v112, v18, s92
	ds_write_b32 v117, v18
	v_and_b32_e32 v18, 0x7f800000, v110
	v_cmp_ne_u32_e32 vcc, s90, v18
                                        ; implicit-def: $vgpr18
	s_and_saveexec_b64 s[68:69], vcc
	s_xor_b64 s[68:69], exec, s[68:69]
; %bb.57:                               ;   in Loop: Header=BB135_6 Depth=1
	v_bfe_u32 v18, v110, 16, 1
	v_add3_u32 v18, v110, v18, s91
; %bb.58:                               ;   in Loop: Header=BB135_6 Depth=1
	s_andn2_saveexec_b64 s[68:69], s[68:69]
; %bb.59:                               ;   in Loop: Header=BB135_6 Depth=1
	v_or_b32_e32 v18, 0x10000, v110
	v_cmp_eq_u32_sdwa vcc, v110, v19 src0_sel:WORD_0 src1_sel:DWORD
	s_nop 1
	v_cndmask_b32_e32 v18, v18, v110, vcc
; %bb.60:                               ;   in Loop: Header=BB135_6 Depth=1
	s_or_b64 exec, exec, s[68:69]
	v_and_b32_e32 v110, 0x7f800000, v111
	v_cmp_ne_u32_e32 vcc, s90, v110
                                        ; implicit-def: $vgpr110
	s_and_saveexec_b64 s[68:69], vcc
	s_xor_b64 s[68:69], exec, s[68:69]
; %bb.61:                               ;   in Loop: Header=BB135_6 Depth=1
	v_bfe_u32 v110, v111, 16, 1
	v_add3_u32 v110, v111, v110, s91
                                        ; implicit-def: $vgpr111
; %bb.62:                               ;   in Loop: Header=BB135_6 Depth=1
	s_andn2_saveexec_b64 s[68:69], s[68:69]
; %bb.63:                               ;   in Loop: Header=BB135_6 Depth=1
	v_or_b32_e32 v110, 0x10000, v111
	v_cmp_eq_u32_sdwa vcc, v111, v19 src0_sel:WORD_0 src1_sel:DWORD
	s_nop 1
	v_cndmask_b32_e32 v110, v110, v111, vcc
; %bb.64:                               ;   in Loop: Header=BB135_6 Depth=1
	s_or_b64 exec, exec, s[68:69]
	v_perm_b32 v18, v110, v18, s92
	ds_write_b32 v117, v18 offset:264
	v_and_b32_e32 v18, 0x7f800000, v106
	v_cmp_ne_u32_e32 vcc, s90, v18
                                        ; implicit-def: $vgpr18
	s_and_saveexec_b64 s[68:69], vcc
	s_xor_b64 s[68:69], exec, s[68:69]
; %bb.65:                               ;   in Loop: Header=BB135_6 Depth=1
	v_bfe_u32 v18, v106, 16, 1
	v_add3_u32 v18, v106, v18, s91
; %bb.66:                               ;   in Loop: Header=BB135_6 Depth=1
	s_andn2_saveexec_b64 s[68:69], s[68:69]
; %bb.67:                               ;   in Loop: Header=BB135_6 Depth=1
	v_or_b32_e32 v18, 0x10000, v106
	v_cmp_eq_u32_sdwa vcc, v106, v19 src0_sel:WORD_0 src1_sel:DWORD
	s_nop 1
	v_cndmask_b32_e32 v18, v18, v106, vcc
; %bb.68:                               ;   in Loop: Header=BB135_6 Depth=1
	s_or_b64 exec, exec, s[68:69]
	v_and_b32_e32 v106, 0x7f800000, v107
	v_cmp_ne_u32_e32 vcc, s90, v106
                                        ; implicit-def: $vgpr106
	s_and_saveexec_b64 s[68:69], vcc
	s_xor_b64 s[68:69], exec, s[68:69]
; %bb.69:                               ;   in Loop: Header=BB135_6 Depth=1
	v_bfe_u32 v106, v107, 16, 1
	v_add3_u32 v106, v107, v106, s91
                                        ; implicit-def: $vgpr107
; %bb.70:                               ;   in Loop: Header=BB135_6 Depth=1
	s_andn2_saveexec_b64 s[68:69], s[68:69]
; %bb.71:                               ;   in Loop: Header=BB135_6 Depth=1
	v_or_b32_e32 v106, 0x10000, v107
	v_cmp_eq_u32_sdwa vcc, v107, v19 src0_sel:WORD_0 src1_sel:DWORD
	s_nop 1
	v_cndmask_b32_e32 v106, v106, v107, vcc
; %bb.72:                               ;   in Loop: Header=BB135_6 Depth=1
	s_or_b64 exec, exec, s[68:69]
	v_perm_b32 v18, v106, v18, s92
	ds_write_b32 v117, v18 offset:528
	v_and_b32_e32 v18, 0x7f800000, v108
	v_cmp_ne_u32_e32 vcc, s90, v18
                                        ; implicit-def: $vgpr18
	s_and_saveexec_b64 s[68:69], vcc
	s_xor_b64 s[68:69], exec, s[68:69]
; %bb.73:                               ;   in Loop: Header=BB135_6 Depth=1
	v_bfe_u32 v18, v108, 16, 1
	v_add3_u32 v18, v108, v18, s91
; %bb.74:                               ;   in Loop: Header=BB135_6 Depth=1
	s_andn2_saveexec_b64 s[68:69], s[68:69]
; %bb.75:                               ;   in Loop: Header=BB135_6 Depth=1
	v_or_b32_e32 v18, 0x10000, v108
	v_cmp_eq_u32_sdwa vcc, v108, v19 src0_sel:WORD_0 src1_sel:DWORD
	s_nop 1
	v_cndmask_b32_e32 v18, v18, v108, vcc
; %bb.76:                               ;   in Loop: Header=BB135_6 Depth=1
	s_or_b64 exec, exec, s[68:69]
	v_and_b32_e32 v106, 0x7f800000, v109
	v_cmp_ne_u32_e32 vcc, s90, v106
                                        ; implicit-def: $vgpr106
	s_and_saveexec_b64 s[68:69], vcc
	s_xor_b64 s[68:69], exec, s[68:69]
; %bb.77:                               ;   in Loop: Header=BB135_6 Depth=1
	v_bfe_u32 v106, v109, 16, 1
	v_add3_u32 v106, v109, v106, s91
                                        ; implicit-def: $vgpr109
; %bb.78:                               ;   in Loop: Header=BB135_6 Depth=1
	s_andn2_saveexec_b64 s[68:69], s[68:69]
; %bb.79:                               ;   in Loop: Header=BB135_6 Depth=1
	v_or_b32_e32 v106, 0x10000, v109
	v_cmp_eq_u32_sdwa vcc, v109, v19 src0_sel:WORD_0 src1_sel:DWORD
	s_nop 1
	v_cndmask_b32_e32 v106, v106, v109, vcc
; %bb.80:                               ;   in Loop: Header=BB135_6 Depth=1
	s_or_b64 exec, exec, s[68:69]
	v_perm_b32 v18, v106, v18, s92
	ds_write_b32 v117, v18 offset:792
	v_and_b32_e32 v18, 0x7f800000, v102
	v_cmp_ne_u32_e32 vcc, s90, v18
                                        ; implicit-def: $vgpr18
	s_and_saveexec_b64 s[68:69], vcc
	s_xor_b64 s[68:69], exec, s[68:69]
; %bb.81:                               ;   in Loop: Header=BB135_6 Depth=1
	v_bfe_u32 v18, v102, 16, 1
	v_add3_u32 v18, v102, v18, s91
; %bb.82:                               ;   in Loop: Header=BB135_6 Depth=1
	s_andn2_saveexec_b64 s[68:69], s[68:69]
; %bb.83:                               ;   in Loop: Header=BB135_6 Depth=1
	v_or_b32_e32 v18, 0x10000, v102
	v_cmp_eq_u32_sdwa vcc, v102, v19 src0_sel:WORD_0 src1_sel:DWORD
	s_nop 1
	v_cndmask_b32_e32 v18, v18, v102, vcc
; %bb.84:                               ;   in Loop: Header=BB135_6 Depth=1
	s_or_b64 exec, exec, s[68:69]
	v_and_b32_e32 v102, 0x7f800000, v103
	v_cmp_ne_u32_e32 vcc, s90, v102
                                        ; implicit-def: $vgpr102
	s_and_saveexec_b64 s[68:69], vcc
	s_xor_b64 s[68:69], exec, s[68:69]
; %bb.85:                               ;   in Loop: Header=BB135_6 Depth=1
	v_bfe_u32 v102, v103, 16, 1
	v_add3_u32 v102, v103, v102, s91
                                        ; implicit-def: $vgpr103
; %bb.86:                               ;   in Loop: Header=BB135_6 Depth=1
	s_andn2_saveexec_b64 s[68:69], s[68:69]
; %bb.87:                               ;   in Loop: Header=BB135_6 Depth=1
	v_or_b32_e32 v102, 0x10000, v103
	v_cmp_eq_u32_sdwa vcc, v103, v19 src0_sel:WORD_0 src1_sel:DWORD
	s_nop 1
	v_cndmask_b32_e32 v102, v102, v103, vcc
; %bb.88:                               ;   in Loop: Header=BB135_6 Depth=1
	s_or_b64 exec, exec, s[68:69]
	v_perm_b32 v18, v102, v18, s92
	ds_write_b32 v117, v18 offset:1056
	v_and_b32_e32 v18, 0x7f800000, v104
	v_cmp_ne_u32_e32 vcc, s90, v18
                                        ; implicit-def: $vgpr18
	s_and_saveexec_b64 s[68:69], vcc
	s_xor_b64 s[68:69], exec, s[68:69]
; %bb.89:                               ;   in Loop: Header=BB135_6 Depth=1
	v_bfe_u32 v18, v104, 16, 1
	v_add3_u32 v18, v104, v18, s91
; %bb.90:                               ;   in Loop: Header=BB135_6 Depth=1
	s_andn2_saveexec_b64 s[68:69], s[68:69]
; %bb.91:                               ;   in Loop: Header=BB135_6 Depth=1
	v_or_b32_e32 v18, 0x10000, v104
	v_cmp_eq_u32_sdwa vcc, v104, v19 src0_sel:WORD_0 src1_sel:DWORD
	s_nop 1
	v_cndmask_b32_e32 v18, v18, v104, vcc
; %bb.92:                               ;   in Loop: Header=BB135_6 Depth=1
	s_or_b64 exec, exec, s[68:69]
	v_and_b32_e32 v102, 0x7f800000, v105
	v_cmp_ne_u32_e32 vcc, s90, v102
                                        ; implicit-def: $vgpr102
	s_and_saveexec_b64 s[68:69], vcc
	s_xor_b64 s[68:69], exec, s[68:69]
; %bb.93:                               ;   in Loop: Header=BB135_6 Depth=1
	v_bfe_u32 v102, v105, 16, 1
	v_add3_u32 v102, v105, v102, s91
                                        ; implicit-def: $vgpr105
; %bb.94:                               ;   in Loop: Header=BB135_6 Depth=1
	s_andn2_saveexec_b64 s[68:69], s[68:69]
; %bb.95:                               ;   in Loop: Header=BB135_6 Depth=1
	v_or_b32_e32 v102, 0x10000, v105
	v_cmp_eq_u32_sdwa vcc, v105, v19 src0_sel:WORD_0 src1_sel:DWORD
	s_nop 1
	v_cndmask_b32_e32 v102, v102, v105, vcc
; %bb.96:                               ;   in Loop: Header=BB135_6 Depth=1
	s_or_b64 exec, exec, s[68:69]
	v_perm_b32 v18, v102, v18, s92
	ds_write_b32 v117, v18 offset:1320
	v_and_b32_e32 v18, 0x7f800000, v98
	v_cmp_ne_u32_e32 vcc, s90, v18
                                        ; implicit-def: $vgpr18
	s_and_saveexec_b64 s[68:69], vcc
	s_xor_b64 s[68:69], exec, s[68:69]
; %bb.97:                               ;   in Loop: Header=BB135_6 Depth=1
	v_bfe_u32 v18, v98, 16, 1
	v_add3_u32 v18, v98, v18, s91
; %bb.98:                               ;   in Loop: Header=BB135_6 Depth=1
	s_andn2_saveexec_b64 s[68:69], s[68:69]
; %bb.99:                               ;   in Loop: Header=BB135_6 Depth=1
	v_or_b32_e32 v18, 0x10000, v98
	v_cmp_eq_u32_sdwa vcc, v98, v19 src0_sel:WORD_0 src1_sel:DWORD
	s_nop 1
	v_cndmask_b32_e32 v18, v18, v98, vcc
; %bb.100:                              ;   in Loop: Header=BB135_6 Depth=1
	s_or_b64 exec, exec, s[68:69]
	v_and_b32_e32 v98, 0x7f800000, v99
	v_cmp_ne_u32_e32 vcc, s90, v98
                                        ; implicit-def: $vgpr98
	s_and_saveexec_b64 s[68:69], vcc
	s_xor_b64 s[68:69], exec, s[68:69]
; %bb.101:                              ;   in Loop: Header=BB135_6 Depth=1
	v_bfe_u32 v98, v99, 16, 1
	v_add3_u32 v98, v99, v98, s91
                                        ; implicit-def: $vgpr99
; %bb.102:                              ;   in Loop: Header=BB135_6 Depth=1
	s_andn2_saveexec_b64 s[68:69], s[68:69]
; %bb.103:                              ;   in Loop: Header=BB135_6 Depth=1
	v_or_b32_e32 v98, 0x10000, v99
	v_cmp_eq_u32_sdwa vcc, v99, v19 src0_sel:WORD_0 src1_sel:DWORD
	s_nop 1
	v_cndmask_b32_e32 v98, v98, v99, vcc
; %bb.104:                              ;   in Loop: Header=BB135_6 Depth=1
	s_or_b64 exec, exec, s[68:69]
	v_perm_b32 v18, v98, v18, s92
	ds_write_b32 v117, v18 offset:1584
	v_and_b32_e32 v18, 0x7f800000, v100
	v_cmp_ne_u32_e32 vcc, s90, v18
                                        ; implicit-def: $vgpr18
	s_and_saveexec_b64 s[68:69], vcc
	s_xor_b64 s[68:69], exec, s[68:69]
; %bb.105:                              ;   in Loop: Header=BB135_6 Depth=1
	v_bfe_u32 v18, v100, 16, 1
	v_add3_u32 v18, v100, v18, s91
; %bb.106:                              ;   in Loop: Header=BB135_6 Depth=1
	s_andn2_saveexec_b64 s[68:69], s[68:69]
; %bb.107:                              ;   in Loop: Header=BB135_6 Depth=1
	v_or_b32_e32 v18, 0x10000, v100
	v_cmp_eq_u32_sdwa vcc, v100, v19 src0_sel:WORD_0 src1_sel:DWORD
	s_nop 1
	v_cndmask_b32_e32 v18, v18, v100, vcc
; %bb.108:                              ;   in Loop: Header=BB135_6 Depth=1
	s_or_b64 exec, exec, s[68:69]
	v_and_b32_e32 v98, 0x7f800000, v101
	v_cmp_ne_u32_e32 vcc, s90, v98
                                        ; implicit-def: $vgpr98
	s_and_saveexec_b64 s[68:69], vcc
	s_xor_b64 s[68:69], exec, s[68:69]
; %bb.109:                              ;   in Loop: Header=BB135_6 Depth=1
	v_bfe_u32 v98, v101, 16, 1
	v_add3_u32 v98, v101, v98, s91
                                        ; implicit-def: $vgpr101
; %bb.110:                              ;   in Loop: Header=BB135_6 Depth=1
	s_andn2_saveexec_b64 s[68:69], s[68:69]
; %bb.111:                              ;   in Loop: Header=BB135_6 Depth=1
	v_or_b32_e32 v98, 0x10000, v101
	v_cmp_eq_u32_sdwa vcc, v101, v19 src0_sel:WORD_0 src1_sel:DWORD
	s_nop 1
	v_cndmask_b32_e32 v98, v98, v101, vcc
; %bb.112:                              ;   in Loop: Header=BB135_6 Depth=1
	s_or_b64 exec, exec, s[68:69]
	v_perm_b32 v18, v98, v18, s92
	ds_write_b32 v117, v18 offset:1848
	v_and_b32_e32 v18, 0x7f800000, v94
	v_cmp_ne_u32_e32 vcc, s90, v18
                                        ; implicit-def: $vgpr18
	s_and_saveexec_b64 s[68:69], vcc
	s_xor_b64 s[68:69], exec, s[68:69]
; %bb.113:                              ;   in Loop: Header=BB135_6 Depth=1
	v_bfe_u32 v18, v94, 16, 1
	v_add3_u32 v18, v94, v18, s91
; %bb.114:                              ;   in Loop: Header=BB135_6 Depth=1
	s_andn2_saveexec_b64 s[68:69], s[68:69]
; %bb.115:                              ;   in Loop: Header=BB135_6 Depth=1
	v_or_b32_e32 v18, 0x10000, v94
	v_cmp_eq_u32_sdwa vcc, v94, v19 src0_sel:WORD_0 src1_sel:DWORD
	s_nop 1
	v_cndmask_b32_e32 v18, v18, v94, vcc
; %bb.116:                              ;   in Loop: Header=BB135_6 Depth=1
	s_or_b64 exec, exec, s[68:69]
	v_and_b32_e32 v94, 0x7f800000, v95
	v_cmp_ne_u32_e32 vcc, s90, v94
                                        ; implicit-def: $vgpr94
	s_and_saveexec_b64 s[68:69], vcc
	s_xor_b64 s[68:69], exec, s[68:69]
; %bb.117:                              ;   in Loop: Header=BB135_6 Depth=1
	v_bfe_u32 v94, v95, 16, 1
	v_add3_u32 v94, v95, v94, s91
                                        ; implicit-def: $vgpr95
; %bb.118:                              ;   in Loop: Header=BB135_6 Depth=1
	s_andn2_saveexec_b64 s[68:69], s[68:69]
; %bb.119:                              ;   in Loop: Header=BB135_6 Depth=1
	v_or_b32_e32 v94, 0x10000, v95
	v_cmp_eq_u32_sdwa vcc, v95, v19 src0_sel:WORD_0 src1_sel:DWORD
	s_nop 1
	v_cndmask_b32_e32 v94, v94, v95, vcc
; %bb.120:                              ;   in Loop: Header=BB135_6 Depth=1
	s_or_b64 exec, exec, s[68:69]
	v_perm_b32 v18, v94, v18, s92
	ds_write_b32 v117, v18 offset:2112
	v_and_b32_e32 v18, 0x7f800000, v96
	v_cmp_ne_u32_e32 vcc, s90, v18
                                        ; implicit-def: $vgpr18
	s_and_saveexec_b64 s[68:69], vcc
	s_xor_b64 s[68:69], exec, s[68:69]
; %bb.121:                              ;   in Loop: Header=BB135_6 Depth=1
	v_bfe_u32 v18, v96, 16, 1
	v_add3_u32 v18, v96, v18, s91
; %bb.122:                              ;   in Loop: Header=BB135_6 Depth=1
	s_andn2_saveexec_b64 s[68:69], s[68:69]
; %bb.123:                              ;   in Loop: Header=BB135_6 Depth=1
	v_or_b32_e32 v18, 0x10000, v96
	v_cmp_eq_u32_sdwa vcc, v96, v19 src0_sel:WORD_0 src1_sel:DWORD
	s_nop 1
	v_cndmask_b32_e32 v18, v18, v96, vcc
; %bb.124:                              ;   in Loop: Header=BB135_6 Depth=1
	s_or_b64 exec, exec, s[68:69]
	v_and_b32_e32 v94, 0x7f800000, v97
	v_cmp_ne_u32_e32 vcc, s90, v94
                                        ; implicit-def: $vgpr94
	s_and_saveexec_b64 s[68:69], vcc
	s_xor_b64 s[68:69], exec, s[68:69]
; %bb.125:                              ;   in Loop: Header=BB135_6 Depth=1
	v_bfe_u32 v94, v97, 16, 1
	v_add3_u32 v94, v97, v94, s91
                                        ; implicit-def: $vgpr97
; %bb.126:                              ;   in Loop: Header=BB135_6 Depth=1
	s_andn2_saveexec_b64 s[68:69], s[68:69]
; %bb.127:                              ;   in Loop: Header=BB135_6 Depth=1
	v_or_b32_e32 v94, 0x10000, v97
	v_cmp_eq_u32_sdwa vcc, v97, v19 src0_sel:WORD_0 src1_sel:DWORD
	s_nop 1
	v_cndmask_b32_e32 v94, v94, v97, vcc
; %bb.128:                              ;   in Loop: Header=BB135_6 Depth=1
	s_or_b64 exec, exec, s[68:69]
	v_perm_b32 v18, v94, v18, s92
	ds_write_b32 v117, v18 offset:2376
	v_and_b32_e32 v18, 0x7f800000, v90
	v_cmp_ne_u32_e32 vcc, s90, v18
                                        ; implicit-def: $vgpr18
	s_and_saveexec_b64 s[68:69], vcc
	s_xor_b64 s[68:69], exec, s[68:69]
; %bb.129:                              ;   in Loop: Header=BB135_6 Depth=1
	v_bfe_u32 v18, v90, 16, 1
	v_add3_u32 v18, v90, v18, s91
; %bb.130:                              ;   in Loop: Header=BB135_6 Depth=1
	s_andn2_saveexec_b64 s[68:69], s[68:69]
; %bb.131:                              ;   in Loop: Header=BB135_6 Depth=1
	v_or_b32_e32 v18, 0x10000, v90
	v_cmp_eq_u32_sdwa vcc, v90, v19 src0_sel:WORD_0 src1_sel:DWORD
	s_nop 1
	v_cndmask_b32_e32 v18, v18, v90, vcc
; %bb.132:                              ;   in Loop: Header=BB135_6 Depth=1
	s_or_b64 exec, exec, s[68:69]
	v_and_b32_e32 v90, 0x7f800000, v91
	v_cmp_ne_u32_e32 vcc, s90, v90
                                        ; implicit-def: $vgpr90
	s_and_saveexec_b64 s[68:69], vcc
	s_xor_b64 s[68:69], exec, s[68:69]
; %bb.133:                              ;   in Loop: Header=BB135_6 Depth=1
	v_bfe_u32 v90, v91, 16, 1
	v_add3_u32 v90, v91, v90, s91
                                        ; implicit-def: $vgpr91
; %bb.134:                              ;   in Loop: Header=BB135_6 Depth=1
	s_andn2_saveexec_b64 s[68:69], s[68:69]
; %bb.135:                              ;   in Loop: Header=BB135_6 Depth=1
	v_or_b32_e32 v90, 0x10000, v91
	v_cmp_eq_u32_sdwa vcc, v91, v19 src0_sel:WORD_0 src1_sel:DWORD
	s_nop 1
	v_cndmask_b32_e32 v90, v90, v91, vcc
; %bb.136:                              ;   in Loop: Header=BB135_6 Depth=1
	s_or_b64 exec, exec, s[68:69]
	v_perm_b32 v18, v90, v18, s92
	ds_write_b32 v117, v18 offset:2640
	v_and_b32_e32 v18, 0x7f800000, v92
	v_cmp_ne_u32_e32 vcc, s90, v18
                                        ; implicit-def: $vgpr18
	s_and_saveexec_b64 s[68:69], vcc
	s_xor_b64 s[68:69], exec, s[68:69]
; %bb.137:                              ;   in Loop: Header=BB135_6 Depth=1
	v_bfe_u32 v18, v92, 16, 1
	v_add3_u32 v18, v92, v18, s91
; %bb.138:                              ;   in Loop: Header=BB135_6 Depth=1
	s_andn2_saveexec_b64 s[68:69], s[68:69]
; %bb.139:                              ;   in Loop: Header=BB135_6 Depth=1
	v_or_b32_e32 v18, 0x10000, v92
	v_cmp_eq_u32_sdwa vcc, v92, v19 src0_sel:WORD_0 src1_sel:DWORD
	s_nop 1
	v_cndmask_b32_e32 v18, v18, v92, vcc
; %bb.140:                              ;   in Loop: Header=BB135_6 Depth=1
	s_or_b64 exec, exec, s[68:69]
	v_and_b32_e32 v90, 0x7f800000, v93
	v_cmp_ne_u32_e32 vcc, s90, v90
                                        ; implicit-def: $vgpr90
	s_and_saveexec_b64 s[68:69], vcc
	s_xor_b64 s[68:69], exec, s[68:69]
; %bb.141:                              ;   in Loop: Header=BB135_6 Depth=1
	v_bfe_u32 v90, v93, 16, 1
	v_add3_u32 v90, v93, v90, s91
                                        ; implicit-def: $vgpr93
; %bb.142:                              ;   in Loop: Header=BB135_6 Depth=1
	s_andn2_saveexec_b64 s[68:69], s[68:69]
; %bb.143:                              ;   in Loop: Header=BB135_6 Depth=1
	v_or_b32_e32 v90, 0x10000, v93
	v_cmp_eq_u32_sdwa vcc, v93, v19 src0_sel:WORD_0 src1_sel:DWORD
	s_nop 1
	v_cndmask_b32_e32 v90, v90, v93, vcc
; %bb.144:                              ;   in Loop: Header=BB135_6 Depth=1
	s_or_b64 exec, exec, s[68:69]
	v_perm_b32 v18, v90, v18, s92
	ds_write_b32 v117, v18 offset:2904
	v_and_b32_e32 v18, 0x7f800000, v86
	v_cmp_ne_u32_e32 vcc, s90, v18
                                        ; implicit-def: $vgpr18
	s_and_saveexec_b64 s[68:69], vcc
	s_xor_b64 s[68:69], exec, s[68:69]
; %bb.145:                              ;   in Loop: Header=BB135_6 Depth=1
	v_bfe_u32 v18, v86, 16, 1
	v_add3_u32 v18, v86, v18, s91
; %bb.146:                              ;   in Loop: Header=BB135_6 Depth=1
	s_andn2_saveexec_b64 s[68:69], s[68:69]
; %bb.147:                              ;   in Loop: Header=BB135_6 Depth=1
	v_or_b32_e32 v18, 0x10000, v86
	v_cmp_eq_u32_sdwa vcc, v86, v19 src0_sel:WORD_0 src1_sel:DWORD
	s_nop 1
	v_cndmask_b32_e32 v18, v18, v86, vcc
; %bb.148:                              ;   in Loop: Header=BB135_6 Depth=1
	s_or_b64 exec, exec, s[68:69]
	v_and_b32_e32 v86, 0x7f800000, v87
	v_cmp_ne_u32_e32 vcc, s90, v86
                                        ; implicit-def: $vgpr86
	s_and_saveexec_b64 s[68:69], vcc
	s_xor_b64 s[68:69], exec, s[68:69]
; %bb.149:                              ;   in Loop: Header=BB135_6 Depth=1
	v_bfe_u32 v86, v87, 16, 1
	v_add3_u32 v86, v87, v86, s91
                                        ; implicit-def: $vgpr87
; %bb.150:                              ;   in Loop: Header=BB135_6 Depth=1
	s_andn2_saveexec_b64 s[68:69], s[68:69]
; %bb.151:                              ;   in Loop: Header=BB135_6 Depth=1
	v_or_b32_e32 v86, 0x10000, v87
	v_cmp_eq_u32_sdwa vcc, v87, v19 src0_sel:WORD_0 src1_sel:DWORD
	s_nop 1
	v_cndmask_b32_e32 v86, v86, v87, vcc
; %bb.152:                              ;   in Loop: Header=BB135_6 Depth=1
	s_or_b64 exec, exec, s[68:69]
	v_perm_b32 v18, v86, v18, s92
	ds_write_b32 v117, v18 offset:3168
	v_and_b32_e32 v18, 0x7f800000, v88
	v_cmp_ne_u32_e32 vcc, s90, v18
                                        ; implicit-def: $vgpr18
	s_and_saveexec_b64 s[68:69], vcc
	s_xor_b64 s[68:69], exec, s[68:69]
; %bb.153:                              ;   in Loop: Header=BB135_6 Depth=1
	v_bfe_u32 v18, v88, 16, 1
	v_add3_u32 v18, v88, v18, s91
; %bb.154:                              ;   in Loop: Header=BB135_6 Depth=1
	s_andn2_saveexec_b64 s[68:69], s[68:69]
; %bb.155:                              ;   in Loop: Header=BB135_6 Depth=1
	v_or_b32_e32 v18, 0x10000, v88
	v_cmp_eq_u32_sdwa vcc, v88, v19 src0_sel:WORD_0 src1_sel:DWORD
	s_nop 1
	v_cndmask_b32_e32 v18, v18, v88, vcc
; %bb.156:                              ;   in Loop: Header=BB135_6 Depth=1
	s_or_b64 exec, exec, s[68:69]
	v_and_b32_e32 v86, 0x7f800000, v89
	v_cmp_ne_u32_e32 vcc, s90, v86
                                        ; implicit-def: $vgpr86
	s_and_saveexec_b64 s[68:69], vcc
	s_xor_b64 s[68:69], exec, s[68:69]
; %bb.157:                              ;   in Loop: Header=BB135_6 Depth=1
	v_bfe_u32 v86, v89, 16, 1
	v_add3_u32 v86, v89, v86, s91
                                        ; implicit-def: $vgpr89
; %bb.158:                              ;   in Loop: Header=BB135_6 Depth=1
	s_andn2_saveexec_b64 s[68:69], s[68:69]
	s_cbranch_execz .LBB135_5
; %bb.159:                              ;   in Loop: Header=BB135_6 Depth=1
	v_or_b32_e32 v86, 0x10000, v89
	v_cmp_eq_u32_sdwa vcc, v89, v19 src0_sel:WORD_0 src1_sel:DWORD
	s_nop 1
	v_cndmask_b32_e32 v86, v86, v89, vcc
	s_branch .LBB135_5
.LBB135_160:
	s_or_b64 exec, exec, s[4:5]
	v_readlane_b32 s24, v119, 6
	v_readlane_b32 s26, v119, 9
	;; [unrolled: 1-line block ×5, first 2 shown]
.LBB135_161:
	v_readlane_b32 s0, v119, 4
	v_readlane_b32 s1, v119, 5
	s_or_b64 exec, exec, s[0:1]
	v_mul_u32_u24_e32 v18, 0x508, v115
	v_lshlrev_b32_e32 v19, 2, v114
	v_add3_u32 v18, 0, v18, v19
	v_and_b32_e32 v19, 0x3f0, v17
	v_add_u32_e32 v19, v18, v19
	s_lshl_b64 s[0:1], s[26:27], 2
	v_readlane_b32 s4, v119, 0
	s_barrier
	ds_write2_b32 v19, v8, v9 offset1:1
	ds_write_b32 v19, v10 offset:8
	v_or_b32_e32 v8, 12, v17
	v_readlane_b32 s5, v119, 1
	s_add_u32 s4, s4, s0
	v_and_b32_e32 v8, 0x3fc, v8
	s_addc_u32 s5, s5, s1
	v_add_u32_e32 v8, v18, v8
	ds_write_b32 v8, v11
	ds_write2_b32 v19, v4, v5 offset0:16 offset1:17
	ds_write_b32 v19, v6 offset:72
	ds_write_b32 v8, v7 offset:64
	ds_write2_b32 v19, v0, v1 offset0:32 offset1:33
	ds_write_b32 v19, v2 offset:136
	ds_write_b32 v8, v3 offset:128
	;; [unrolled: 3-line block ×3, first 2 shown]
	s_cmp_gt_i32 s14, 0
	v_add_u32_e32 v0, s2, v16
	s_cselect_b64 s[6:7], -1, 0
	v_cmp_gt_i32_e64 s[0:1], s33, v0
	v_cmp_gt_u32_e32 vcc, 14, v16
	s_and_b64 s[0:1], s[6:7], s[0:1]
	v_lshl_add_u32 v3, v17, 2, 0
	v_add_u32_e32 v2, s11, v17
	v_mul_u32_u24_e32 v4, 0x508, v16
	s_and_b64 s[8:9], vcc, s[0:1]
	s_waitcnt lgkmcnt(0)
	s_barrier
	s_and_saveexec_b64 s[0:1], s[8:9]
	s_cbranch_execz .LBB135_164
; %bb.162:
	v_ashrrev_i32_e32 v1, 31, v0
	v_lshl_add_u64 v[6:7], v[0:1], 2, s[4:5]
	global_load_dword v5, v[6:7], off
	s_waitcnt vmcnt(0)
	v_mul_hi_u32 v1, v5, s19
	v_add_u32_e32 v1, v5, v1
	v_lshrrev_b32_e32 v1, s24, v1
	v_cmp_gt_i32_e32 vcc, s13, v1
	s_and_b64 exec, exec, vcc
	s_cbranch_execz .LBB135_164
; %bb.163:
	v_add_u32_e32 v10, v3, v4
	ds_read2st64_b32 v[6:7], v10 offset1:1
	ds_read2st64_b32 v[8:9], v10 offset0:2 offset1:3
	ds_read_b32 v10, v10 offset:1024
	v_mul_lo_u32 v11, v1, s25
	v_sub_u32_e32 v5, v5, v11
	v_mul_lo_u32 v5, v5, s10
	s_waitcnt lgkmcnt(2)
	v_add_f32_e32 v6, 0, v6
	v_add_f32_e32 v6, v6, v7
	s_waitcnt lgkmcnt(1)
	v_add_f32_e32 v6, v6, v8
	v_add_f32_e32 v6, v6, v9
	v_mul_lo_u32 v1, v1, s21
	v_readlane_b32 s8, v119, 2
	s_waitcnt lgkmcnt(0)
	v_add_f32_e32 v8, v6, v10
	v_add3_u32 v6, v2, v1, v5
	v_mov_b32_e32 v7, 0
	v_readlane_b32 s9, v119, 3
	s_nop 1
	v_lshl_add_u64 v[6:7], v[6:7], 2, s[8:9]
	global_store_dword v[6:7], v8, off
.LBB135_164:
	s_or_b64 exec, exec, s[0:1]
	v_add_u32_e32 v1, 5, v0
	v_cmp_gt_i32_e64 s[0:1], s33, v1
	v_cmp_gt_u32_e32 vcc, 9, v16
	s_and_b64 s[0:1], s[6:7], s[0:1]
	s_and_b64 s[8:9], vcc, s[0:1]
	s_and_saveexec_b64 s[0:1], s[8:9]
	s_cbranch_execz .LBB135_167
; %bb.165:
	s_ashr_i32 s3, s2, 31
	v_mov_b32_e32 v17, 0
	v_lshl_add_u64 v[6:7], v[16:17], 0, s[2:3]
	v_lshl_add_u64 v[6:7], v[6:7], 2, s[4:5]
	global_load_dword v5, v[6:7], off offset:20
	s_waitcnt vmcnt(0)
	v_mul_hi_u32 v1, v5, s19
	v_add_u32_e32 v1, v5, v1
	v_lshrrev_b32_e32 v1, s24, v1
	v_cmp_gt_i32_e32 vcc, s13, v1
	s_and_b64 exec, exec, vcc
	s_cbranch_execz .LBB135_167
; %bb.166:
	v_add_u32_e32 v10, v4, v3
	v_add_u32_e32 v8, 40, v10
	ds_read2st64_b32 v[6:7], v8 offset0:25 offset1:26
	ds_read2st64_b32 v[8:9], v8 offset0:27 offset1:28
	ds_read_b32 v10, v10 offset:7464
	v_mul_lo_u32 v11, v1, s25
	v_sub_u32_e32 v5, v5, v11
	v_mul_lo_u32 v5, v5, s10
	s_waitcnt lgkmcnt(2)
	v_add_f32_e32 v6, 0, v6
	v_add_f32_e32 v6, v6, v7
	s_waitcnt lgkmcnt(1)
	v_add_f32_e32 v6, v6, v8
	v_add_f32_e32 v6, v6, v9
	v_mul_lo_u32 v1, v1, s21
	v_readlane_b32 s8, v119, 2
	s_waitcnt lgkmcnt(0)
	v_add_f32_e32 v8, v6, v10
	v_add3_u32 v6, v2, v1, v5
	v_mov_b32_e32 v7, v17
	v_readlane_b32 s9, v119, 3
	s_nop 1
	v_lshl_add_u64 v[6:7], v[6:7], 2, s[8:9]
	global_store_dword v[6:7], v8, off
.LBB135_167:
	s_or_b64 exec, exec, s[0:1]
	v_cmp_gt_u32_e32 vcc, 4, v16
	s_and_saveexec_b64 s[0:1], vcc
	s_cbranch_execz .LBB135_171
; %bb.168:
	v_add_u32_e32 v0, 10, v0
	v_cmp_gt_i32_e32 vcc, s33, v0
	s_and_b64 s[0:1], s[6:7], vcc
	s_and_b64 exec, exec, s[0:1]
	s_cbranch_execz .LBB135_171
; %bb.169:
	s_ashr_i32 s3, s2, 31
	v_mov_b32_e32 v17, 0
	v_lshl_add_u64 v[0:1], v[16:17], 0, s[2:3]
	v_lshl_add_u64 v[0:1], v[0:1], 2, s[4:5]
	global_load_dword v1, v[0:1], off offset:40
	s_waitcnt vmcnt(0)
	v_mul_hi_u32 v0, v1, s19
	v_add_u32_e32 v0, v1, v0
	v_lshrrev_b32_e32 v0, s24, v0
	v_cmp_gt_i32_e32 vcc, s13, v0
	s_and_b64 exec, exec, vcc
	s_cbranch_execz .LBB135_171
; %bb.170:
	v_add_u32_e32 v3, v3, v4
	v_add_u32_e32 v6, 0x50, v3
	ds_read2st64_b32 v[4:5], v6 offset0:50 offset1:51
	ds_read2st64_b32 v[6:7], v6 offset0:52 offset1:53
	ds_read_b32 v3, v3 offset:13904
	v_mul_lo_u32 v8, v0, s25
	v_sub_u32_e32 v1, v1, v8
	v_mul_lo_u32 v1, v1, s10
	s_waitcnt lgkmcnt(2)
	v_add_f32_e32 v4, 0, v4
	v_add_f32_e32 v4, v4, v5
	s_waitcnt lgkmcnt(1)
	v_add_f32_e32 v4, v4, v6
	v_mul_lo_u32 v0, v0, s21
	v_readlane_b32 s0, v119, 2
	v_add_f32_e32 v4, v4, v7
	v_add3_u32 v16, v2, v0, v1
	v_readlane_b32 s1, v119, 3
	s_waitcnt lgkmcnt(0)
	v_add_f32_e32 v3, v4, v3
	v_lshl_add_u64 v[0:1], v[16:17], 2, s[0:1]
	global_store_dword v[0:1], v3, off
.LBB135_171:
	s_endpgm
	.section	.rodata,"a",@progbits
	.p2align	6, 0x0
	.amdhsa_kernel _ZL13mul_mat_f_idsI15__hip_bfloat162Li64ELi14ELi5EEvPKT_PKfPKiS7_S7_Pfiiiiiiiiiiiiii15HIP_vector_typeIjLj3EESA_
		.amdhsa_group_segment_fixed_size 0
		.amdhsa_private_segment_fixed_size 0
		.amdhsa_kernarg_size 128
		.amdhsa_user_sgpr_count 2
		.amdhsa_user_sgpr_dispatch_ptr 0
		.amdhsa_user_sgpr_queue_ptr 0
		.amdhsa_user_sgpr_kernarg_segment_ptr 1
		.amdhsa_user_sgpr_dispatch_id 0
		.amdhsa_user_sgpr_kernarg_preload_length 0
		.amdhsa_user_sgpr_kernarg_preload_offset 0
		.amdhsa_user_sgpr_private_segment_size 0
		.amdhsa_uses_dynamic_stack 0
		.amdhsa_enable_private_segment 0
		.amdhsa_system_sgpr_workgroup_id_x 1
		.amdhsa_system_sgpr_workgroup_id_y 1
		.amdhsa_system_sgpr_workgroup_id_z 1
		.amdhsa_system_sgpr_workgroup_info 0
		.amdhsa_system_vgpr_workitem_id 1
		.amdhsa_next_free_vgpr 120
		.amdhsa_next_free_sgpr 100
		.amdhsa_accum_offset 120
		.amdhsa_reserve_vcc 1
		.amdhsa_float_round_mode_32 0
		.amdhsa_float_round_mode_16_64 0
		.amdhsa_float_denorm_mode_32 3
		.amdhsa_float_denorm_mode_16_64 3
		.amdhsa_dx10_clamp 1
		.amdhsa_ieee_mode 1
		.amdhsa_fp16_overflow 0
		.amdhsa_tg_split 0
		.amdhsa_exception_fp_ieee_invalid_op 0
		.amdhsa_exception_fp_denorm_src 0
		.amdhsa_exception_fp_ieee_div_zero 0
		.amdhsa_exception_fp_ieee_overflow 0
		.amdhsa_exception_fp_ieee_underflow 0
		.amdhsa_exception_fp_ieee_inexact 0
		.amdhsa_exception_int_div_zero 0
	.end_amdhsa_kernel
	.section	.text._ZL13mul_mat_f_idsI15__hip_bfloat162Li64ELi14ELi5EEvPKT_PKfPKiS7_S7_Pfiiiiiiiiiiiiii15HIP_vector_typeIjLj3EESA_,"axG",@progbits,_ZL13mul_mat_f_idsI15__hip_bfloat162Li64ELi14ELi5EEvPKT_PKfPKiS7_S7_Pfiiiiiiiiiiiiii15HIP_vector_typeIjLj3EESA_,comdat
.Lfunc_end135:
	.size	_ZL13mul_mat_f_idsI15__hip_bfloat162Li64ELi14ELi5EEvPKT_PKfPKiS7_S7_Pfiiiiiiiiiiiiii15HIP_vector_typeIjLj3EESA_, .Lfunc_end135-_ZL13mul_mat_f_idsI15__hip_bfloat162Li64ELi14ELi5EEvPKT_PKfPKiS7_S7_Pfiiiiiiiiiiiiii15HIP_vector_typeIjLj3EESA_
                                        ; -- End function
	.section	.AMDGPU.csdata,"",@progbits
; Kernel info:
; codeLenInByte = 8884
; NumSgprs: 106
; NumVgprs: 120
; NumAgprs: 0
; TotalNumVgprs: 120
; ScratchSize: 0
; MemoryBound: 0
; FloatMode: 240
; IeeeMode: 1
; LDSByteSize: 0 bytes/workgroup (compile time only)
; SGPRBlocks: 13
; VGPRBlocks: 14
; NumSGPRsForWavesPerEU: 106
; NumVGPRsForWavesPerEU: 120
; AccumOffset: 120
; Occupancy: 4
; WaveLimiterHint : 1
; COMPUTE_PGM_RSRC2:SCRATCH_EN: 0
; COMPUTE_PGM_RSRC2:USER_SGPR: 2
; COMPUTE_PGM_RSRC2:TRAP_HANDLER: 0
; COMPUTE_PGM_RSRC2:TGID_X_EN: 1
; COMPUTE_PGM_RSRC2:TGID_Y_EN: 1
; COMPUTE_PGM_RSRC2:TGID_Z_EN: 1
; COMPUTE_PGM_RSRC2:TIDIG_COMP_CNT: 1
; COMPUTE_PGM_RSRC3_GFX90A:ACCUM_OFFSET: 29
; COMPUTE_PGM_RSRC3_GFX90A:TG_SPLIT: 0
	.section	.text._ZL9mul_mat_fI15__hip_bfloat162Li64ELi14ELi5ELb1EEvPKT_PKfPKiPfiiiiiiiiiiiiiiii,"axG",@progbits,_ZL9mul_mat_fI15__hip_bfloat162Li64ELi14ELi5ELb1EEvPKT_PKfPKiPfiiiiiiiiiiiiiiii,comdat
	.globl	_ZL9mul_mat_fI15__hip_bfloat162Li64ELi14ELi5ELb1EEvPKT_PKfPKiPfiiiiiiiiiiiiiiii ; -- Begin function _ZL9mul_mat_fI15__hip_bfloat162Li64ELi14ELi5ELb1EEvPKT_PKfPKiPfiiiiiiiiiiiiiiii
	.p2align	8
	.type	_ZL9mul_mat_fI15__hip_bfloat162Li64ELi14ELi5ELb1EEvPKT_PKfPKiPfiiiiiiiiiiiiiiii,@function
_ZL9mul_mat_fI15__hip_bfloat162Li64ELi14ELi5ELb1EEvPKT_PKfPKiPfiiiiiiiiiiiiiiii: ; @_ZL9mul_mat_fI15__hip_bfloat162Li64ELi14ELi5ELb1EEvPKT_PKfPKiPfiiiiiiiiiiiiiiii
; %bb.0:
	s_load_dwordx8 s[44:51], s[0:1], 0x20
	s_load_dword s7, s[0:1], 0x64
	s_load_dwordx4 s[52:55], s[0:1], 0x44
	s_load_dwordx2 s[8:9], s[0:1], 0x10
	v_and_b32_e32 v16, 0x3ff, v0
	v_bfe_u32 v17, v0, 10, 10
	s_waitcnt lgkmcnt(0)
	s_add_i32 s6, s45, 13
	s_mul_hi_i32 s5, s6, 0x92492493
	s_add_i32 s5, s5, s6
	s_lshr_b32 s6, s5, 31
	s_ashr_i32 s5, s5, 3
	s_add_i32 s5, s5, s6
	v_cvt_f32_u32_e32 v1, s5
	s_add_u32 s12, s0, 0x60
	s_addc_u32 s13, s1, 0
	s_sub_i32 s6, 0, s5
	v_rcp_iflag_f32_e32 v1, v1
	s_abs_i32 s22, s55
	v_mul_f32_e32 v1, 0x4f7ffffe, v1
	v_cvt_u32_f32_e32 v1, v1
	v_mul_lo_u32 v2, s6, v1
	v_mul_hi_u32 v2, v1, v2
	v_add_u32_e32 v1, v1, v2
	v_mul_hi_u32 v1, s7, v1
	v_mul_lo_u32 v2, v1, s5
	v_sub_u32_e32 v2, s7, v2
	v_add_u32_e32 v3, 1, v1
	v_subrev_u32_e32 v4, s5, v2
	v_cmp_le_u32_e32 vcc, s5, v2
	s_nop 1
	v_cndmask_b32_e32 v1, v1, v3, vcc
	v_cndmask_b32_e32 v2, v2, v4, vcc
	v_add_u32_e32 v3, 1, v1
	v_cmp_le_u32_e32 vcc, s5, v2
	s_nop 1
	v_cndmask_b32_e32 v1, v1, v3, vcc
	v_cvt_f32_u32_e32 v2, v1
	v_cvt_f32_u32_e32 v3, s22
	v_sub_u32_e32 v4, 0, v1
	v_cmp_eq_u32_e32 vcc, 0, v16
	v_rcp_iflag_f32_e32 v2, v2
	v_rcp_iflag_f32_e32 v3, v3
	v_mul_f32_e32 v2, 0x4f7ffffe, v2
	v_cvt_u32_f32_e32 v2, v2
	v_mul_lo_u32 v4, v4, v2
	v_mul_hi_u32 v4, v2, v4
	v_add_u32_e32 v2, v2, v4
	v_mul_hi_u32 v2, s3, v2
	s_and_saveexec_b64 s[6:7], vcc
	s_cbranch_execz .LBB136_2
; %bb.1:
	v_mov_b32_e32 v4, 0x100
	v_lshl_add_u32 v4, v17, 2, v4
	v_mov_b32_e32 v5, -1
	ds_write_b32 v4, v5
.LBB136_2:
	s_or_b64 exec, exec, s[6:7]
	v_mul_f32_e32 v8, 0x4f7ffffe, v3
	v_mul_lo_u32 v3, v2, v1
	v_sub_u32_e32 v3, s3, v3
	v_add_u32_e32 v4, 1, v2
	v_sub_u32_e32 v5, v3, v1
	v_cmp_ge_u32_e64 s[6:7], v3, v1
	s_nop 1
	v_cndmask_b32_e64 v2, v2, v4, s[6:7]
	v_cndmask_b32_e64 v3, v3, v5, s[6:7]
	v_add_u32_e32 v4, 1, v2
	v_cmp_ge_u32_e64 s[6:7], v3, v1
	s_nop 1
	v_cndmask_b32_e64 v2, v2, v4, s[6:7]
	v_mul_lo_u32 v92, v2, 14
	v_mul_lo_u32 v1, v2, v1
	v_mul_hi_i32 v3, v92, s51
	v_mul_lo_u32 v2, v92, s51
	v_sub_u32_e32 v18, s3, v1
	v_lshlrev_b64 v[2:3], 2, v[2:3]
	v_add_u32_e32 v1, v17, v92
	v_lshl_add_u64 v[2:3], s[8:9], 0, v[2:3]
	v_cmp_gt_i32_e64 s[6:7], s46, v16
	v_cmp_gt_i32_e64 s[24:25], s45, v1
	v_mov_b32_e32 v1, 0
	s_and_saveexec_b64 s[14:15], s[24:25]
	s_cbranch_execz .LBB136_10
; %bb.3:
	v_mov_b32_e32 v1, 0
	s_and_saveexec_b64 s[16:17], s[6:7]
	s_cbranch_execz .LBB136_9
; %bb.4:
	v_mul_lo_u32 v4, v17, s51
	v_ashrrev_i32_e32 v5, 31, v4
	v_mov_b32_e32 v1, 0x100
	v_lshl_add_u64 v[4:5], v[4:5], 2, v[2:3]
	v_lshl_add_u32 v9, v17, 2, v1
	v_mul_lo_u32 v6, v16, s50
	s_lshl_b32 s3, s50, 6
	s_mov_b64 s[18:19], 0
	v_mov_b32_e32 v1, 0
	v_mov_b32_e32 v10, v16
	s_branch .LBB136_6
.LBB136_5:                              ;   in Loop: Header=BB136_6 Depth=1
	s_or_b64 exec, exec, s[20:21]
	v_add_u32_e32 v10, 64, v10
	v_cmp_le_i32_e64 s[10:11], s46, v10
	s_xor_b64 s[8:9], s[8:9], -1
	s_or_b64 s[8:9], s[8:9], s[10:11]
	s_and_b64 s[8:9], exec, s[8:9]
	s_or_b64 s[18:19], s[8:9], s[18:19]
	v_add_u32_e32 v6, s3, v6
	s_andn2_b64 exec, exec, s[18:19]
	s_cbranch_execz .LBB136_8
.LBB136_6:                              ; =>This Inner Loop Header: Depth=1
	v_ashrrev_i32_e32 v7, 31, v6
	v_lshl_add_u64 v[12:13], v[6:7], 2, v[4:5]
	global_load_dword v7, v[12:13], off
	s_waitcnt vmcnt(0)
	v_cmp_ne_u32_e64 s[8:9], v7, v18
	v_cmp_eq_u32_e64 s[10:11], v7, v18
	s_and_saveexec_b64 s[20:21], s[10:11]
	s_cbranch_execz .LBB136_5
; %bb.7:                                ;   in Loop: Header=BB136_6 Depth=1
	v_mov_b32_e32 v1, 1
	ds_write_b32 v9, v10
	s_branch .LBB136_5
.LBB136_8:
	s_or_b64 exec, exec, s[18:19]
.LBB136_9:
	s_or_b64 exec, exec, s[16:17]
.LBB136_10:
	s_or_b64 exec, exec, s[14:15]
	v_cvt_u32_f32_e32 v8, v8
	s_sub_i32 s3, 0, s22
	s_and_saveexec_b64 s[8:9], vcc
	s_cbranch_execz .LBB136_12
; %bb.11:
	v_mov_b32_e32 v4, 0x100
	v_lshl_add_u32 v4, v17, 2, v4
	v_mov_b32_e32 v5, -1
	ds_write_b32 v4, v5 offset:20
.LBB136_12:
	s_or_b64 exec, exec, s[8:9]
	v_add_u32_e32 v93, 5, v17
	v_mul_lo_u32 v9, s3, v8
	v_add_u32_e32 v4, v93, v92
	v_cmp_gt_i32_e64 s[8:9], s45, v4
	s_mov_b64 s[14:15], exec
                                        ; implicit-def: $vgpr110 : SGPR spill to VGPR lane
	s_nop 0
	v_writelane_b32 v110, s8, 0
	s_nop 1
	v_writelane_b32 v110, s9, 1
	s_and_b64 s[8:9], s[14:15], s[8:9]
	s_mov_b64 exec, s[8:9]
	s_cbranch_execz .LBB136_20
; %bb.13:
	s_and_saveexec_b64 s[16:17], s[6:7]
	s_cbranch_execz .LBB136_19
; %bb.14:
	v_mul_lo_u32 v4, v93, s51
	v_ashrrev_i32_e32 v5, 31, v4
	v_mov_b32_e32 v6, 0x100
	v_lshl_add_u64 v[4:5], v[4:5], 2, v[2:3]
	v_lshl_add_u32 v10, v17, 2, v6
	v_mul_lo_u32 v6, v16, s50
	s_lshl_b32 s3, s50, 6
	s_mov_b64 s[18:19], 0
	v_mov_b32_e32 v11, v16
	s_branch .LBB136_16
.LBB136_15:                             ;   in Loop: Header=BB136_16 Depth=1
	s_or_b64 exec, exec, s[20:21]
	v_add_u32_e32 v11, 64, v11
	v_cmp_le_i32_e64 s[10:11], s46, v11
	s_xor_b64 s[8:9], s[8:9], -1
	s_or_b64 s[8:9], s[8:9], s[10:11]
	s_and_b64 s[8:9], exec, s[8:9]
	s_or_b64 s[18:19], s[8:9], s[18:19]
	v_add_u32_e32 v6, s3, v6
	s_andn2_b64 exec, exec, s[18:19]
	s_cbranch_execz .LBB136_18
.LBB136_16:                             ; =>This Inner Loop Header: Depth=1
	v_ashrrev_i32_e32 v7, 31, v6
	v_lshl_add_u64 v[12:13], v[6:7], 2, v[4:5]
	global_load_dword v7, v[12:13], off
	s_waitcnt vmcnt(0)
	v_cmp_ne_u32_e64 s[8:9], v7, v18
	v_cmp_eq_u32_e64 s[10:11], v7, v18
	s_and_saveexec_b64 s[20:21], s[10:11]
	s_cbranch_execz .LBB136_15
; %bb.17:                               ;   in Loop: Header=BB136_16 Depth=1
	v_mov_b32_e32 v1, 1
	ds_write_b32 v10, v11 offset:20
	s_branch .LBB136_15
.LBB136_18:
	s_or_b64 exec, exec, s[18:19]
.LBB136_19:
	s_or_b64 exec, exec, s[16:17]
.LBB136_20:
	s_or_b64 exec, exec, s[14:15]
	v_mul_hi_u32 v4, v8, v9
	s_and_saveexec_b64 s[8:9], vcc
	s_cbranch_execz .LBB136_22
; %bb.21:
	v_mov_b32_e32 v5, 0x100
	v_lshl_add_u32 v5, v17, 2, v5
	v_mov_b32_e32 v6, -1
	ds_write_b32 v5, v6 offset:40
.LBB136_22:
	s_or_b64 exec, exec, s[8:9]
	s_load_dwordx4 s[28:31], s[0:1], 0x54
	v_add_u32_e32 v94, 10, v17
	s_abs_i32 s3, s4
	v_add_u32_e32 v6, v8, v4
	v_add_u32_e32 v4, v94, v92
	v_cmp_gt_i32_e64 s[10:11], s45, v4
	s_mov_b64 s[8:9], exec
	s_nop 0
	v_writelane_b32 v110, s10, 2
	s_nop 1
	v_writelane_b32 v110, s11, 3
	s_and_b64 s[10:11], s[8:9], s[10:11]
	s_mov_b64 exec, s[10:11]
	s_cbranch_execz .LBB136_30
; %bb.23:
	s_and_saveexec_b64 s[10:11], s[6:7]
	s_cbranch_execz .LBB136_29
; %bb.24:
	v_mul_lo_u32 v4, v94, s51
	v_ashrrev_i32_e32 v5, 31, v4
	v_lshl_add_u64 v[2:3], v[4:5], 2, v[2:3]
	v_mov_b32_e32 v4, 0x100
	v_lshl_add_u32 v7, v17, 2, v4
	v_mul_lo_u32 v4, v16, s50
	s_lshl_b32 s5, s50, 6
	s_mov_b64 s[14:15], 0
	v_mov_b32_e32 v8, v16
	s_branch .LBB136_26
.LBB136_25:                             ;   in Loop: Header=BB136_26 Depth=1
	s_or_b64 exec, exec, s[16:17]
	v_add_u32_e32 v8, 64, v8
	v_cmp_le_i32_e64 s[6:7], s46, v8
	s_xor_b64 s[16:17], vcc, -1
	s_or_b64 s[6:7], s[16:17], s[6:7]
	s_and_b64 s[6:7], exec, s[6:7]
	s_or_b64 s[14:15], s[6:7], s[14:15]
	v_add_u32_e32 v4, s5, v4
	s_andn2_b64 exec, exec, s[14:15]
	s_cbranch_execz .LBB136_28
.LBB136_26:                             ; =>This Inner Loop Header: Depth=1
	v_ashrrev_i32_e32 v5, 31, v4
	v_lshl_add_u64 v[10:11], v[4:5], 2, v[2:3]
	global_load_dword v5, v[10:11], off
	s_waitcnt vmcnt(0)
	v_cmp_ne_u32_e32 vcc, v5, v18
	v_cmp_eq_u32_e64 s[6:7], v5, v18
	s_and_saveexec_b64 s[16:17], s[6:7]
	s_cbranch_execz .LBB136_25
; %bb.27:                               ;   in Loop: Header=BB136_26 Depth=1
	v_mov_b32_e32 v1, 1
	ds_write_b32 v7, v8 offset:40
	s_branch .LBB136_25
.LBB136_28:
	s_or_b64 exec, exec, s[14:15]
.LBB136_29:
	s_or_b64 exec, exec, s[10:11]
.LBB136_30:
	s_or_b64 exec, exec, s[8:9]
	s_load_dwordx2 s[6:7], s[12:13], 0xc
	s_load_dwordx2 s[8:9], s[0:1], 0x8
	;; [unrolled: 1-line block ×3, first 2 shown]
	v_cmp_ne_u32_e32 vcc, 0, v1
	v_mul_hi_u32 v19, s3, v6
	s_waitcnt lgkmcnt(0)
	s_and_b32 s5, s7, 0xffff
	v_cndmask_b32_e64 v1, 0, 1, vcc
	v_writelane_b32 v110, s10, 4
	s_lshr_b32 s7, s6, 16
	v_or_b32_dpp v1, v1, v1 row_shl:1 row_mask:0xf bank_mask:0xf bound_ctrl:1
	s_and_b32 s6, s6, 0xffff
	v_writelane_b32 v110, s11, 5
	v_or_b32_dpp v1, v1, v1 row_shl:2 row_mask:0xf bank_mask:0xf bound_ctrl:1
	s_mul_i32 s10, s7, s6
	s_bfe_i32 s10, s10, 0x180000
	v_or_b32_dpp v1, v1, v1 row_shl:4 row_mask:0xf bank_mask:0xf bound_ctrl:1
	s_mul_i32 s5, s10, s5
	s_add_i32 s10, s5, 63
	v_or_b32_dpp v1, v1, v1 row_shl:8 row_mask:0xf bank_mask:0xf bound_ctrl:1
	s_bitcmp1_b32 exec_hi, 0
                                        ; kill: killed $sgpr12 killed $sgpr13
	s_nop 0
	v_mov_b32_dpp v2, v1 wave_shl:1 row_mask:0xf bank_mask:0xf bound_ctrl:1
	s_nop 1
	v_or_b32_dpp v1, v2, v1 row_mirror row_mask:0xf bank_mask:0xf bound_ctrl:1
	s_nop 0
	v_readlane_b32 s5, v1, 32
	s_cselect_b32 s5, s5, 0
	v_readlane_b32 s11, v1, 0
	s_or_b32 s5, s5, s11
	s_andn2_b32 s10, s10, 63
	s_cmp_lg_u32 s10, 64
	v_mov_b32_e32 v1, s5
	s_cbranch_scc0 .LBB136_37
; %bb.31:
	v_bfe_u32 v0, v0, 20, 10
	v_mbcnt_lo_u32_b32 v1, -1, 0
	v_mad_u32_u24 v0, v0, s7, v17
	v_mbcnt_hi_u32_b32 v2, -1, v1
	v_mad_u64_u32 v[0:1], s[6:7], v0, s6, v[16:17]
	v_lshrrev_b32_e32 v1, 6, v0
	v_or_b32_e32 v1, v2, v1
	v_cmp_eq_u32_e32 vcc, 0, v1
	s_and_saveexec_b64 s[6:7], vcc
	s_cbranch_execz .LBB136_33
; %bb.32:
	v_mov_b32_e32 v1, 0
	v_mov_b32_e32 v3, s5
	ds_write_b32 v1, v3
.LBB136_33:
	s_or_b64 exec, exec, s[6:7]
	v_cmp_eq_u32_e32 vcc, 0, v2
	v_cmp_lt_u32_e64 s[6:7], 63, v0
	s_and_b64 s[10:11], s[6:7], vcc
	s_waitcnt lgkmcnt(0)
	s_barrier
	s_and_saveexec_b64 s[6:7], s[10:11]
	s_cbranch_execz .LBB136_36
; %bb.34:
	v_mbcnt_lo_u32_b32 v0, exec_lo, 0
	v_mbcnt_hi_u32_b32 v0, exec_hi, v0
	v_cmp_eq_u32_e32 vcc, 0, v0
	s_and_b64 exec, exec, vcc
	s_cbranch_execz .LBB136_36
; %bb.35:
	v_mov_b32_e32 v0, 0
	v_mov_b32_e32 v1, s5
	ds_or_b32 v0, v1
.LBB136_36:
	s_or_b64 exec, exec, s[6:7]
	v_mov_b32_e32 v0, 0
	s_waitcnt lgkmcnt(0)
	s_barrier
	ds_read_b32 v1, v0
	s_waitcnt lgkmcnt(0)
	s_barrier
.LBB136_37:
	s_load_dwordx2 s[6:7], s[0:1], 0x0
	v_cmp_ne_u32_e32 vcc, 0, v1
	s_ashr_i32 s5, s4, 31
	s_ashr_i32 s10, s55, 31
	s_cbranch_vccz .LBB136_209
; %bb.38:
	v_lshlrev_b32_e32 v95, 6, v17
	v_add_u32_e32 v97, v95, v16
	v_cmp_le_i32_e32 vcc, s44, v97
	v_and_b32_e32 v96, 15, v16
                                        ; implicit-def: $sgpr11
	s_and_saveexec_b64 s[0:1], vcc
	s_xor_b64 s[0:1], exec, s[0:1]
; %bb.39:
	v_and_b32_e32 v96, 15, v16
	s_mov_b32 s11, 0
                                        ; implicit-def: $vgpr97
                                        ; implicit-def: $vgpr19
                                        ; implicit-def: $vgpr18
; %bb.40:
	s_or_saveexec_b64 s[0:1], s[0:1]
	s_lshl_b32 s12, s2, 6
	v_mov_b32_e32 v11, s11
	v_mov_b32_e32 v10, s11
	v_mov_b32_e32 v9, s11
	v_mov_b32_e32 v8, s11
	v_mov_b32_e32 v7, s11
	v_mov_b32_e32 v6, s11
	v_mov_b32_e32 v5, s11
	v_mov_b32_e32 v4, s11
	v_mov_b32_e32 v3, s11
	v_mov_b32_e32 v2, s11
	v_mov_b32_e32 v1, s11
	v_mov_b32_e32 v0, s11
	v_mov_b32_e32 v15, s11
	v_mov_b32_e32 v14, s11
	v_mov_b32_e32 v13, s11
	v_mov_b32_e32 v12, s11
	v_writelane_b32 v110, s0, 6
	s_nop 1
	v_writelane_b32 v110, s1, 7
	s_xor_b64 exec, exec, s[0:1]
	s_cbranch_execz .LBB136_198
; %bb.41:
	v_mul_lo_u32 v0, v19, s22
	v_sub_u32_e32 v0, s3, v0
	v_add_u32_e32 v1, 1, v19
	v_subrev_u32_e32 v2, s22, v0
	v_cmp_le_u32_e32 vcc, s22, v0
	s_xor_b32 s0, s5, s10
	v_writelane_b32 v110, s24, 8
	v_cndmask_b32_e32 v1, v19, v1, vcc
	v_cndmask_b32_e32 v0, v0, v2, vcc
	v_add_u32_e32 v2, 1, v1
	v_cmp_le_u32_e32 vcc, s22, v0
	v_writelane_b32 v110, s25, 9
	v_writelane_b32 v110, s12, 10
	v_cndmask_b32_e32 v0, v1, v2, vcc
	v_xor_b32_e32 v0, s0, v0
	v_subrev_u32_e32 v0, s0, v0
	v_mul_hi_i32 v1, v0, s28
	v_mul_lo_u32 v0, v0, s28
	v_mul_lo_u32 v2, v18, s52
	v_ashrrev_i32_e32 v3, 31, v2
	s_mul_i32 s0, s12, s47
	v_lshlrev_b64 v[0:1], 2, v[0:1]
	s_movk_i32 s2, 0x1080
	v_mov_b32_e32 v98, 0x100
	v_writelane_b32 v110, s4, 11
	s_waitcnt lgkmcnt(0)
	v_lshl_add_u64 v[4:5], s[6:7], 0, v[0:1]
	v_lshlrev_b64 v[2:3], 2, v[2:3]
	s_ashr_i32 s1, s0, 31
	v_mad_u32_u24 v6, v17, s2, v98
	s_mul_hi_i32 s3, s29, s4
	v_writelane_b32 v110, s28, 12
	s_mul_i32 s2, s29, s4
	v_lshl_add_u64 v[4:5], v[4:5], 0, v[2:3]
	s_lshl_b64 s[0:1], s[0:1], 2
	s_lshl_b64 s[2:3], s[2:3], 2
	v_lshl_add_u64 v[18:19], v[4:5], 0, s[0:1]
	v_writelane_b32 v110, s29, 13
	v_mul_hi_i32 v5, s48, v92
	v_mul_lo_u32 v4, s48, v92
	s_add_u32 s2, s8, s2
	v_writelane_b32 v110, s30, 14
	v_lshlrev_b64 v[4:5], 3, v[4:5]
	s_addc_u32 s3, s9, s3
	v_writelane_b32 v110, s31, 15
	v_lshl_add_u64 v[20:21], s[2:3], 0, v[4:5]
	s_lshl_b32 s2, s48, 3
	v_writelane_b32 v110, s2, 16
	s_mul_i32 s2, s48, 6
	v_writelane_b32 v110, s2, 17
	s_lshl_b32 s2, s48, 4
	v_writelane_b32 v110, s2, 18
	s_mul_i32 s2, s48, 10
	v_writelane_b32 v110, s2, 19
	s_mul_i32 s2, s48, 12
	v_writelane_b32 v110, s2, 20
	v_lshl_add_u64 v[0:1], v[0:1], 0, s[0:1]
	s_mul_i32 s0, s48, 26
	v_writelane_b32 v110, s0, 21
	s_mul_i32 s0, s48, 24
	v_writelane_b32 v110, s0, 22
	s_mul_i32 s0, s48, 22
	v_writelane_b32 v110, s0, 23
	s_mul_i32 s0, s48, 20
	v_writelane_b32 v110, s0, 24
	s_mul_i32 s0, s48, 18
	v_writelane_b32 v110, s0, 25
	s_mul_i32 s0, s48, 14
	v_writelane_b32 v110, s0, 26
	s_lshl_b32 s0, s48, 1
	v_writelane_b32 v110, s0, 27
	s_mul_i32 s0, s47, 3
	v_writelane_b32 v110, s0, 28
	s_mul_i32 s0, s47, 5
	;; [unrolled: 2-line block ×4, first 2 shown]
	v_lshrrev_b32_e32 v5, 1, v16
	v_writelane_b32 v110, s0, 31
	s_mul_i32 s0, s47, 9
	v_mul_u32_u24_e32 v4, 0x108, v96
	v_and_b32_e32 v5, 0x1f8, v5
	v_lshl_add_u64 v[0:1], v[0:1], 0, v[2:3]
	v_writelane_b32 v110, s0, 32
	s_mul_i32 s0, s47, 10
	v_add3_u32 v100, v6, v4, v5
	v_or_b32_e32 v26, 1, v92
	v_add_u32_e32 v27, 2, v92
	s_lshl_b32 s46, s48, 2
	v_add_u32_e32 v28, 3, v92
	v_add_u32_e32 v29, 4, v92
	;; [unrolled: 1-line block ×11, first 2 shown]
	s_ashr_i32 s3, s47, 31
	s_mov_b32 s2, s47
	v_lshlrev_b32_e32 v4, 1, v16
	v_lshlrev_b32_e32 v22, 2, v97
	v_mov_b32_e32 v23, 0
	v_lshl_add_u64 v[0:1], s[6:7], 0, v[0:1]
	v_writelane_b32 v110, s0, 33
	s_mul_i32 s0, s47, 11
	v_lshl_add_u32 v99, v16, 2, v6
	v_lshl_add_u32 v101, v17, 7, v4
	s_lshl_b64 s[2:3], s[2:3], 2
	v_lshl_add_u64 v[24:25], v[0:1], 0, v[22:23]
	s_lshl_b32 s68, s47, 1
	s_lshl_b32 s70, s47, 2
	;; [unrolled: 1-line block ×3, first 2 shown]
	v_writelane_b32 v110, s0, 34
	s_mul_i32 s78, s47, 12
	s_mul_i32 s79, s47, 13
	;; [unrolled: 1-line block ×4, first 2 shown]
	s_lshl_b32 s82, s47, 4
	s_mul_i32 s83, s47, 17
	s_mul_i32 s84, s47, 18
	s_mul_i32 s85, s47, 19
	s_mul_i32 s86, s47, 20
	s_mul_i32 s87, s47, 21
	s_mul_i32 s88, s47, 22
	s_mul_i32 s89, s47, 23
	s_mul_i32 s90, s47, 24
	s_mul_i32 s91, s47, 25
	s_mul_i32 s92, s47, 26
	s_mul_i32 s93, s47, 27
	s_mul_i32 s94, s47, 28
	s_mul_i32 s95, s47, 29
	s_mul_i32 s96, s47, 30
	s_mul_i32 s97, s47, 31
	s_lshl_b32 s98, s47, 5
	s_mul_i32 s99, s47, 33
	s_mul_i32 s42, s47, 34
	;; [unrolled: 1-line block ×10, first 2 shown]
	v_cmp_gt_i32_e64 s[6:7], s45, v92
	s_mul_i32 s64, s47, 43
	s_mul_i32 s65, s47, 44
	v_mov_b32_e32 v12, 0
	v_mov_b32_e32 v13, v23
	;; [unrolled: 1-line block ×16, first 2 shown]
	s_mul_i32 s66, s47, 45
	s_mul_i32 s67, s47, 46
	;; [unrolled: 1-line block ×19, first 2 shown]
	s_mov_b32 s75, 0x7f800000
	s_movk_i32 s76, 0x7fff
	s_mov_b32 s77, 0x7060302
	v_cmp_gt_i32_e64 s[8:9], s45, v26
	v_cmp_gt_i32_e64 s[10:11], s45, v27
	v_cmp_gt_i32_e64 s[12:13], s45, v28
	v_cmp_gt_i32_e64 s[14:15], s45, v29
	v_cmp_gt_i32_e64 s[16:17], s45, v30
	v_cmp_gt_i32_e64 s[18:19], s45, v31
	v_cmp_gt_i32_e64 s[20:21], s45, v32
	v_cmp_gt_i32_e64 s[22:23], s45, v33
	v_cmp_gt_i32_e64 s[24:25], s45, v34
	v_cmp_gt_i32_e64 s[26:27], s45, v35
	v_cmp_gt_i32_e64 s[28:29], s45, v36
	v_cmp_gt_i32_e64 s[30:31], s45, v37
	v_cmp_gt_i32_e64 s[34:35], s45, v38
	s_mov_b32 s45, s46
	s_mov_b64 s[46:47], 0
	s_mov_b64 s[50:51], 0x500
	s_branch .LBB136_43
.LBB136_42:                             ;   in Loop: Header=BB136_43 Depth=1
	s_or_b64 exec, exec, s[56:57]
	v_perm_b32 v22, v90, v22, s77
	v_add_u32_e32 v90, 0xc00, v99
	ds_write2_b32 v90, v22, v23 offset0:106 offset1:172
	ds_write_b32 v99, v23 offset:4024
	ds_read2_b64 v[102:105], v100 offset0:8 offset1:12
	v_add_u32_e32 v97, 0x140, v97
	v_cmp_le_i32_e32 vcc, s44, v97
	v_add_u32_e32 v101, 0x280, v101
	s_waitcnt lgkmcnt(0)
	v_mfma_f32_16x16x16_bf16 v[4:7], v[58:59], v[102:103], v[4:7]
	v_lshl_add_u64 v[24:25], v[24:25], 0, s[50:51]
	s_or_b64 s[46:47], vcc, s[46:47]
	v_mfma_f32_16x16x16_bf16 v[8:11], v[42:43], v[102:103], v[8:11]
	v_mfma_f32_16x16x16_bf16 v[0:3], v[74:75], v[102:103], v[0:3]
	v_mfma_f32_16x16x16_bf16 v[12:15], v[88:89], v[102:103], v[12:15]
	v_mfma_f32_16x16x16_bf16 v[4:7], v[56:57], v[104:105], v[4:7]
	ds_read2_b64 v[56:59], v100 offset0:16 offset1:20
	v_mfma_f32_16x16x16_bf16 v[8:11], v[38:39], v[104:105], v[8:11]
	v_mfma_f32_16x16x16_bf16 v[0:3], v[72:73], v[104:105], v[0:3]
	v_mfma_f32_16x16x16_bf16 v[12:15], v[86:87], v[104:105], v[12:15]
	s_waitcnt lgkmcnt(0)
	v_mfma_f32_16x16x16_bf16 v[8:11], v[36:37], v[56:57], v[8:11]
	v_mfma_f32_16x16x16_bf16 v[4:7], v[52:53], v[56:57], v[4:7]
	v_mfma_f32_16x16x16_bf16 v[0:3], v[70:71], v[56:57], v[0:3]
	v_mfma_f32_16x16x16_bf16 v[12:15], v[82:83], v[56:57], v[12:15]
	v_mfma_f32_16x16x16_bf16 v[8:11], v[34:35], v[58:59], v[8:11]
	ds_read2_b64 v[34:37], v100 offset0:24 offset1:28
	v_mfma_f32_16x16x16_bf16 v[4:7], v[50:51], v[58:59], v[4:7]
	v_mfma_f32_16x16x16_bf16 v[0:3], v[68:69], v[58:59], v[0:3]
	v_mfma_f32_16x16x16_bf16 v[12:15], v[78:79], v[58:59], v[12:15]
	s_waitcnt lgkmcnt(0)
	v_mfma_f32_16x16x16_bf16 v[8:11], v[32:33], v[34:35], v[8:11]
	;; [unrolled: 10-line block ×3, first 2 shown]
	v_mfma_f32_16x16x16_bf16 v[4:7], v[44:45], v[30:31], v[4:7]
	v_mfma_f32_16x16x16_bf16 v[0:3], v[60:61], v[30:31], v[0:3]
	v_mfma_f32_16x16x16_bf16 v[12:15], v[76:77], v[30:31], v[12:15]
	v_mfma_f32_16x16x16_bf16 v[8:11], v[26:27], v[32:33], v[8:11]
	v_mfma_f32_16x16x16_bf16 v[4:7], v[40:41], v[32:33], v[4:7]
	v_mfma_f32_16x16x16_bf16 v[0:3], v[54:55], v[32:33], v[0:3]
	v_mfma_f32_16x16x16_bf16 v[12:15], v[64:65], v[32:33], v[12:15]
	s_andn2_b64 exec, exec, s[46:47]
	s_cbranch_execz .LBB136_197
.LBB136_43:                             ; =>This Inner Loop Header: Depth=1
	v_readlane_b32 s56, v110, 28
	v_lshl_add_u64 v[26:27], v[24:25], 0, s[2:3]
	global_load_dword v22, v[24:25], off
	global_load_dword v52, v[26:27], off
	v_add_u32_e32 v28, s56, v97
	v_readlane_b32 s56, v110, 29
	v_add_u32_e32 v26, s68, v97
	v_ashrrev_i32_e32 v27, 31, v26
	v_add_u32_e32 v32, s56, v97
	v_readlane_b32 s56, v110, 30
	v_add_u32_e32 v30, s70, v97
	v_lshl_add_u64 v[26:27], v[26:27], 2, v[18:19]
	v_add_u32_e32 v34, s56, v97
	v_readlane_b32 s56, v110, 31
	v_ashrrev_i32_e32 v29, 31, v28
	v_ashrrev_i32_e32 v31, 31, v30
	v_add_u32_e32 v36, s56, v97
	v_ashrrev_i32_e32 v33, 31, v32
	v_ashrrev_i32_e32 v35, 31, v34
	;; [unrolled: 1-line block ×3, first 2 shown]
	v_lshl_add_u64 v[28:29], v[28:29], 2, v[18:19]
	v_lshl_add_u64 v[30:31], v[30:31], 2, v[18:19]
	v_lshl_add_u64 v[32:33], v[32:33], 2, v[18:19]
	v_lshl_add_u64 v[34:35], v[34:35], 2, v[18:19]
	v_lshl_add_u64 v[36:37], v[36:37], 2, v[18:19]
	global_load_dword v53, v[26:27], off
	global_load_dword v54, v[28:29], off
	;; [unrolled: 1-line block ×6, first 2 shown]
	v_readlane_b32 s56, v110, 32
	v_add_u32_e32 v26, s74, v97
	v_add_u32_e32 v44, s83, v97
	v_add_u32_e32 v28, s56, v97
	v_readlane_b32 s56, v110, 33
	v_add_u32_e32 v34, s78, v97
	v_add_u32_e32 v36, s79, v97
	v_add_u32_e32 v30, s56, v97
	;; [unrolled: 4-line block ×3, first 2 shown]
	v_add_u32_e32 v42, s82, v97
	v_ashrrev_i32_e32 v27, 31, v26
	v_ashrrev_i32_e32 v45, 31, v44
	;; [unrolled: 1-line block ×10, first 2 shown]
	v_lshl_add_u64 v[26:27], v[26:27], 2, v[18:19]
	v_lshl_add_u64 v[44:45], v[44:45], 2, v[18:19]
	v_add_u32_e32 v46, s84, v97
	v_add_u32_e32 v48, s85, v97
	;; [unrolled: 1-line block ×3, first 2 shown]
	v_lshl_add_u64 v[28:29], v[28:29], 2, v[18:19]
	v_lshl_add_u64 v[30:31], v[30:31], 2, v[18:19]
	;; [unrolled: 1-line block ×8, first 2 shown]
	global_load_dword v59, v[26:27], off
	global_load_dword v60, v[28:29], off
	;; [unrolled: 1-line block ×9, first 2 shown]
	s_nop 0
	global_load_dword v44, v[44:45], off
	v_add_u32_e32 v26, s87, v97
	v_ashrrev_i32_e32 v47, 31, v46
	v_ashrrev_i32_e32 v49, 31, v48
	;; [unrolled: 1-line block ×4, first 2 shown]
	v_add_u32_e32 v28, s88, v97
	v_add_u32_e32 v30, s89, v97
	;; [unrolled: 1-line block ×4, first 2 shown]
	v_lshl_add_u64 v[46:47], v[46:47], 2, v[18:19]
	v_lshl_add_u64 v[48:49], v[48:49], 2, v[18:19]
	;; [unrolled: 1-line block ×4, first 2 shown]
	v_ashrrev_i32_e32 v29, 31, v28
	v_ashrrev_i32_e32 v31, 31, v30
	;; [unrolled: 1-line block ×4, first 2 shown]
	v_lshl_add_u64 v[28:29], v[28:29], 2, v[18:19]
	v_lshl_add_u64 v[30:31], v[30:31], 2, v[18:19]
	;; [unrolled: 1-line block ×4, first 2 shown]
	v_add_u32_e32 v36, s97, v97
	v_add_u32_e32 v38, s98, v97
	s_waitcnt vmcnt(17)
	ds_write_b32 v99, v22 offset:64
	s_waitcnt vmcnt(16)
	ds_write_b32 v99, v52 offset:328
	;; [unrolled: 2-line block ×8, first 2 shown]
	global_load_dword v22, v[46:47], off
	global_load_dword v45, v[48:49], off
	s_nop 0
	global_load_dword v46, v[50:51], off
	global_load_dword v47, v[26:27], off
	;; [unrolled: 1-line block ×4, first 2 shown]
	s_nop 0
	global_load_dword v50, v[32:33], off
	global_load_dword v51, v[34:35], off
	v_add_u32_e32 v26, s92, v97
	v_ashrrev_i32_e32 v27, 31, v26
	v_add_u32_e32 v28, s93, v97
	v_add_u32_e32 v30, s94, v97
	v_add_u32_e32 v32, s95, v97
	v_add_u32_e32 v34, s96, v97
	v_add_u32_e32 v40, s99, v97
	v_lshl_add_u64 v[26:27], v[26:27], 2, v[18:19]
	v_ashrrev_i32_e32 v29, 31, v28
	v_ashrrev_i32_e32 v31, 31, v30
	v_ashrrev_i32_e32 v33, 31, v32
	v_ashrrev_i32_e32 v35, 31, v34
	v_ashrrev_i32_e32 v37, 31, v36
	v_ashrrev_i32_e32 v39, 31, v38
	v_ashrrev_i32_e32 v41, 31, v40
	v_lshl_add_u64 v[28:29], v[28:29], 2, v[18:19]
	v_lshl_add_u64 v[30:31], v[30:31], 2, v[18:19]
	v_lshl_add_u64 v[32:33], v[32:33], 2, v[18:19]
	v_lshl_add_u64 v[34:35], v[34:35], 2, v[18:19]
	v_lshl_add_u64 v[36:37], v[36:37], 2, v[18:19]
	v_lshl_add_u64 v[38:39], v[38:39], 2, v[18:19]
	v_lshl_add_u64 v[40:41], v[40:41], 2, v[18:19]
	global_load_dword v52, v[26:27], off
	global_load_dword v53, v[28:29], off
	global_load_dword v54, v[30:31], off
	global_load_dword v55, v[32:33], off
	global_load_dword v56, v[34:35], off
	global_load_dword v57, v[36:37], off
	global_load_dword v68, v[38:39], off
	global_load_dword v69, v[40:41], off
	v_add_u32_e32 v26, s42, v97
	v_ashrrev_i32_e32 v27, 31, v26
	v_add_u32_e32 v28, s43, v97
	v_add_u32_e32 v30, s5, v97
	v_add_u32_e32 v32, s58, v97
	v_add_u32_e32 v34, s55, v97
	v_add_u32_e32 v36, s60, v97
	v_add_u32_e32 v38, s61, v97
	v_add_u32_e32 v40, s62, v97
	v_lshl_add_u64 v[26:27], v[26:27], 2, v[18:19]
	v_ashrrev_i32_e32 v29, 31, v28
	v_ashrrev_i32_e32 v31, 31, v30
	v_ashrrev_i32_e32 v33, 31, v32
	v_ashrrev_i32_e32 v35, 31, v34
	v_ashrrev_i32_e32 v37, 31, v36
	v_ashrrev_i32_e32 v39, 31, v38
	v_ashrrev_i32_e32 v41, 31, v40
	v_lshl_add_u64 v[28:29], v[28:29], 2, v[18:19]
	v_lshl_add_u64 v[30:31], v[30:31], 2, v[18:19]
	v_lshl_add_u64 v[32:33], v[32:33], 2, v[18:19]
	v_lshl_add_u64 v[34:35], v[34:35], 2, v[18:19]
	v_lshl_add_u64 v[36:37], v[36:37], 2, v[18:19]
	v_lshl_add_u64 v[38:39], v[38:39], 2, v[18:19]
	v_lshl_add_u64 v[40:41], v[40:41], 2, v[18:19]
	global_load_dword v70, v[26:27], off
	global_load_dword v71, v[28:29], off
	global_load_dword v72, v[30:31], off
	global_load_dword v73, v[32:33], off
	global_load_dword v74, v[34:35], off
	global_load_dword v75, v[36:37], off
	global_load_dword v76, v[38:39], off
	global_load_dword v77, v[40:41], off
	v_add_u32_e32 v26, s63, v97
	v_ashrrev_i32_e32 v27, 31, v26
	v_add_u32_e32 v28, s64, v97
	v_add_u32_e32 v30, s65, v97
	;; [unrolled: 32-line block ×4, first 2 shown]
	v_add_u32_e32 v32, s71, v97
	v_add_u32_e32 v34, s72, v97
	;; [unrolled: 1-line block ×3, first 2 shown]
	v_lshl_add_u64 v[26:27], v[26:27], 2, v[18:19]
	v_ashrrev_i32_e32 v29, 31, v28
	v_ashrrev_i32_e32 v31, 31, v30
	;; [unrolled: 1-line block ×5, first 2 shown]
	v_lshl_add_u64 v[28:29], v[28:29], 2, v[18:19]
	v_lshl_add_u64 v[30:31], v[30:31], 2, v[18:19]
	;; [unrolled: 1-line block ×5, first 2 shown]
	global_load_dword v104, v[26:27], off
	global_load_dword v105, v[28:29], off
	;; [unrolled: 1-line block ×6, first 2 shown]
	s_waitcnt vmcnt(55)
	ds_write_b32 v99, v59 offset:2176
	s_waitcnt vmcnt(54)
	ds_write_b32 v99, v60 offset:2440
	s_waitcnt vmcnt(53)
	ds_write_b32 v99, v61 offset:2704
	s_waitcnt vmcnt(52)
	ds_write_b32 v99, v62 offset:2968
	s_waitcnt vmcnt(51)
	ds_write_b32 v99, v63 offset:3232
	s_waitcnt vmcnt(50)
	ds_write_b32 v99, v64 offset:3496
	s_waitcnt vmcnt(49)
	ds_write_b32 v99, v65 offset:3760
	s_waitcnt vmcnt(48)
	ds_write_b32 v99, v66 offset:4024
	ds_read_b64 v[42:43], v100 offset:64
	ds_read_b64 v[38:39], v100 offset:96
	ds_read_b64 v[36:37], v100 offset:128
	ds_read_b64 v[34:35], v100 offset:160
	ds_read_b64 v[32:33], v100 offset:192
	ds_read_b64 v[30:31], v100 offset:224
	ds_read_b64 v[28:29], v100 offset:256
	ds_read_b64 v[26:27], v100 offset:288
	s_waitcnt vmcnt(47)
	ds_write_b32 v99, v67 offset:64
	s_waitcnt vmcnt(46)
	ds_write_b32 v99, v44 offset:328
	s_waitcnt vmcnt(45)
	ds_write_b32 v99, v22 offset:592
	s_waitcnt vmcnt(44)
	ds_write_b32 v99, v45 offset:856
	s_waitcnt vmcnt(43)
	ds_write_b32 v99, v46 offset:1120
	s_waitcnt vmcnt(42)
	ds_write_b32 v99, v47 offset:1384
	s_waitcnt vmcnt(41)
	ds_write_b32 v99, v48 offset:1648
	s_waitcnt vmcnt(40)
	ds_write_b32 v99, v49 offset:1912
	s_waitcnt vmcnt(39)
	ds_write_b32 v99, v50 offset:2176
	s_waitcnt vmcnt(38)
	ds_write_b32 v99, v51 offset:2440
	s_waitcnt vmcnt(37)
	ds_write_b32 v99, v52 offset:2704
	s_waitcnt vmcnt(36)
	ds_write_b32 v99, v53 offset:2968
	s_waitcnt vmcnt(35)
	ds_write_b32 v99, v54 offset:3232
	s_waitcnt vmcnt(34)
	ds_write_b32 v99, v55 offset:3496
	s_waitcnt vmcnt(33)
	ds_write_b32 v99, v56 offset:3760
	s_waitcnt vmcnt(32)
	ds_write_b32 v99, v57 offset:4024
	ds_read_b64 v[58:59], v100 offset:64
	ds_read_b64 v[56:57], v100 offset:96
	ds_read_b64 v[52:53], v100 offset:128
	ds_read_b64 v[50:51], v100 offset:160
	ds_read_b64 v[48:49], v100 offset:192
	ds_read_b64 v[46:47], v100 offset:224
	ds_read_b64 v[44:45], v100 offset:256
	ds_read_b64 v[40:41], v100 offset:288
	s_waitcnt vmcnt(31)
	ds_write_b32 v99, v68 offset:64
	s_waitcnt vmcnt(30)
	ds_write_b32 v99, v69 offset:328
	s_waitcnt vmcnt(29)
	ds_write_b32 v99, v70 offset:592
	s_waitcnt vmcnt(28)
	ds_write_b32 v99, v71 offset:856
	s_waitcnt vmcnt(27)
	ds_write_b32 v99, v72 offset:1120
	s_waitcnt vmcnt(26)
	ds_write_b32 v99, v73 offset:1384
	s_waitcnt vmcnt(25)
	ds_write_b32 v99, v74 offset:1648
	s_waitcnt vmcnt(24)
	ds_write_b32 v99, v75 offset:1912
	;; [unrolled: 40-line block ×3, first 2 shown]
	s_waitcnt vmcnt(7)
	ds_write_b32 v99, v102 offset:2176
	s_waitcnt vmcnt(6)
	ds_write_b32 v99, v103 offset:2440
	;; [unrolled: 2-line block ×8, first 2 shown]
	ds_read_b64 v[88:89], v100 offset:64
	ds_read_b64 v[86:87], v100 offset:96
	;; [unrolled: 1-line block ×8, first 2 shown]
	s_andn2_b64 vcc, exec, s[6:7]
	v_mov_b32_e32 v90, 0
	v_mov_b32_e32 v91, 0
	s_cbranch_vccnz .LBB136_46
; %bb.44:                               ;   in Loop: Header=BB136_43 Depth=1
	ds_read_b32 v22, v98
	v_mov_b32_e32 v91, 0
	v_mov_b32_e32 v90, 0
	s_waitcnt lgkmcnt(0)
	v_cmp_gt_i32_e32 vcc, 0, v22
	s_cbranch_vccnz .LBB136_46
; %bb.45:                               ;   in Loop: Header=BB136_43 Depth=1
	v_mul_lo_u32 v22, v22, s53
	v_add_u32_e32 v90, v101, v22
	v_ashrrev_i32_e32 v91, 31, v90
	v_lshl_add_u64 v[90:91], v[90:91], 2, v[20:21]
	global_load_dwordx2 v[90:91], v[90:91], off
.LBB136_46:                             ;   in Loop: Header=BB136_43 Depth=1
	s_waitcnt vmcnt(0)
	v_and_b32_e32 v22, 0x7f800000, v90
	v_cmp_ne_u32_e32 vcc, s75, v22
                                        ; implicit-def: $vgpr22
	s_and_saveexec_b64 s[56:57], vcc
	s_xor_b64 s[56:57], exec, s[56:57]
; %bb.47:                               ;   in Loop: Header=BB136_43 Depth=1
	v_bfe_u32 v22, v90, 16, 1
	v_add3_u32 v22, v90, v22, s76
; %bb.48:                               ;   in Loop: Header=BB136_43 Depth=1
	s_andn2_saveexec_b64 s[56:57], s[56:57]
; %bb.49:                               ;   in Loop: Header=BB136_43 Depth=1
	v_or_b32_e32 v22, 0x10000, v90
	v_cmp_eq_u32_sdwa vcc, v90, v23 src0_sel:WORD_0 src1_sel:DWORD
	s_nop 1
	v_cndmask_b32_e32 v22, v22, v90, vcc
; %bb.50:                               ;   in Loop: Header=BB136_43 Depth=1
	s_or_b64 exec, exec, s[56:57]
	v_and_b32_e32 v90, 0x7f800000, v91
	v_cmp_ne_u32_e32 vcc, s75, v90
                                        ; implicit-def: $vgpr90
	s_and_saveexec_b64 s[56:57], vcc
	s_xor_b64 s[56:57], exec, s[56:57]
; %bb.51:                               ;   in Loop: Header=BB136_43 Depth=1
	v_bfe_u32 v90, v91, 16, 1
	v_add3_u32 v90, v91, v90, s76
                                        ; implicit-def: $vgpr91
; %bb.52:                               ;   in Loop: Header=BB136_43 Depth=1
	s_andn2_saveexec_b64 s[56:57], s[56:57]
; %bb.53:                               ;   in Loop: Header=BB136_43 Depth=1
	v_or_b32_e32 v90, 0x10000, v91
	v_cmp_eq_u32_sdwa vcc, v91, v23 src0_sel:WORD_0 src1_sel:DWORD
	s_nop 1
	v_cndmask_b32_e32 v90, v90, v91, vcc
; %bb.54:                               ;   in Loop: Header=BB136_43 Depth=1
	s_or_b64 exec, exec, s[56:57]
	v_perm_b32 v22, v90, v22, s77
	s_andn2_b64 vcc, exec, s[8:9]
	v_mov_b32_e32 v90, 0
	v_mov_b32_e32 v91, 0
	ds_write_b32 v99, v22 offset:64
	s_cbranch_vccnz .LBB136_57
; %bb.55:                               ;   in Loop: Header=BB136_43 Depth=1
	ds_read_b32 v22, v98 offset:4
	v_mov_b32_e32 v91, 0
	v_mov_b32_e32 v90, 0
	s_waitcnt lgkmcnt(0)
	v_cmp_gt_i32_e32 vcc, 0, v22
	s_cbranch_vccnz .LBB136_57
; %bb.56:                               ;   in Loop: Header=BB136_43 Depth=1
	v_mul_lo_u32 v22, v22, s53
	v_readlane_b32 s56, v110, 27
	s_nop 1
	v_add_u32_e32 v22, s56, v22
	v_add_u32_e32 v90, v22, v101
	v_ashrrev_i32_e32 v91, 31, v90
	v_lshl_add_u64 v[90:91], v[90:91], 2, v[20:21]
	global_load_dwordx2 v[90:91], v[90:91], off
.LBB136_57:                             ;   in Loop: Header=BB136_43 Depth=1
	s_waitcnt vmcnt(0)
	v_and_b32_e32 v22, 0x7f800000, v90
	v_cmp_ne_u32_e32 vcc, s75, v22
                                        ; implicit-def: $vgpr22
	s_and_saveexec_b64 s[56:57], vcc
	s_xor_b64 s[56:57], exec, s[56:57]
; %bb.58:                               ;   in Loop: Header=BB136_43 Depth=1
	v_bfe_u32 v22, v90, 16, 1
	v_add3_u32 v22, v90, v22, s76
; %bb.59:                               ;   in Loop: Header=BB136_43 Depth=1
	s_andn2_saveexec_b64 s[56:57], s[56:57]
; %bb.60:                               ;   in Loop: Header=BB136_43 Depth=1
	v_or_b32_e32 v22, 0x10000, v90
	v_cmp_eq_u32_sdwa vcc, v90, v23 src0_sel:WORD_0 src1_sel:DWORD
	s_nop 1
	v_cndmask_b32_e32 v22, v22, v90, vcc
; %bb.61:                               ;   in Loop: Header=BB136_43 Depth=1
	s_or_b64 exec, exec, s[56:57]
	v_and_b32_e32 v90, 0x7f800000, v91
	v_cmp_ne_u32_e32 vcc, s75, v90
                                        ; implicit-def: $vgpr90
	s_and_saveexec_b64 s[56:57], vcc
	s_xor_b64 s[56:57], exec, s[56:57]
; %bb.62:                               ;   in Loop: Header=BB136_43 Depth=1
	v_bfe_u32 v90, v91, 16, 1
	v_add3_u32 v90, v91, v90, s76
                                        ; implicit-def: $vgpr91
; %bb.63:                               ;   in Loop: Header=BB136_43 Depth=1
	s_andn2_saveexec_b64 s[56:57], s[56:57]
; %bb.64:                               ;   in Loop: Header=BB136_43 Depth=1
	v_or_b32_e32 v90, 0x10000, v91
	v_cmp_eq_u32_sdwa vcc, v91, v23 src0_sel:WORD_0 src1_sel:DWORD
	s_nop 1
	v_cndmask_b32_e32 v90, v90, v91, vcc
; %bb.65:                               ;   in Loop: Header=BB136_43 Depth=1
	s_or_b64 exec, exec, s[56:57]
	v_perm_b32 v22, v90, v22, s77
	s_andn2_b64 vcc, exec, s[10:11]
	v_mov_b32_e32 v90, 0
	v_mov_b32_e32 v91, 0
	ds_write_b32 v99, v22 offset:328
	s_cbranch_vccnz .LBB136_68
; %bb.66:                               ;   in Loop: Header=BB136_43 Depth=1
	ds_read_b32 v22, v98 offset:8
	v_mov_b32_e32 v91, 0
	v_mov_b32_e32 v90, 0
	s_waitcnt lgkmcnt(0)
	v_cmp_gt_i32_e32 vcc, 0, v22
	s_cbranch_vccnz .LBB136_68
; %bb.67:                               ;   in Loop: Header=BB136_43 Depth=1
	v_mul_lo_u32 v22, v22, s53
	v_add_u32_e32 v22, s45, v22
	v_add_u32_e32 v90, v22, v101
	v_ashrrev_i32_e32 v91, 31, v90
	v_lshl_add_u64 v[90:91], v[90:91], 2, v[20:21]
	global_load_dwordx2 v[90:91], v[90:91], off
.LBB136_68:                             ;   in Loop: Header=BB136_43 Depth=1
	s_waitcnt vmcnt(0)
	v_and_b32_e32 v22, 0x7f800000, v90
	v_cmp_ne_u32_e32 vcc, s75, v22
                                        ; implicit-def: $vgpr22
	s_and_saveexec_b64 s[56:57], vcc
	s_xor_b64 s[56:57], exec, s[56:57]
; %bb.69:                               ;   in Loop: Header=BB136_43 Depth=1
	v_bfe_u32 v22, v90, 16, 1
	v_add3_u32 v22, v90, v22, s76
; %bb.70:                               ;   in Loop: Header=BB136_43 Depth=1
	s_andn2_saveexec_b64 s[56:57], s[56:57]
; %bb.71:                               ;   in Loop: Header=BB136_43 Depth=1
	v_or_b32_e32 v22, 0x10000, v90
	v_cmp_eq_u32_sdwa vcc, v90, v23 src0_sel:WORD_0 src1_sel:DWORD
	s_nop 1
	v_cndmask_b32_e32 v22, v22, v90, vcc
; %bb.72:                               ;   in Loop: Header=BB136_43 Depth=1
	s_or_b64 exec, exec, s[56:57]
	v_and_b32_e32 v90, 0x7f800000, v91
	v_cmp_ne_u32_e32 vcc, s75, v90
                                        ; implicit-def: $vgpr90
	s_and_saveexec_b64 s[56:57], vcc
	s_xor_b64 s[56:57], exec, s[56:57]
; %bb.73:                               ;   in Loop: Header=BB136_43 Depth=1
	v_bfe_u32 v90, v91, 16, 1
	v_add3_u32 v90, v91, v90, s76
                                        ; implicit-def: $vgpr91
; %bb.74:                               ;   in Loop: Header=BB136_43 Depth=1
	s_andn2_saveexec_b64 s[56:57], s[56:57]
; %bb.75:                               ;   in Loop: Header=BB136_43 Depth=1
	v_or_b32_e32 v90, 0x10000, v91
	v_cmp_eq_u32_sdwa vcc, v91, v23 src0_sel:WORD_0 src1_sel:DWORD
	s_nop 1
	v_cndmask_b32_e32 v90, v90, v91, vcc
; %bb.76:                               ;   in Loop: Header=BB136_43 Depth=1
	s_or_b64 exec, exec, s[56:57]
	v_perm_b32 v22, v90, v22, s77
	s_andn2_b64 vcc, exec, s[12:13]
	v_mov_b32_e32 v90, 0
	v_mov_b32_e32 v91, 0
	ds_write_b32 v99, v22 offset:592
	s_cbranch_vccnz .LBB136_79
; %bb.77:                               ;   in Loop: Header=BB136_43 Depth=1
	ds_read_b32 v22, v98 offset:12
	v_mov_b32_e32 v91, 0
	v_mov_b32_e32 v90, 0
	s_waitcnt lgkmcnt(0)
	v_cmp_gt_i32_e32 vcc, 0, v22
	s_cbranch_vccnz .LBB136_79
; %bb.78:                               ;   in Loop: Header=BB136_43 Depth=1
	v_mul_lo_u32 v22, v22, s53
	v_readlane_b32 s56, v110, 17
	s_nop 1
	v_add_u32_e32 v22, s56, v22
	v_add_u32_e32 v90, v22, v101
	v_ashrrev_i32_e32 v91, 31, v90
	v_lshl_add_u64 v[90:91], v[90:91], 2, v[20:21]
	global_load_dwordx2 v[90:91], v[90:91], off
.LBB136_79:                             ;   in Loop: Header=BB136_43 Depth=1
	s_waitcnt vmcnt(0)
	v_and_b32_e32 v22, 0x7f800000, v90
	v_cmp_ne_u32_e32 vcc, s75, v22
                                        ; implicit-def: $vgpr22
	s_and_saveexec_b64 s[56:57], vcc
	s_xor_b64 s[56:57], exec, s[56:57]
; %bb.80:                               ;   in Loop: Header=BB136_43 Depth=1
	v_bfe_u32 v22, v90, 16, 1
	v_add3_u32 v22, v90, v22, s76
; %bb.81:                               ;   in Loop: Header=BB136_43 Depth=1
	s_andn2_saveexec_b64 s[56:57], s[56:57]
; %bb.82:                               ;   in Loop: Header=BB136_43 Depth=1
	v_or_b32_e32 v22, 0x10000, v90
	v_cmp_eq_u32_sdwa vcc, v90, v23 src0_sel:WORD_0 src1_sel:DWORD
	s_nop 1
	v_cndmask_b32_e32 v22, v22, v90, vcc
; %bb.83:                               ;   in Loop: Header=BB136_43 Depth=1
	s_or_b64 exec, exec, s[56:57]
	v_and_b32_e32 v90, 0x7f800000, v91
	v_cmp_ne_u32_e32 vcc, s75, v90
                                        ; implicit-def: $vgpr90
	s_and_saveexec_b64 s[56:57], vcc
	s_xor_b64 s[56:57], exec, s[56:57]
; %bb.84:                               ;   in Loop: Header=BB136_43 Depth=1
	v_bfe_u32 v90, v91, 16, 1
	v_add3_u32 v90, v91, v90, s76
                                        ; implicit-def: $vgpr91
; %bb.85:                               ;   in Loop: Header=BB136_43 Depth=1
	s_andn2_saveexec_b64 s[56:57], s[56:57]
; %bb.86:                               ;   in Loop: Header=BB136_43 Depth=1
	v_or_b32_e32 v90, 0x10000, v91
	v_cmp_eq_u32_sdwa vcc, v91, v23 src0_sel:WORD_0 src1_sel:DWORD
	s_nop 1
	v_cndmask_b32_e32 v90, v90, v91, vcc
; %bb.87:                               ;   in Loop: Header=BB136_43 Depth=1
	s_or_b64 exec, exec, s[56:57]
	v_perm_b32 v22, v90, v22, s77
	s_andn2_b64 vcc, exec, s[14:15]
	v_mov_b32_e32 v90, 0
	v_mov_b32_e32 v91, 0
	ds_write_b32 v99, v22 offset:856
	s_cbranch_vccnz .LBB136_90
; %bb.88:                               ;   in Loop: Header=BB136_43 Depth=1
	ds_read_b32 v22, v98 offset:16
	v_mov_b32_e32 v91, 0
	v_mov_b32_e32 v90, 0
	s_waitcnt lgkmcnt(0)
	v_cmp_gt_i32_e32 vcc, 0, v22
	s_cbranch_vccnz .LBB136_90
; %bb.89:                               ;   in Loop: Header=BB136_43 Depth=1
	v_mul_lo_u32 v22, v22, s53
	v_readlane_b32 s56, v110, 16
	s_nop 1
	v_add_u32_e32 v22, s56, v22
	v_add_u32_e32 v90, v22, v101
	v_ashrrev_i32_e32 v91, 31, v90
	v_lshl_add_u64 v[90:91], v[90:91], 2, v[20:21]
	global_load_dwordx2 v[90:91], v[90:91], off
.LBB136_90:                             ;   in Loop: Header=BB136_43 Depth=1
	s_waitcnt vmcnt(0)
	v_and_b32_e32 v22, 0x7f800000, v90
	v_cmp_ne_u32_e32 vcc, s75, v22
                                        ; implicit-def: $vgpr22
	s_and_saveexec_b64 s[56:57], vcc
	s_xor_b64 s[56:57], exec, s[56:57]
; %bb.91:                               ;   in Loop: Header=BB136_43 Depth=1
	v_bfe_u32 v22, v90, 16, 1
	v_add3_u32 v22, v90, v22, s76
; %bb.92:                               ;   in Loop: Header=BB136_43 Depth=1
	s_andn2_saveexec_b64 s[56:57], s[56:57]
; %bb.93:                               ;   in Loop: Header=BB136_43 Depth=1
	v_or_b32_e32 v22, 0x10000, v90
	v_cmp_eq_u32_sdwa vcc, v90, v23 src0_sel:WORD_0 src1_sel:DWORD
	s_nop 1
	v_cndmask_b32_e32 v22, v22, v90, vcc
; %bb.94:                               ;   in Loop: Header=BB136_43 Depth=1
	s_or_b64 exec, exec, s[56:57]
	v_and_b32_e32 v90, 0x7f800000, v91
	v_cmp_ne_u32_e32 vcc, s75, v90
                                        ; implicit-def: $vgpr90
	s_and_saveexec_b64 s[56:57], vcc
	s_xor_b64 s[56:57], exec, s[56:57]
; %bb.95:                               ;   in Loop: Header=BB136_43 Depth=1
	v_bfe_u32 v90, v91, 16, 1
	v_add3_u32 v90, v91, v90, s76
                                        ; implicit-def: $vgpr91
; %bb.96:                               ;   in Loop: Header=BB136_43 Depth=1
	s_andn2_saveexec_b64 s[56:57], s[56:57]
; %bb.97:                               ;   in Loop: Header=BB136_43 Depth=1
	v_or_b32_e32 v90, 0x10000, v91
	v_cmp_eq_u32_sdwa vcc, v91, v23 src0_sel:WORD_0 src1_sel:DWORD
	s_nop 1
	v_cndmask_b32_e32 v90, v90, v91, vcc
; %bb.98:                               ;   in Loop: Header=BB136_43 Depth=1
	s_or_b64 exec, exec, s[56:57]
	v_perm_b32 v22, v90, v22, s77
	s_andn2_b64 vcc, exec, s[16:17]
	v_mov_b32_e32 v90, 0
	v_mov_b32_e32 v91, 0
	ds_write_b32 v99, v22 offset:1120
	s_cbranch_vccnz .LBB136_101
; %bb.99:                               ;   in Loop: Header=BB136_43 Depth=1
	ds_read_b32 v22, v98 offset:20
	v_mov_b32_e32 v91, 0
	v_mov_b32_e32 v90, 0
	s_waitcnt lgkmcnt(0)
	v_cmp_gt_i32_e32 vcc, 0, v22
	s_cbranch_vccnz .LBB136_101
; %bb.100:                              ;   in Loop: Header=BB136_43 Depth=1
	v_mul_lo_u32 v22, v22, s53
	v_readlane_b32 s56, v110, 19
	s_nop 1
	v_add_u32_e32 v22, s56, v22
	v_add_u32_e32 v90, v22, v101
	v_ashrrev_i32_e32 v91, 31, v90
	v_lshl_add_u64 v[90:91], v[90:91], 2, v[20:21]
	global_load_dwordx2 v[90:91], v[90:91], off
.LBB136_101:                            ;   in Loop: Header=BB136_43 Depth=1
	s_waitcnt vmcnt(0)
	v_and_b32_e32 v22, 0x7f800000, v90
	v_cmp_ne_u32_e32 vcc, s75, v22
                                        ; implicit-def: $vgpr22
	s_and_saveexec_b64 s[56:57], vcc
	s_xor_b64 s[56:57], exec, s[56:57]
; %bb.102:                              ;   in Loop: Header=BB136_43 Depth=1
	v_bfe_u32 v22, v90, 16, 1
	v_add3_u32 v22, v90, v22, s76
; %bb.103:                              ;   in Loop: Header=BB136_43 Depth=1
	s_andn2_saveexec_b64 s[56:57], s[56:57]
; %bb.104:                              ;   in Loop: Header=BB136_43 Depth=1
	v_or_b32_e32 v22, 0x10000, v90
	v_cmp_eq_u32_sdwa vcc, v90, v23 src0_sel:WORD_0 src1_sel:DWORD
	s_nop 1
	v_cndmask_b32_e32 v22, v22, v90, vcc
; %bb.105:                              ;   in Loop: Header=BB136_43 Depth=1
	s_or_b64 exec, exec, s[56:57]
	v_and_b32_e32 v90, 0x7f800000, v91
	v_cmp_ne_u32_e32 vcc, s75, v90
                                        ; implicit-def: $vgpr90
	s_and_saveexec_b64 s[56:57], vcc
	s_xor_b64 s[56:57], exec, s[56:57]
; %bb.106:                              ;   in Loop: Header=BB136_43 Depth=1
	v_bfe_u32 v90, v91, 16, 1
	v_add3_u32 v90, v91, v90, s76
                                        ; implicit-def: $vgpr91
; %bb.107:                              ;   in Loop: Header=BB136_43 Depth=1
	s_andn2_saveexec_b64 s[56:57], s[56:57]
; %bb.108:                              ;   in Loop: Header=BB136_43 Depth=1
	v_or_b32_e32 v90, 0x10000, v91
	v_cmp_eq_u32_sdwa vcc, v91, v23 src0_sel:WORD_0 src1_sel:DWORD
	s_nop 1
	v_cndmask_b32_e32 v90, v90, v91, vcc
; %bb.109:                              ;   in Loop: Header=BB136_43 Depth=1
	s_or_b64 exec, exec, s[56:57]
	v_perm_b32 v22, v90, v22, s77
	s_andn2_b64 vcc, exec, s[18:19]
	v_mov_b32_e32 v90, 0
	v_mov_b32_e32 v91, 0
	ds_write_b32 v99, v22 offset:1384
	s_cbranch_vccnz .LBB136_112
; %bb.110:                              ;   in Loop: Header=BB136_43 Depth=1
	ds_read_b32 v22, v98 offset:24
	v_mov_b32_e32 v91, 0
	v_mov_b32_e32 v90, 0
	s_waitcnt lgkmcnt(0)
	v_cmp_gt_i32_e32 vcc, 0, v22
	s_cbranch_vccnz .LBB136_112
; %bb.111:                              ;   in Loop: Header=BB136_43 Depth=1
	v_mul_lo_u32 v22, v22, s53
	v_readlane_b32 s56, v110, 20
	s_nop 1
	v_add_u32_e32 v22, s56, v22
	v_add_u32_e32 v90, v22, v101
	v_ashrrev_i32_e32 v91, 31, v90
	v_lshl_add_u64 v[90:91], v[90:91], 2, v[20:21]
	global_load_dwordx2 v[90:91], v[90:91], off
.LBB136_112:                            ;   in Loop: Header=BB136_43 Depth=1
	s_waitcnt vmcnt(0)
	v_and_b32_e32 v22, 0x7f800000, v90
	v_cmp_ne_u32_e32 vcc, s75, v22
                                        ; implicit-def: $vgpr22
	s_and_saveexec_b64 s[56:57], vcc
	s_xor_b64 s[56:57], exec, s[56:57]
; %bb.113:                              ;   in Loop: Header=BB136_43 Depth=1
	v_bfe_u32 v22, v90, 16, 1
	v_add3_u32 v22, v90, v22, s76
; %bb.114:                              ;   in Loop: Header=BB136_43 Depth=1
	s_andn2_saveexec_b64 s[56:57], s[56:57]
; %bb.115:                              ;   in Loop: Header=BB136_43 Depth=1
	v_or_b32_e32 v22, 0x10000, v90
	v_cmp_eq_u32_sdwa vcc, v90, v23 src0_sel:WORD_0 src1_sel:DWORD
	s_nop 1
	v_cndmask_b32_e32 v22, v22, v90, vcc
; %bb.116:                              ;   in Loop: Header=BB136_43 Depth=1
	s_or_b64 exec, exec, s[56:57]
	v_and_b32_e32 v90, 0x7f800000, v91
	v_cmp_ne_u32_e32 vcc, s75, v90
                                        ; implicit-def: $vgpr90
	s_and_saveexec_b64 s[56:57], vcc
	s_xor_b64 s[56:57], exec, s[56:57]
; %bb.117:                              ;   in Loop: Header=BB136_43 Depth=1
	v_bfe_u32 v90, v91, 16, 1
	v_add3_u32 v90, v91, v90, s76
                                        ; implicit-def: $vgpr91
; %bb.118:                              ;   in Loop: Header=BB136_43 Depth=1
	s_andn2_saveexec_b64 s[56:57], s[56:57]
; %bb.119:                              ;   in Loop: Header=BB136_43 Depth=1
	v_or_b32_e32 v90, 0x10000, v91
	v_cmp_eq_u32_sdwa vcc, v91, v23 src0_sel:WORD_0 src1_sel:DWORD
	s_nop 1
	v_cndmask_b32_e32 v90, v90, v91, vcc
; %bb.120:                              ;   in Loop: Header=BB136_43 Depth=1
	s_or_b64 exec, exec, s[56:57]
	v_perm_b32 v22, v90, v22, s77
	s_andn2_b64 vcc, exec, s[20:21]
	v_mov_b32_e32 v90, 0
	v_mov_b32_e32 v91, 0
	ds_write_b32 v99, v22 offset:1648
	s_cbranch_vccnz .LBB136_123
; %bb.121:                              ;   in Loop: Header=BB136_43 Depth=1
	ds_read_b32 v22, v98 offset:28
	v_mov_b32_e32 v91, 0
	v_mov_b32_e32 v90, 0
	s_waitcnt lgkmcnt(0)
	v_cmp_gt_i32_e32 vcc, 0, v22
	s_cbranch_vccnz .LBB136_123
; %bb.122:                              ;   in Loop: Header=BB136_43 Depth=1
	v_mul_lo_u32 v22, v22, s53
	v_readlane_b32 s56, v110, 26
	s_nop 1
	v_add_u32_e32 v22, s56, v22
	v_add_u32_e32 v90, v22, v101
	v_ashrrev_i32_e32 v91, 31, v90
	v_lshl_add_u64 v[90:91], v[90:91], 2, v[20:21]
	global_load_dwordx2 v[90:91], v[90:91], off
.LBB136_123:                            ;   in Loop: Header=BB136_43 Depth=1
	;; [unrolled: 59-line block ×8, first 2 shown]
	s_waitcnt vmcnt(0)
	v_and_b32_e32 v22, 0x7f800000, v90
	v_cmp_ne_u32_e32 vcc, s75, v22
                                        ; implicit-def: $vgpr22
	s_and_saveexec_b64 s[56:57], vcc
	s_xor_b64 s[56:57], exec, s[56:57]
; %bb.190:                              ;   in Loop: Header=BB136_43 Depth=1
	v_bfe_u32 v22, v90, 16, 1
	v_add3_u32 v22, v90, v22, s76
; %bb.191:                              ;   in Loop: Header=BB136_43 Depth=1
	s_andn2_saveexec_b64 s[56:57], s[56:57]
; %bb.192:                              ;   in Loop: Header=BB136_43 Depth=1
	v_or_b32_e32 v22, 0x10000, v90
	v_cmp_eq_u32_sdwa vcc, v90, v23 src0_sel:WORD_0 src1_sel:DWORD
	s_nop 1
	v_cndmask_b32_e32 v22, v22, v90, vcc
; %bb.193:                              ;   in Loop: Header=BB136_43 Depth=1
	s_or_b64 exec, exec, s[56:57]
	v_and_b32_e32 v90, 0x7f800000, v91
	v_cmp_ne_u32_e32 vcc, s75, v90
                                        ; implicit-def: $vgpr90
	s_and_saveexec_b64 s[56:57], vcc
	s_xor_b64 s[56:57], exec, s[56:57]
; %bb.194:                              ;   in Loop: Header=BB136_43 Depth=1
	v_bfe_u32 v90, v91, 16, 1
	v_add3_u32 v90, v91, v90, s76
                                        ; implicit-def: $vgpr91
; %bb.195:                              ;   in Loop: Header=BB136_43 Depth=1
	s_andn2_saveexec_b64 s[56:57], s[56:57]
	s_cbranch_execz .LBB136_42
; %bb.196:                              ;   in Loop: Header=BB136_43 Depth=1
	v_or_b32_e32 v90, 0x10000, v91
	v_cmp_eq_u32_sdwa vcc, v91, v23 src0_sel:WORD_0 src1_sel:DWORD
	s_nop 1
	v_cndmask_b32_e32 v90, v90, v91, vcc
	s_branch .LBB136_42
.LBB136_197:
	s_or_b64 exec, exec, s[46:47]
	v_readlane_b32 s24, v110, 8
	v_readlane_b32 s28, v110, 12
	;; [unrolled: 1-line block ×8, first 2 shown]
.LBB136_198:
	v_readlane_b32 s0, v110, 6
	v_readlane_b32 s1, v110, 7
	s_or_b64 exec, exec, s[0:1]
	v_mul_u32_u24_e32 v18, 0x508, v96
	s_movk_i32 s1, 0x100
	v_lshlrev_b32_e32 v19, 2, v95
	v_add3_u32 v18, s1, v18, v19
	v_and_b32_e32 v20, 0x3f0, v16
	v_add_u32_e32 v21, v18, v20
	s_waitcnt lgkmcnt(0)
	s_barrier
	v_add_u32_e32 v19, 64, v18
	ds_write2_b32 v21, v8, v9 offset0:16 offset1:17
	v_or_b32_e32 v9, 12, v16
	v_add_u32_e32 v8, v19, v20
	v_and_b32_e32 v9, 0x3fc, v9
	ds_write_b32 v8, v10 offset:8
	v_add_u32_e32 v10, v18, v9
	ds_write_b32 v10, v11 offset:64
	ds_write2_b32 v8, v4, v5 offset0:16 offset1:17
	ds_write_b32 v8, v6 offset:72
	v_add_u32_e32 v4, v19, v9
	ds_write_b32 v4, v7 offset:64
	ds_write2_b32 v8, v0, v1 offset0:32 offset1:33
	ds_write_b32 v8, v2 offset:136
	ds_write_b32 v4, v3 offset:128
	ds_write2_b32 v8, v12, v13 offset0:48 offset1:49
	ds_write_b32 v8, v14 offset:200
	ds_write_b32 v4, v15 offset:192
	v_mov_b32_e32 v0, 0x100
	s_movk_i32 s0, 0x508
	v_lshl_add_u32 v7, v16, 2, v0
	v_mad_u32_u24 v1, v17, s0, v7
	s_waitcnt lgkmcnt(0)
	s_barrier
	ds_read2_b32 v[4:5], v1 offset0:16 offset1:80
	ds_read2_b32 v[2:3], v1 offset0:144 offset1:208
	ds_read_b32 v8, v1 offset:1088
	v_cmp_gt_u32_e32 vcc, 14, v17
	v_mov_b32_e32 v9, -1
	s_and_saveexec_b64 s[0:1], vcc
	s_cbranch_execz .LBB136_200
; %bb.199:
	v_lshl_add_u32 v0, v17, 2, v0
	ds_read_b32 v9, v0
.LBB136_200:
	s_or_b64 exec, exec, s[0:1]
	s_mul_hi_i32 s1, s30, s4
	s_mul_i32 s0, s30, s4
	s_lshl_b64 s[0:1], s[0:1], 2
	v_readlane_b32 s2, v110, 4
	v_mul_hi_i32 v1, v92, s49
	v_mul_lo_u32 v0, v92, s49
	v_readlane_b32 s3, v110, 5
	s_add_u32 s0, s2, s0
	s_addc_u32 s1, s3, s1
	v_lshlrev_b64 v[0:1], 2, v[0:1]
	s_waitcnt lgkmcnt(0)
	v_cmp_lt_i32_e32 vcc, -1, v9
	v_mul_u32_u24_e32 v10, 0x508, v17
	v_add_u32_e32 v6, s12, v16
	v_lshl_add_u64 v[0:1], s[0:1], 0, v[0:1]
	s_and_b64 s[2:3], vcc, s[24:25]
	s_and_saveexec_b64 s[0:1], s[2:3]
	s_cbranch_execz .LBB136_202
; %bb.201:
	v_add_f32_e32 v4, 0, v4
	v_add_f32_e32 v4, v4, v5
	;; [unrolled: 1-line block ×5, first 2 shown]
	v_mul_lo_u32 v2, v9, s54
	v_mul_lo_u32 v3, v17, s49
	v_add3_u32 v2, v6, v3, v2
	v_mov_b32_e32 v3, 0
	v_lshl_add_u64 v[2:3], v[2:3], 2, v[0:1]
	global_store_dword v[2:3], v4, off
.LBB136_202:
	s_or_b64 exec, exec, s[0:1]
	v_add_u32_e32 v7, v10, v7
	v_add_u32_e32 v2, 0x68, v7
	ds_read2st64_b32 v[4:5], v2 offset0:25 offset1:26
	ds_read2st64_b32 v[2:3], v2 offset0:27 offset1:28
	ds_read_b32 v8, v7 offset:7528
	v_cmp_gt_u32_e32 vcc, 9, v17
	v_mov_b32_e32 v9, -1
	s_and_saveexec_b64 s[0:1], vcc
	s_cbranch_execz .LBB136_204
; %bb.203:
	v_mov_b32_e32 v9, 0x100
	v_lshl_add_u32 v9, v17, 2, v9
	ds_read_b32 v9, v9 offset:20
.LBB136_204:
	s_or_b64 exec, exec, s[0:1]
	v_readlane_b32 s0, v110, 0
	s_waitcnt lgkmcnt(0)
	v_cmp_lt_i32_e32 vcc, -1, v9
	v_readlane_b32 s1, v110, 1
	s_and_b64 s[2:3], vcc, s[0:1]
	s_and_saveexec_b64 s[0:1], s[2:3]
	s_cbranch_execz .LBB136_206
; %bb.205:
	v_add_f32_e32 v4, 0, v4
	v_add_f32_e32 v4, v4, v5
	;; [unrolled: 1-line block ×5, first 2 shown]
	v_mul_lo_u32 v2, v9, s54
	v_mul_lo_u32 v3, v93, s49
	v_add3_u32 v2, v6, v3, v2
	v_mov_b32_e32 v3, 0
	v_lshl_add_u64 v[2:3], v[2:3], 2, v[0:1]
	global_store_dword v[2:3], v4, off
.LBB136_206:
	s_or_b64 exec, exec, s[0:1]
	v_cmp_gt_u32_e32 vcc, 4, v17
	s_and_saveexec_b64 s[0:1], vcc
	s_cbranch_execz .LBB136_209
; %bb.207:
	v_mov_b32_e32 v2, 0x100
	v_lshl_add_u32 v2, v17, 2, v2
	ds_read_b32 v2, v2 offset:40
	v_readlane_b32 s0, v110, 2
	v_readlane_b32 s1, v110, 3
	s_waitcnt lgkmcnt(0)
	v_cmp_lt_i32_e32 vcc, -1, v2
	s_and_b64 s[0:1], vcc, s[0:1]
	s_and_b64 exec, exec, s[0:1]
	s_cbranch_execz .LBB136_209
; %bb.208:
	v_add_u32_e32 v3, 0x90, v7
	ds_read2st64_b32 v[4:5], v3 offset0:50 offset1:51
	ds_read_b32 v7, v7 offset:13968
	ds_read2st64_b32 v[8:9], v3 offset0:52 offset1:53
	v_mul_lo_u32 v2, v2, s54
	v_mul_lo_u32 v3, v94, s49
	s_waitcnt lgkmcnt(2)
	v_add_f32_e32 v4, 0, v4
	v_add_f32_e32 v4, v4, v5
	s_waitcnt lgkmcnt(0)
	v_add_f32_e32 v4, v4, v8
	v_add_f32_e32 v4, v4, v9
	v_add3_u32 v2, v6, v3, v2
	v_mov_b32_e32 v3, 0
	v_add_f32_e32 v4, v4, v7
	v_lshl_add_u64 v[0:1], v[2:3], 2, v[0:1]
	global_store_dword v[0:1], v4, off
.LBB136_209:
	s_endpgm
	.section	.rodata,"a",@progbits
	.p2align	6, 0x0
	.amdhsa_kernel _ZL9mul_mat_fI15__hip_bfloat162Li64ELi14ELi5ELb1EEvPKT_PKfPKiPfiiiiiiiiiiiiiiii
		.amdhsa_group_segment_fixed_size 256
		.amdhsa_private_segment_fixed_size 0
		.amdhsa_kernarg_size 352
		.amdhsa_user_sgpr_count 2
		.amdhsa_user_sgpr_dispatch_ptr 0
		.amdhsa_user_sgpr_queue_ptr 0
		.amdhsa_user_sgpr_kernarg_segment_ptr 1
		.amdhsa_user_sgpr_dispatch_id 0
		.amdhsa_user_sgpr_kernarg_preload_length 0
		.amdhsa_user_sgpr_kernarg_preload_offset 0
		.amdhsa_user_sgpr_private_segment_size 0
		.amdhsa_uses_dynamic_stack 0
		.amdhsa_enable_private_segment 0
		.amdhsa_system_sgpr_workgroup_id_x 1
		.amdhsa_system_sgpr_workgroup_id_y 1
		.amdhsa_system_sgpr_workgroup_id_z 1
		.amdhsa_system_sgpr_workgroup_info 0
		.amdhsa_system_vgpr_workitem_id 2
		.amdhsa_next_free_vgpr 111
		.amdhsa_next_free_sgpr 100
		.amdhsa_accum_offset 112
		.amdhsa_reserve_vcc 1
		.amdhsa_float_round_mode_32 0
		.amdhsa_float_round_mode_16_64 0
		.amdhsa_float_denorm_mode_32 3
		.amdhsa_float_denorm_mode_16_64 3
		.amdhsa_dx10_clamp 1
		.amdhsa_ieee_mode 1
		.amdhsa_fp16_overflow 0
		.amdhsa_tg_split 0
		.amdhsa_exception_fp_ieee_invalid_op 0
		.amdhsa_exception_fp_denorm_src 0
		.amdhsa_exception_fp_ieee_div_zero 0
		.amdhsa_exception_fp_ieee_overflow 0
		.amdhsa_exception_fp_ieee_underflow 0
		.amdhsa_exception_fp_ieee_inexact 0
		.amdhsa_exception_int_div_zero 0
	.end_amdhsa_kernel
	.section	.text._ZL9mul_mat_fI15__hip_bfloat162Li64ELi14ELi5ELb1EEvPKT_PKfPKiPfiiiiiiiiiiiiiiii,"axG",@progbits,_ZL9mul_mat_fI15__hip_bfloat162Li64ELi14ELi5ELb1EEvPKT_PKfPKiPfiiiiiiiiiiiiiiii,comdat
.Lfunc_end136:
	.size	_ZL9mul_mat_fI15__hip_bfloat162Li64ELi14ELi5ELb1EEvPKT_PKfPKiPfiiiiiiiiiiiiiiii, .Lfunc_end136-_ZL9mul_mat_fI15__hip_bfloat162Li64ELi14ELi5ELb1EEvPKT_PKfPKiPfiiiiiiiiiiiiiiii
                                        ; -- End function
	.section	.AMDGPU.csdata,"",@progbits
; Kernel info:
; codeLenInByte = 10216
; NumSgprs: 106
; NumVgprs: 111
; NumAgprs: 0
; TotalNumVgprs: 111
; ScratchSize: 0
; MemoryBound: 0
; FloatMode: 240
; IeeeMode: 1
; LDSByteSize: 256 bytes/workgroup (compile time only)
; SGPRBlocks: 13
; VGPRBlocks: 13
; NumSGPRsForWavesPerEU: 106
; NumVGPRsForWavesPerEU: 111
; AccumOffset: 112
; Occupancy: 4
; WaveLimiterHint : 0
; COMPUTE_PGM_RSRC2:SCRATCH_EN: 0
; COMPUTE_PGM_RSRC2:USER_SGPR: 2
; COMPUTE_PGM_RSRC2:TRAP_HANDLER: 0
; COMPUTE_PGM_RSRC2:TGID_X_EN: 1
; COMPUTE_PGM_RSRC2:TGID_Y_EN: 1
; COMPUTE_PGM_RSRC2:TGID_Z_EN: 1
; COMPUTE_PGM_RSRC2:TIDIG_COMP_CNT: 2
; COMPUTE_PGM_RSRC3_GFX90A:ACCUM_OFFSET: 27
; COMPUTE_PGM_RSRC3_GFX90A:TG_SPLIT: 0
	.section	.text._ZL9mul_mat_fI15__hip_bfloat162Li64ELi14ELi5ELb0EEvPKT_PKfPKiPfiiiiiiiiiiiiiiii,"axG",@progbits,_ZL9mul_mat_fI15__hip_bfloat162Li64ELi14ELi5ELb0EEvPKT_PKfPKiPfiiiiiiiiiiiiiiii,comdat
	.globl	_ZL9mul_mat_fI15__hip_bfloat162Li64ELi14ELi5ELb0EEvPKT_PKfPKiPfiiiiiiiiiiiiiiii ; -- Begin function _ZL9mul_mat_fI15__hip_bfloat162Li64ELi14ELi5ELb0EEvPKT_PKfPKiPfiiiiiiiiiiiiiiii
	.p2align	8
	.type	_ZL9mul_mat_fI15__hip_bfloat162Li64ELi14ELi5ELb0EEvPKT_PKfPKiPfiiiiiiiiiiiiiiii,@function
_ZL9mul_mat_fI15__hip_bfloat162Li64ELi14ELi5ELb0EEvPKT_PKfPKiPfiiiiiiiiiiiiiiii: ; @_ZL9mul_mat_fI15__hip_bfloat162Li64ELi14ELi5ELb0EEvPKT_PKfPKiPfiiiiiiiiiiiiiiii
; %bb.0:
	s_load_dword s5, s[0:1], 0x20
	s_load_dwordx4 s[16:19], s[0:1], 0x2c
	v_bfe_u32 v90, v0, 10, 10
	v_lshlrev_b32_e32 v92, 6, v90
	v_and_b32_e32 v91, 0x3ff, v0
	v_add_u32_e32 v94, v92, v91
	s_mov_b32 s20, 0
	s_waitcnt lgkmcnt(0)
	s_ashr_i32 s19, s4, 31
	v_cmp_le_i32_e32 vcc, s5, v94
	v_and_b32_e32 v93, 15, v91
	s_and_saveexec_b64 s[6:7], vcc
	s_xor_b64 s[6:7], exec, s[6:7]
; %bb.1:
	v_and_b32_e32 v93, 15, v91
                                        ; implicit-def: $vgpr94
; %bb.2:
	s_or_saveexec_b64 s[24:25], s[6:7]
	s_load_dwordx8 s[8:15], s[0:1], 0x40
	s_load_dwordx2 s[6:7], s[0:1], 0x18
	s_lshl_b32 s27, s2, 6
	v_mov_b32_e32 v11, s20
	v_mov_b32_e32 v10, s20
	;; [unrolled: 1-line block ×16, first 2 shown]
	s_xor_b64 exec, exec, s[24:25]
	s_cbranch_execz .LBB137_118
; %bb.3:
	s_waitcnt lgkmcnt(0)
	s_abs_i32 s2, s8
	v_cvt_f32_u32_e32 v0, s2
                                        ; implicit-def: $vgpr106 : SGPR spill to VGPR lane
	s_abs_i32 s26, s4
	v_writelane_b32 v106, s6, 0
	v_lshrrev_b32_e32 v7, 1, v91
	v_rcp_iflag_f32_e32 v0, v0
	v_writelane_b32 v106, s7, 1
	s_abs_i32 s6, s12
	v_cvt_f32_u32_e32 v1, s6
	v_mul_f32_e32 v0, 0x4f7ffffe, v0
	v_cvt_u32_f32_e32 v0, v0
	s_sub_i32 s7, 0, s2
	v_rcp_iflag_f32_e32 v1, v1
	s_sub_i32 s20, 0, s6
	v_mul_lo_u32 v2, s7, v0
	v_mul_hi_u32 v2, v0, v2
	v_mul_f32_e32 v1, 0x4f7ffffe, v1
	v_cvt_u32_f32_e32 v1, v1
	s_abs_i32 s7, s3
	v_add_u32_e32 v0, v0, v2
	v_mul_hi_u32 v0, s7, v0
	v_mul_lo_u32 v3, s20, v1
	v_mul_lo_u32 v2, v0, s2
	v_mul_hi_u32 v3, v1, v3
	v_sub_u32_e32 v2, s7, v2
	v_add_u32_e32 v1, v1, v3
	v_add_u32_e32 v3, 1, v0
	v_subrev_u32_e32 v4, s2, v2
	v_cmp_le_u32_e32 vcc, s2, v2
	s_load_dwordx4 s[20:23], s[0:1], 0x0
	s_ashr_i32 s0, s3, 31
	v_cndmask_b32_e32 v0, v0, v3, vcc
	v_cndmask_b32_e32 v2, v2, v4, vcc
	s_ashr_i32 s1, s8, 31
	v_add_u32_e32 v3, 1, v0
	v_cmp_le_u32_e32 vcc, s2, v2
	s_xor_b32 s0, s0, s1
	v_mul_hi_u32 v1, s26, v1
	v_cndmask_b32_e32 v0, v0, v3, vcc
	v_xor_b32_e32 v0, s0, v0
	v_subrev_u32_e32 v2, s0, v0
	v_mul_lo_u32 v0, v1, s6
	v_sub_u32_e32 v0, s26, v0
	v_add_u32_e32 v3, 1, v1
	v_subrev_u32_e32 v4, s6, v0
	v_cmp_le_u32_e32 vcc, s6, v0
	s_ashr_i32 s8, s12, 31
	s_xor_b32 s0, s19, s8
	v_cndmask_b32_e32 v1, v1, v3, vcc
	v_cndmask_b32_e32 v0, v0, v4, vcc
	v_add_u32_e32 v3, 1, v1
	v_cmp_le_u32_e32 vcc, s6, v0
	v_mul_lo_u32 v2, v2, s9
	s_mul_i32 s8, s3, s10
	v_cndmask_b32_e32 v0, v1, v3, vcc
	v_xor_b32_e32 v0, s0, v0
	v_subrev_u32_e32 v0, s0, v0
	s_mul_i32 s0, s27, s16
	v_mul_hi_i32 v1, v0, s13
	v_mul_lo_u32 v0, v0, s13
	v_ashrrev_i32_e32 v3, 31, v2
	s_ashr_i32 s1, s0, 31
	v_lshlrev_b64 v[0:1], 2, v[0:1]
	s_lshl_b64 s[0:1], s[0:1], 2
	v_lshlrev_b64 v[2:3], 2, v[2:3]
	s_waitcnt lgkmcnt(0)
	v_lshl_add_u64 v[4:5], s[20:21], 0, v[0:1]
	s_mul_hi_i32 s7, s14, s4
	s_mul_i32 s6, s14, s4
	v_lshl_add_u64 v[2:3], v[2:3], 0, s[0:1]
	s_ashr_i32 s9, s8, 31
	s_movk_i32 s2, 0x1080
	v_lshl_add_u64 v[16:17], v[2:3], 0, v[4:5]
	s_lshl_b64 s[6:7], s[6:7], 2
	s_lshl_b64 s[0:1], s[8:9], 2
	v_mad_u32_u24 v5, v90, s2, 0
	v_lshlrev_b32_e32 v4, 2, v91
	v_mul_u32_u24_e32 v6, 0x108, v93
	v_and_b32_e32 v7, 0x1f8, v7
	v_lshlrev_b32_e32 v18, 8, v90
	v_mov_b32_e32 v19, 0
	v_lshl_add_u64 v[0:1], v[2:3], 0, v[0:1]
	s_add_u32 s22, s22, s0
	v_add_u32_e32 v95, v5, v4
	v_add3_u32 v96, v5, v6, v7
	v_lshl_add_u64 v[0:1], v[0:1], 0, v[18:19]
	v_mov_b32_e32 v5, v19
	s_addc_u32 s23, s23, s1
	v_lshl_add_u64 v[0:1], v[0:1], 0, v[4:5]
	v_lshlrev_b32_e32 v18, 9, v90
	s_add_u32 s0, s22, s6
	v_lshl_add_u64 v[20:21], s[20:21], 0, v[0:1]
	v_lshl_add_u64 v[0:1], s[6:7], 0, v[18:19]
	v_lshlrev_b32_e32 v18, 3, v91
	s_addc_u32 s1, s23, s7
	s_ashr_i32 s9, s16, 31
	s_mov_b32 s8, s16
	s_ashr_i32 s13, s17, 31
	s_mov_b32 s12, s17
	v_lshl_add_u64 v[0:1], v[0:1], 0, v[18:19]
	s_lshl_b64 s[8:9], s[8:9], 2
	s_lshl_b64 s[12:13], s[12:13], 3
	v_lshl_add_u64 v[22:23], s[22:23], 0, v[0:1]
	s_mul_i32 s10, s16, 63
	s_lshl_b32 s14, s17, 1
	s_mul_i32 s19, s17, 3
	s_lshl_b32 s28, s17, 2
	s_mul_i32 s29, s17, 5
	s_mul_i32 s30, s17, 6
	s_mul_i32 s31, s17, 7
	s_lshl_b32 s33, s17, 3
	s_mul_i32 s34, s17, 9
	s_mul_i32 s35, s17, 10
	;; [unrolled: 1-line block ×5, first 2 shown]
	s_lshl_b32 s39, s16, 1
	s_mul_i32 s40, s16, 3
	s_lshl_b32 s41, s16, 2
	s_mul_i32 s42, s16, 5
	s_mul_i32 s43, s16, 6
	;; [unrolled: 1-line block ×3, first 2 shown]
	s_lshl_b32 s45, s16, 3
	s_mul_i32 s46, s16, 9
	s_mul_i32 s47, s16, 10
	s_mul_i32 s48, s16, 11
	s_mul_i32 s49, s16, 12
	s_mul_i32 s50, s16, 13
	s_mul_i32 s51, s16, 14
	s_mul_i32 s52, s16, 15
	s_lshl_b32 s53, s16, 4
	s_mul_i32 s54, s16, 17
	s_mul_i32 s55, s16, 18
	;; [unrolled: 1-line block ×15, first 2 shown]
	s_lshl_b32 s69, s16, 5
	s_mul_i32 s70, s16, 33
	s_mul_i32 s71, s16, 34
	;; [unrolled: 1-line block ×11, first 2 shown]
	v_mov_b32_e32 v12, 0
	v_mov_b32_e32 v13, v19
	;; [unrolled: 1-line block ×15, first 2 shown]
	s_mul_i32 s81, s16, 44
	s_mul_i32 s82, s16, 45
	;; [unrolled: 1-line block ×19, first 2 shown]
	s_mov_b32 s6, 0x7f800000
	s_movk_i32 s7, 0x7fff
	s_mov_b32 s2, 0x7060302
	s_mov_b64 s[16:17], 0
	s_mov_b64 s[20:21], 0x500
	;; [unrolled: 1-line block ×3, first 2 shown]
	v_writelane_b32 v106, s27, 2
	s_branch .LBB137_5
.LBB137_4:                              ;   in Loop: Header=BB137_5 Depth=1
	s_or_b64 exec, exec, s[26:27]
	v_perm_b32 v18, v97, v18, s2
	v_add_u32_e32 v88, 0xc00, v95
	ds_write2_b32 v88, v18, v19 offset0:90 offset1:156
	ds_write_b32 v95, v19 offset:3960
	ds_read2_b64 v[98:101], v96 offset1:4
	v_add_u32_e32 v94, 0x140, v94
	v_cmp_le_i32_e32 vcc, s5, v94
	v_lshl_add_u64 v[20:21], v[20:21], 0, s[20:21]
	s_waitcnt lgkmcnt(0)
	v_mfma_f32_16x16x16_bf16 v[0:3], v[72:73], v[98:99], v[0:3]
	v_lshl_add_u64 v[22:23], v[22:23], 0, s[22:23]
	s_or_b64 s[16:17], vcc, s[16:17]
	v_mfma_f32_16x16x16_bf16 v[8:11], v[40:41], v[98:99], v[8:11]
	v_mfma_f32_16x16x16_bf16 v[4:7], v[58:59], v[98:99], v[4:7]
	v_mfma_f32_16x16x16_bf16 v[12:15], v[86:87], v[98:99], v[12:15]
	v_mfma_f32_16x16x16_bf16 v[0:3], v[70:71], v[100:101], v[0:3]
	ds_read2_b64 v[70:73], v96 offset0:8 offset1:12
	v_mfma_f32_16x16x16_bf16 v[8:11], v[36:37], v[100:101], v[8:11]
	v_mfma_f32_16x16x16_bf16 v[4:7], v[54:55], v[100:101], v[4:7]
	v_mfma_f32_16x16x16_bf16 v[12:15], v[84:85], v[100:101], v[12:15]
	s_waitcnt lgkmcnt(0)
	v_mfma_f32_16x16x16_bf16 v[8:11], v[34:35], v[70:71], v[8:11]
	v_mfma_f32_16x16x16_bf16 v[4:7], v[50:51], v[70:71], v[4:7]
	v_mfma_f32_16x16x16_bf16 v[0:3], v[68:69], v[70:71], v[0:3]
	v_mfma_f32_16x16x16_bf16 v[12:15], v[82:83], v[70:71], v[12:15]
	v_mfma_f32_16x16x16_bf16 v[8:11], v[32:33], v[72:73], v[8:11]
	ds_read2_b64 v[32:35], v96 offset0:16 offset1:20
	v_mfma_f32_16x16x16_bf16 v[4:7], v[48:49], v[72:73], v[4:7]
	v_mfma_f32_16x16x16_bf16 v[0:3], v[66:67], v[72:73], v[0:3]
	v_mfma_f32_16x16x16_bf16 v[12:15], v[80:81], v[72:73], v[12:15]
	s_waitcnt lgkmcnt(0)
	v_mfma_f32_16x16x16_bf16 v[8:11], v[30:31], v[32:33], v[8:11]
	v_mfma_f32_16x16x16_bf16 v[4:7], v[46:47], v[32:33], v[4:7]
	v_mfma_f32_16x16x16_bf16 v[0:3], v[64:65], v[32:33], v[0:3]
	v_mfma_f32_16x16x16_bf16 v[12:15], v[78:79], v[32:33], v[12:15]
	v_mfma_f32_16x16x16_bf16 v[8:11], v[28:29], v[34:35], v[8:11]
	ds_read2_b64 v[28:31], v96 offset0:24 offset1:28
	v_mfma_f32_16x16x16_bf16 v[4:7], v[44:45], v[34:35], v[4:7]
	v_mfma_f32_16x16x16_bf16 v[0:3], v[62:63], v[34:35], v[0:3]
	v_mfma_f32_16x16x16_bf16 v[12:15], v[76:77], v[34:35], v[12:15]
	s_waitcnt lgkmcnt(0)
	v_mfma_f32_16x16x16_bf16 v[8:11], v[26:27], v[28:29], v[8:11]
	v_mfma_f32_16x16x16_bf16 v[4:7], v[42:43], v[28:29], v[4:7]
	v_mfma_f32_16x16x16_bf16 v[0:3], v[60:61], v[28:29], v[0:3]
	;; [unrolled: 1-line block ×7, first 2 shown]
	s_andn2_b64 exec, exec, s[16:17]
	s_cbranch_execz .LBB137_117
.LBB137_5:                              ; =>This Inner Loop Header: Depth=1
	v_lshl_add_u64 v[24:25], v[20:21], 0, s[8:9]
	global_load_dword v18, v[20:21], off
	global_load_dword v48, v[24:25], off
	v_add_u32_e32 v24, s39, v94
	v_ashrrev_i32_e32 v25, 31, v24
	v_add_u32_e32 v26, s40, v94
	v_add_u32_e32 v28, s41, v94
	;; [unrolled: 1-line block ×6, first 2 shown]
	v_lshl_add_u64 v[24:25], v[24:25], 2, v[16:17]
	v_ashrrev_i32_e32 v27, 31, v26
	v_ashrrev_i32_e32 v29, 31, v28
	;; [unrolled: 1-line block ×6, first 2 shown]
	v_lshl_add_u64 v[26:27], v[26:27], 2, v[16:17]
	v_lshl_add_u64 v[28:29], v[28:29], 2, v[16:17]
	;; [unrolled: 1-line block ×6, first 2 shown]
	global_load_dword v49, v[24:25], off
	global_load_dword v50, v[26:27], off
	;; [unrolled: 1-line block ×7, first 2 shown]
	v_add_u32_e32 v24, s46, v94
	v_add_u32_e32 v26, s47, v94
	;; [unrolled: 1-line block ×9, first 2 shown]
	v_ashrrev_i32_e32 v25, 31, v24
	v_ashrrev_i32_e32 v27, 31, v26
	;; [unrolled: 1-line block ×9, first 2 shown]
	v_lshl_add_u64 v[24:25], v[24:25], 2, v[16:17]
	v_lshl_add_u64 v[26:27], v[26:27], 2, v[16:17]
	;; [unrolled: 1-line block ×9, first 2 shown]
	global_load_dword v56, v[24:25], off
	global_load_dword v57, v[26:27], off
	;; [unrolled: 1-line block ×9, first 2 shown]
	v_add_u32_e32 v42, s55, v94
	v_add_u32_e32 v44, s56, v94
	;; [unrolled: 1-line block ×3, first 2 shown]
	v_ashrrev_i32_e32 v43, 31, v42
	v_ashrrev_i32_e32 v45, 31, v44
	v_ashrrev_i32_e32 v47, 31, v46
	v_add_u32_e32 v26, s58, v94
	v_add_u32_e32 v28, s59, v94
	;; [unrolled: 1-line block ×5, first 2 shown]
	v_lshl_add_u64 v[42:43], v[42:43], 2, v[16:17]
	v_lshl_add_u64 v[44:45], v[44:45], 2, v[16:17]
	;; [unrolled: 1-line block ×3, first 2 shown]
	v_ashrrev_i32_e32 v27, 31, v26
	v_ashrrev_i32_e32 v29, 31, v28
	;; [unrolled: 1-line block ×5, first 2 shown]
	v_lshl_add_u64 v[26:27], v[26:27], 2, v[16:17]
	v_lshl_add_u64 v[28:29], v[28:29], 2, v[16:17]
	;; [unrolled: 1-line block ×5, first 2 shown]
	v_add_u32_e32 v36, s69, v94
	v_add_u32_e32 v38, s70, v94
	v_ashrrev_i32_e32 v37, 31, v36
	v_ashrrev_i32_e32 v39, 31, v38
	v_lshl_add_u64 v[36:37], v[36:37], 2, v[16:17]
	v_lshl_add_u64 v[38:39], v[38:39], 2, v[16:17]
	s_waitcnt vmcnt(17)
	ds_write_b32 v95, v18
	s_waitcnt vmcnt(16)
	ds_write_b32 v95, v48 offset:264
	s_waitcnt vmcnt(15)
	ds_write_b32 v95, v49 offset:528
	;; [unrolled: 2-line block ×8, first 2 shown]
	global_load_dword v18, v[42:43], off
	s_nop 0
	global_load_dword v42, v[44:45], off
	global_load_dword v43, v[24:25], off
	s_nop 0
	global_load_dword v44, v[26:27], off
	global_load_dword v45, v[28:29], off
	;; [unrolled: 1-line block ×5, first 2 shown]
	v_add_u32_e32 v24, s63, v94
	v_ashrrev_i32_e32 v25, 31, v24
	v_add_u32_e32 v26, s64, v94
	v_add_u32_e32 v28, s65, v94
	;; [unrolled: 1-line block ×5, first 2 shown]
	v_lshl_add_u64 v[24:25], v[24:25], 2, v[16:17]
	v_ashrrev_i32_e32 v27, 31, v26
	v_ashrrev_i32_e32 v29, 31, v28
	;; [unrolled: 1-line block ×5, first 2 shown]
	v_lshl_add_u64 v[26:27], v[26:27], 2, v[16:17]
	v_lshl_add_u64 v[28:29], v[28:29], 2, v[16:17]
	v_lshl_add_u64 v[30:31], v[30:31], 2, v[16:17]
	v_lshl_add_u64 v[32:33], v[32:33], 2, v[16:17]
	v_lshl_add_u64 v[34:35], v[34:35], 2, v[16:17]
	global_load_dword v49, v[24:25], off
	global_load_dword v50, v[26:27], off
	global_load_dword v51, v[28:29], off
	global_load_dword v52, v[30:31], off
	global_load_dword v53, v[32:33], off
	global_load_dword v54, v[34:35], off
	global_load_dword v65, v[36:37], off
	global_load_dword v66, v[38:39], off
	v_add_u32_e32 v24, s71, v94
	v_ashrrev_i32_e32 v25, 31, v24
	v_add_u32_e32 v26, s72, v94
	v_add_u32_e32 v28, s73, v94
	v_add_u32_e32 v30, s74, v94
	v_add_u32_e32 v32, s75, v94
	v_add_u32_e32 v34, s76, v94
	v_add_u32_e32 v36, s77, v94
	v_add_u32_e32 v38, s78, v94
	v_lshl_add_u64 v[24:25], v[24:25], 2, v[16:17]
	v_ashrrev_i32_e32 v27, 31, v26
	v_ashrrev_i32_e32 v29, 31, v28
	v_ashrrev_i32_e32 v31, 31, v30
	v_ashrrev_i32_e32 v33, 31, v32
	v_ashrrev_i32_e32 v35, 31, v34
	v_ashrrev_i32_e32 v37, 31, v36
	v_ashrrev_i32_e32 v39, 31, v38
	v_lshl_add_u64 v[26:27], v[26:27], 2, v[16:17]
	v_lshl_add_u64 v[28:29], v[28:29], 2, v[16:17]
	v_lshl_add_u64 v[30:31], v[30:31], 2, v[16:17]
	v_lshl_add_u64 v[32:33], v[32:33], 2, v[16:17]
	v_lshl_add_u64 v[34:35], v[34:35], 2, v[16:17]
	v_lshl_add_u64 v[36:37], v[36:37], 2, v[16:17]
	v_lshl_add_u64 v[38:39], v[38:39], 2, v[16:17]
	global_load_dword v67, v[24:25], off
	global_load_dword v68, v[26:27], off
	global_load_dword v69, v[28:29], off
	global_load_dword v70, v[30:31], off
	global_load_dword v71, v[32:33], off
	global_load_dword v72, v[34:35], off
	global_load_dword v73, v[36:37], off
	global_load_dword v74, v[38:39], off
	v_add_u32_e32 v24, s79, v94
	v_ashrrev_i32_e32 v25, 31, v24
	v_add_u32_e32 v26, s80, v94
	v_add_u32_e32 v28, s81, v94
	v_add_u32_e32 v30, s82, v94
	v_add_u32_e32 v32, s83, v94
	v_add_u32_e32 v34, s84, v94
	v_add_u32_e32 v36, s85, v94
	v_add_u32_e32 v38, s86, v94
	v_lshl_add_u64 v[24:25], v[24:25], 2, v[16:17]
	v_ashrrev_i32_e32 v27, 31, v26
	v_ashrrev_i32_e32 v29, 31, v28
	v_ashrrev_i32_e32 v31, 31, v30
	v_ashrrev_i32_e32 v33, 31, v32
	v_ashrrev_i32_e32 v35, 31, v34
	v_ashrrev_i32_e32 v37, 31, v36
	v_ashrrev_i32_e32 v39, 31, v38
	v_lshl_add_u64 v[26:27], v[26:27], 2, v[16:17]
	v_lshl_add_u64 v[28:29], v[28:29], 2, v[16:17]
	;; [unrolled: 32-line block ×3, first 2 shown]
	v_lshl_add_u64 v[30:31], v[30:31], 2, v[16:17]
	v_lshl_add_u64 v[32:33], v[32:33], 2, v[16:17]
	;; [unrolled: 1-line block ×5, first 2 shown]
	global_load_dword v83, v[24:25], off
	global_load_dword v84, v[26:27], off
	;; [unrolled: 1-line block ×8, first 2 shown]
	v_add_u32_e32 v24, s95, v94
	v_ashrrev_i32_e32 v25, 31, v24
	v_add_u32_e32 v26, s96, v94
	v_add_u32_e32 v28, s97, v94
	;; [unrolled: 1-line block ×5, first 2 shown]
	v_lshl_add_u64 v[24:25], v[24:25], 2, v[16:17]
	v_ashrrev_i32_e32 v27, 31, v26
	v_ashrrev_i32_e32 v29, 31, v28
	;; [unrolled: 1-line block ×5, first 2 shown]
	v_lshl_add_u64 v[26:27], v[26:27], 2, v[16:17]
	v_lshl_add_u64 v[28:29], v[28:29], 2, v[16:17]
	;; [unrolled: 1-line block ×5, first 2 shown]
	global_load_dword v100, v[24:25], off
	global_load_dword v101, v[26:27], off
	;; [unrolled: 1-line block ×6, first 2 shown]
	s_waitcnt vmcnt(54)
	ds_write_b32 v95, v56 offset:2376
	s_waitcnt vmcnt(53)
	ds_write_b32 v95, v57 offset:2640
	s_waitcnt vmcnt(52)
	ds_write_b32 v95, v58 offset:2904
	s_waitcnt vmcnt(51)
	ds_write_b32 v95, v59 offset:3168
	s_waitcnt vmcnt(50)
	ds_write_b32 v95, v60 offset:3432
	s_waitcnt vmcnt(49)
	ds_write_b32 v95, v61 offset:3696
	s_waitcnt vmcnt(48)
	ds_write_b32 v95, v62 offset:3960
	global_load_dwordx2 v[88:89], v[22:23], off
	ds_read_b64 v[40:41], v96
	ds_read_b64 v[36:37], v96 offset:32
	ds_read_b64 v[34:35], v96 offset:64
	ds_read_b64 v[32:33], v96 offset:96
	ds_read_b64 v[30:31], v96 offset:128
	ds_read_b64 v[28:29], v96 offset:160
	ds_read_b64 v[26:27], v96 offset:192
	ds_read_b64 v[24:25], v96 offset:224
	s_waitcnt vmcnt(48)
	ds_write_b32 v95, v63
	s_waitcnt vmcnt(47)
	ds_write_b32 v95, v64 offset:264
	s_waitcnt vmcnt(46)
	ds_write_b32 v95, v18 offset:528
	s_waitcnt vmcnt(45)
	ds_write_b32 v95, v42 offset:792
	s_waitcnt vmcnt(44)
	ds_write_b32 v95, v43 offset:1056
	s_waitcnt vmcnt(43)
	ds_write_b32 v95, v44 offset:1320
	s_waitcnt vmcnt(42)
	ds_write_b32 v95, v45 offset:1584
	s_waitcnt vmcnt(41)
	ds_write_b32 v95, v46 offset:1848
	s_waitcnt vmcnt(40)
	ds_write_b32 v95, v47 offset:2112
	s_waitcnt vmcnt(39)
	ds_write_b32 v95, v48 offset:2376
	s_waitcnt vmcnt(38)
	ds_write_b32 v95, v49 offset:2640
	s_waitcnt vmcnt(37)
	ds_write_b32 v95, v50 offset:2904
	s_waitcnt vmcnt(36)
	ds_write_b32 v95, v51 offset:3168
	s_waitcnt vmcnt(35)
	ds_write_b32 v95, v52 offset:3432
	s_waitcnt vmcnt(34)
	ds_write_b32 v95, v53 offset:3696
	s_waitcnt vmcnt(33)
	ds_write_b32 v95, v54 offset:3960
	ds_read_b64 v[58:59], v96
	ds_read_b64 v[54:55], v96 offset:32
	ds_read_b64 v[50:51], v96 offset:64
	ds_read_b64 v[48:49], v96 offset:96
	ds_read_b64 v[46:47], v96 offset:128
	ds_read_b64 v[44:45], v96 offset:160
	ds_read_b64 v[42:43], v96 offset:192
	ds_read_b64 v[38:39], v96 offset:224
	s_waitcnt vmcnt(32)
	ds_write_b32 v95, v65
	s_waitcnt vmcnt(31)
	ds_write_b32 v95, v66 offset:264
	s_waitcnt vmcnt(30)
	ds_write_b32 v95, v67 offset:528
	s_waitcnt vmcnt(29)
	ds_write_b32 v95, v68 offset:792
	s_waitcnt vmcnt(28)
	ds_write_b32 v95, v69 offset:1056
	s_waitcnt vmcnt(27)
	ds_write_b32 v95, v70 offset:1320
	s_waitcnt vmcnt(26)
	ds_write_b32 v95, v71 offset:1584
	s_waitcnt vmcnt(25)
	ds_write_b32 v95, v72 offset:1848
	s_waitcnt vmcnt(24)
	ds_write_b32 v95, v73 offset:2112
	s_waitcnt vmcnt(23)
	ds_write_b32 v95, v74 offset:2376
	s_waitcnt vmcnt(22)
	ds_write_b32 v95, v75 offset:2640
	s_waitcnt vmcnt(21)
	ds_write_b32 v95, v76 offset:2904
	s_waitcnt vmcnt(20)
	ds_write_b32 v95, v77 offset:3168
	s_waitcnt vmcnt(19)
	ds_write_b32 v95, v78 offset:3432
	s_waitcnt vmcnt(18)
	ds_write_b32 v95, v79 offset:3696
	s_waitcnt vmcnt(17)
	ds_write_b32 v95, v80 offset:3960
	ds_read_b64 v[72:73], v96
	ds_read_b64 v[70:71], v96 offset:32
	ds_read_b64 v[68:69], v96 offset:64
	ds_read_b64 v[66:67], v96 offset:96
	ds_read_b64 v[64:65], v96 offset:128
	ds_read_b64 v[62:63], v96 offset:160
	ds_read_b64 v[60:61], v96 offset:192
	ds_read_b64 v[52:53], v96 offset:224
	s_waitcnt vmcnt(16)
	ds_write_b32 v95, v81
	s_waitcnt vmcnt(15)
	ds_write_b32 v95, v82 offset:264
	s_waitcnt vmcnt(14)
	ds_write_b32 v95, v83 offset:528
	s_waitcnt vmcnt(13)
	ds_write_b32 v95, v84 offset:792
	s_waitcnt vmcnt(12)
	ds_write_b32 v95, v85 offset:1056
	s_waitcnt vmcnt(11)
	ds_write_b32 v95, v86 offset:1320
	s_waitcnt vmcnt(10)
	ds_write_b32 v95, v87 offset:1584
	s_waitcnt vmcnt(9)
	ds_write_b32 v95, v97 offset:1848
	s_waitcnt vmcnt(8)
	ds_write_b32 v95, v98 offset:2112
	s_waitcnt vmcnt(7)
	ds_write_b32 v95, v99 offset:2376
	s_waitcnt vmcnt(6)
	ds_write_b32 v95, v100 offset:2640
	s_waitcnt vmcnt(5)
	ds_write_b32 v95, v101 offset:2904
	s_waitcnt vmcnt(4)
	ds_write_b32 v95, v102 offset:3168
	s_waitcnt vmcnt(3)
	ds_write_b32 v95, v103 offset:3432
	s_waitcnt vmcnt(2)
	ds_write_b32 v95, v104 offset:3696
	s_waitcnt vmcnt(1)
	ds_write_b32 v95, v105 offset:3960
	ds_read_b64 v[86:87], v96
	ds_read_b64 v[84:85], v96 offset:32
	ds_read_b64 v[82:83], v96 offset:64
	;; [unrolled: 1-line block ×7, first 2 shown]
	s_waitcnt vmcnt(0)
	v_and_b32_e32 v18, 0x7f800000, v88
	v_cmp_ne_u32_e32 vcc, s6, v18
                                        ; implicit-def: $vgpr18
	s_and_saveexec_b64 s[26:27], vcc
	s_xor_b64 s[26:27], exec, s[26:27]
; %bb.6:                                ;   in Loop: Header=BB137_5 Depth=1
	v_bfe_u32 v18, v88, 16, 1
	v_add3_u32 v18, v88, v18, s7
; %bb.7:                                ;   in Loop: Header=BB137_5 Depth=1
	s_andn2_saveexec_b64 s[26:27], s[26:27]
; %bb.8:                                ;   in Loop: Header=BB137_5 Depth=1
	v_or_b32_e32 v18, 0x10000, v88
	v_cmp_eq_u32_sdwa vcc, v88, v19 src0_sel:WORD_0 src1_sel:DWORD
	s_nop 1
	v_cndmask_b32_e32 v18, v18, v88, vcc
; %bb.9:                                ;   in Loop: Header=BB137_5 Depth=1
	s_or_b64 exec, exec, s[26:27]
	v_and_b32_e32 v88, 0x7f800000, v89
	v_cmp_ne_u32_e32 vcc, s6, v88
                                        ; implicit-def: $vgpr97
	s_and_saveexec_b64 s[26:27], vcc
	s_xor_b64 s[26:27], exec, s[26:27]
; %bb.10:                               ;   in Loop: Header=BB137_5 Depth=1
	v_bfe_u32 v88, v89, 16, 1
	v_add3_u32 v97, v89, v88, s7
                                        ; implicit-def: $vgpr88_vgpr89
; %bb.11:                               ;   in Loop: Header=BB137_5 Depth=1
	s_andn2_saveexec_b64 s[26:27], s[26:27]
; %bb.12:                               ;   in Loop: Header=BB137_5 Depth=1
	v_or_b32_e32 v88, 0x10000, v89
	v_cmp_eq_u32_sdwa vcc, v89, v19 src0_sel:WORD_0 src1_sel:DWORD
	s_nop 1
	v_cndmask_b32_e32 v97, v88, v89, vcc
; %bb.13:                               ;   in Loop: Header=BB137_5 Depth=1
	s_or_b64 exec, exec, s[26:27]
	v_lshl_add_u64 v[88:89], v[22:23], 0, s[12:13]
	global_load_dwordx2 v[88:89], v[88:89], off
	v_perm_b32 v18, v97, v18, s2
	ds_write_b32 v95, v18
	s_waitcnt vmcnt(0)
	v_and_b32_e32 v18, 0x7f800000, v88
	v_cmp_ne_u32_e32 vcc, s6, v18
                                        ; implicit-def: $vgpr18
	s_and_saveexec_b64 s[26:27], vcc
	s_xor_b64 s[26:27], exec, s[26:27]
; %bb.14:                               ;   in Loop: Header=BB137_5 Depth=1
	v_bfe_u32 v18, v88, 16, 1
	v_add3_u32 v18, v88, v18, s7
; %bb.15:                               ;   in Loop: Header=BB137_5 Depth=1
	s_andn2_saveexec_b64 s[26:27], s[26:27]
; %bb.16:                               ;   in Loop: Header=BB137_5 Depth=1
	v_or_b32_e32 v18, 0x10000, v88
	v_cmp_eq_u32_sdwa vcc, v88, v19 src0_sel:WORD_0 src1_sel:DWORD
	s_nop 1
	v_cndmask_b32_e32 v18, v18, v88, vcc
; %bb.17:                               ;   in Loop: Header=BB137_5 Depth=1
	s_or_b64 exec, exec, s[26:27]
	v_and_b32_e32 v88, 0x7f800000, v89
	v_cmp_ne_u32_e32 vcc, s6, v88
                                        ; implicit-def: $vgpr97
	s_and_saveexec_b64 s[26:27], vcc
	s_xor_b64 s[26:27], exec, s[26:27]
; %bb.18:                               ;   in Loop: Header=BB137_5 Depth=1
	v_bfe_u32 v88, v89, 16, 1
	v_add3_u32 v97, v89, v88, s7
                                        ; implicit-def: $vgpr88_vgpr89
; %bb.19:                               ;   in Loop: Header=BB137_5 Depth=1
	s_andn2_saveexec_b64 s[26:27], s[26:27]
; %bb.20:                               ;   in Loop: Header=BB137_5 Depth=1
	v_or_b32_e32 v88, 0x10000, v89
	v_cmp_eq_u32_sdwa vcc, v89, v19 src0_sel:WORD_0 src1_sel:DWORD
	s_nop 1
	v_cndmask_b32_e32 v97, v88, v89, vcc
; %bb.21:                               ;   in Loop: Header=BB137_5 Depth=1
	s_or_b64 exec, exec, s[26:27]
	v_add_u32_e32 v88, s14, v94
	v_ashrrev_i32_e32 v89, 31, v88
	v_lshl_add_u64 v[88:89], v[88:89], 3, s[0:1]
	global_load_dwordx2 v[88:89], v[88:89], off
	v_perm_b32 v18, v97, v18, s2
	ds_write_b32 v95, v18 offset:264
	s_waitcnt vmcnt(0)
	v_and_b32_e32 v18, 0x7f800000, v88
	v_cmp_ne_u32_e32 vcc, s6, v18
                                        ; implicit-def: $vgpr18
	s_and_saveexec_b64 s[26:27], vcc
	s_xor_b64 s[26:27], exec, s[26:27]
; %bb.22:                               ;   in Loop: Header=BB137_5 Depth=1
	v_bfe_u32 v18, v88, 16, 1
	v_add3_u32 v18, v88, v18, s7
; %bb.23:                               ;   in Loop: Header=BB137_5 Depth=1
	s_andn2_saveexec_b64 s[26:27], s[26:27]
; %bb.24:                               ;   in Loop: Header=BB137_5 Depth=1
	v_or_b32_e32 v18, 0x10000, v88
	v_cmp_eq_u32_sdwa vcc, v88, v19 src0_sel:WORD_0 src1_sel:DWORD
	s_nop 1
	v_cndmask_b32_e32 v18, v18, v88, vcc
; %bb.25:                               ;   in Loop: Header=BB137_5 Depth=1
	s_or_b64 exec, exec, s[26:27]
	v_and_b32_e32 v88, 0x7f800000, v89
	v_cmp_ne_u32_e32 vcc, s6, v88
                                        ; implicit-def: $vgpr97
	s_and_saveexec_b64 s[26:27], vcc
	s_xor_b64 s[26:27], exec, s[26:27]
; %bb.26:                               ;   in Loop: Header=BB137_5 Depth=1
	v_bfe_u32 v88, v89, 16, 1
	v_add3_u32 v97, v89, v88, s7
                                        ; implicit-def: $vgpr88_vgpr89
; %bb.27:                               ;   in Loop: Header=BB137_5 Depth=1
	s_andn2_saveexec_b64 s[26:27], s[26:27]
; %bb.28:                               ;   in Loop: Header=BB137_5 Depth=1
	v_or_b32_e32 v88, 0x10000, v89
	v_cmp_eq_u32_sdwa vcc, v89, v19 src0_sel:WORD_0 src1_sel:DWORD
	s_nop 1
	v_cndmask_b32_e32 v97, v88, v89, vcc
; %bb.29:                               ;   in Loop: Header=BB137_5 Depth=1
	s_or_b64 exec, exec, s[26:27]
	v_add_u32_e32 v88, s19, v94
	v_ashrrev_i32_e32 v89, 31, v88
	v_lshl_add_u64 v[88:89], v[88:89], 3, s[0:1]
	global_load_dwordx2 v[88:89], v[88:89], off
	v_perm_b32 v18, v97, v18, s2
	ds_write_b32 v95, v18 offset:528
	;; [unrolled: 42-line block ×10, first 2 shown]
	s_waitcnt vmcnt(0)
	v_and_b32_e32 v18, 0x7f800000, v88
	v_cmp_ne_u32_e32 vcc, s6, v18
                                        ; implicit-def: $vgpr18
	s_and_saveexec_b64 s[26:27], vcc
	s_xor_b64 s[26:27], exec, s[26:27]
; %bb.94:                               ;   in Loop: Header=BB137_5 Depth=1
	v_bfe_u32 v18, v88, 16, 1
	v_add3_u32 v18, v88, v18, s7
; %bb.95:                               ;   in Loop: Header=BB137_5 Depth=1
	s_andn2_saveexec_b64 s[26:27], s[26:27]
; %bb.96:                               ;   in Loop: Header=BB137_5 Depth=1
	v_or_b32_e32 v18, 0x10000, v88
	v_cmp_eq_u32_sdwa vcc, v88, v19 src0_sel:WORD_0 src1_sel:DWORD
	s_nop 1
	v_cndmask_b32_e32 v18, v18, v88, vcc
; %bb.97:                               ;   in Loop: Header=BB137_5 Depth=1
	s_or_b64 exec, exec, s[26:27]
	v_and_b32_e32 v88, 0x7f800000, v89
	v_cmp_ne_u32_e32 vcc, s6, v88
                                        ; implicit-def: $vgpr97
	s_and_saveexec_b64 s[26:27], vcc
	s_xor_b64 s[26:27], exec, s[26:27]
; %bb.98:                               ;   in Loop: Header=BB137_5 Depth=1
	v_bfe_u32 v88, v89, 16, 1
	v_add3_u32 v97, v89, v88, s7
                                        ; implicit-def: $vgpr88_vgpr89
; %bb.99:                               ;   in Loop: Header=BB137_5 Depth=1
	s_andn2_saveexec_b64 s[26:27], s[26:27]
; %bb.100:                              ;   in Loop: Header=BB137_5 Depth=1
	v_or_b32_e32 v88, 0x10000, v89
	v_cmp_eq_u32_sdwa vcc, v89, v19 src0_sel:WORD_0 src1_sel:DWORD
	s_nop 1
	v_cndmask_b32_e32 v97, v88, v89, vcc
; %bb.101:                              ;   in Loop: Header=BB137_5 Depth=1
	s_or_b64 exec, exec, s[26:27]
	v_add_u32_e32 v88, s37, v94
	v_ashrrev_i32_e32 v89, 31, v88
	v_lshl_add_u64 v[88:89], v[88:89], 3, s[0:1]
	global_load_dwordx2 v[88:89], v[88:89], off
	v_perm_b32 v18, v97, v18, s2
	ds_write_b32 v95, v18 offset:2904
	s_waitcnt vmcnt(0)
	v_and_b32_e32 v18, 0x7f800000, v88
	v_cmp_ne_u32_e32 vcc, s6, v18
                                        ; implicit-def: $vgpr18
	s_and_saveexec_b64 s[26:27], vcc
	s_xor_b64 s[26:27], exec, s[26:27]
; %bb.102:                              ;   in Loop: Header=BB137_5 Depth=1
	v_bfe_u32 v18, v88, 16, 1
	v_add3_u32 v18, v88, v18, s7
; %bb.103:                              ;   in Loop: Header=BB137_5 Depth=1
	s_andn2_saveexec_b64 s[26:27], s[26:27]
; %bb.104:                              ;   in Loop: Header=BB137_5 Depth=1
	v_or_b32_e32 v18, 0x10000, v88
	v_cmp_eq_u32_sdwa vcc, v88, v19 src0_sel:WORD_0 src1_sel:DWORD
	s_nop 1
	v_cndmask_b32_e32 v18, v18, v88, vcc
; %bb.105:                              ;   in Loop: Header=BB137_5 Depth=1
	s_or_b64 exec, exec, s[26:27]
	v_and_b32_e32 v88, 0x7f800000, v89
	v_cmp_ne_u32_e32 vcc, s6, v88
                                        ; implicit-def: $vgpr97
	s_and_saveexec_b64 s[26:27], vcc
	s_xor_b64 s[26:27], exec, s[26:27]
; %bb.106:                              ;   in Loop: Header=BB137_5 Depth=1
	v_bfe_u32 v88, v89, 16, 1
	v_add3_u32 v97, v89, v88, s7
                                        ; implicit-def: $vgpr88_vgpr89
; %bb.107:                              ;   in Loop: Header=BB137_5 Depth=1
	s_andn2_saveexec_b64 s[26:27], s[26:27]
; %bb.108:                              ;   in Loop: Header=BB137_5 Depth=1
	v_or_b32_e32 v88, 0x10000, v89
	v_cmp_eq_u32_sdwa vcc, v89, v19 src0_sel:WORD_0 src1_sel:DWORD
	s_nop 1
	v_cndmask_b32_e32 v97, v88, v89, vcc
; %bb.109:                              ;   in Loop: Header=BB137_5 Depth=1
	s_or_b64 exec, exec, s[26:27]
	v_add_u32_e32 v88, s38, v94
	v_ashrrev_i32_e32 v89, 31, v88
	v_lshl_add_u64 v[88:89], v[88:89], 3, s[0:1]
	global_load_dwordx2 v[88:89], v[88:89], off
	v_perm_b32 v18, v97, v18, s2
	ds_write_b32 v95, v18 offset:3168
	s_waitcnt vmcnt(0)
	v_and_b32_e32 v18, 0x7f800000, v88
	v_cmp_ne_u32_e32 vcc, s6, v18
                                        ; implicit-def: $vgpr18
	s_and_saveexec_b64 s[26:27], vcc
	s_xor_b64 s[26:27], exec, s[26:27]
; %bb.110:                              ;   in Loop: Header=BB137_5 Depth=1
	v_bfe_u32 v18, v88, 16, 1
	v_add3_u32 v18, v88, v18, s7
; %bb.111:                              ;   in Loop: Header=BB137_5 Depth=1
	s_andn2_saveexec_b64 s[26:27], s[26:27]
; %bb.112:                              ;   in Loop: Header=BB137_5 Depth=1
	v_or_b32_e32 v18, 0x10000, v88
	v_cmp_eq_u32_sdwa vcc, v88, v19 src0_sel:WORD_0 src1_sel:DWORD
	s_nop 1
	v_cndmask_b32_e32 v18, v18, v88, vcc
; %bb.113:                              ;   in Loop: Header=BB137_5 Depth=1
	s_or_b64 exec, exec, s[26:27]
	v_and_b32_e32 v88, 0x7f800000, v89
	v_cmp_ne_u32_e32 vcc, s6, v88
                                        ; implicit-def: $vgpr97
	s_and_saveexec_b64 s[26:27], vcc
	s_xor_b64 s[26:27], exec, s[26:27]
; %bb.114:                              ;   in Loop: Header=BB137_5 Depth=1
	v_bfe_u32 v88, v89, 16, 1
	v_add3_u32 v97, v89, v88, s7
                                        ; implicit-def: $vgpr88_vgpr89
; %bb.115:                              ;   in Loop: Header=BB137_5 Depth=1
	s_andn2_saveexec_b64 s[26:27], s[26:27]
	s_cbranch_execz .LBB137_4
; %bb.116:                              ;   in Loop: Header=BB137_5 Depth=1
	v_or_b32_e32 v88, 0x10000, v89
	v_cmp_eq_u32_sdwa vcc, v89, v19 src0_sel:WORD_0 src1_sel:DWORD
	s_nop 1
	v_cndmask_b32_e32 v97, v88, v89, vcc
	s_branch .LBB137_4
.LBB137_117:
	s_or_b64 exec, exec, s[16:17]
	v_readlane_b32 s6, v106, 0
	v_readlane_b32 s27, v106, 2
	;; [unrolled: 1-line block ×3, first 2 shown]
.LBB137_118:
	s_or_b64 exec, exec, s[24:25]
	v_mul_u32_u24_e32 v16, 0x508, v93
	v_lshlrev_b32_e32 v17, 2, v92
	v_add3_u32 v16, 0, v16, v17
	v_and_b32_e32 v17, 0x3f0, v91
	s_waitcnt lgkmcnt(0)
	s_mul_hi_i32 s1, s15, s4
	s_mul_i32 s0, s15, s4
	v_add_u32_e32 v17, v16, v17
	s_lshl_b64 s[0:1], s[0:1], 2
	s_barrier
	ds_write2_b32 v17, v8, v9 offset1:1
	ds_write_b32 v17, v10 offset:8
	v_or_b32_e32 v8, 12, v91
	s_mul_i32 s2, s3, s11
	s_add_u32 s4, s6, s0
	v_and_b32_e32 v8, 0x3fc, v8
	s_addc_u32 s5, s7, s1
	s_ashr_i32 s3, s2, 31
	v_add_u32_e32 v8, v16, v8
	s_lshl_b64 s[0:1], s[2:3], 2
	s_movk_i32 s2, 0x508
	ds_write_b32 v8, v11
	ds_write2_b32 v17, v4, v5 offset0:16 offset1:17
	ds_write_b32 v17, v6 offset:72
	ds_write_b32 v8, v7 offset:64
	ds_write2_b32 v17, v0, v1 offset0:32 offset1:33
	ds_write_b32 v17, v2 offset:136
	ds_write_b32 v8, v3 offset:128
	;; [unrolled: 3-line block ×3, first 2 shown]
	v_lshl_add_u32 v2, v91, 2, 0
	v_mad_u32_u24 v3, v90, s2, v2
	s_waitcnt lgkmcnt(0)
	s_barrier
	ds_read2st64_b32 v[0:1], v3 offset1:1
	ds_read2st64_b32 v[4:5], v3 offset0:2 offset1:3
	ds_read_b32 v6, v3 offset:1024
	ds_read_b32 v10, v3 offset:7464
	v_add_u32_e32 v3, 40, v3
	s_add_u32 s0, s4, s0
	s_addc_u32 s1, s5, s1
	s_waitcnt lgkmcnt(3)
	v_add_f32_e32 v0, 0, v0
	v_add_f32_e32 v0, v0, v1
	s_waitcnt lgkmcnt(2)
	v_add_f32_e32 v0, v0, v4
	v_add_f32_e32 v0, v0, v5
	ds_read2st64_b32 v[4:5], v3 offset0:25 offset1:26
	s_waitcnt lgkmcnt(2)
	v_add_f32_e32 v11, v0, v6
	ds_read2st64_b32 v[6:7], v3 offset0:27 offset1:28
	v_mul_lo_u32 v0, v90, s18
	v_add3_u32 v0, s27, v91, v0
	s_waitcnt lgkmcnt(1)
	v_add_f32_e32 v3, 0, v4
	v_add_f32_e32 v3, v3, v5
	v_mov_b32_e32 v1, 0
	s_waitcnt lgkmcnt(0)
	v_add_f32_e32 v3, v3, v6
	s_mul_i32 s2, s18, 5
	v_lshl_add_u64 v[8:9], v[0:1], 2, s[0:1]
	v_add_f32_e32 v3, v3, v7
	v_add_u32_e32 v0, s2, v0
	v_add_f32_e32 v3, v3, v10
	v_lshl_add_u64 v[4:5], v[0:1], 2, s[0:1]
	v_cmp_gt_u32_e32 vcc, 4, v90
	global_store_dword v[8:9], v11, off
	global_store_dword v[4:5], v3, off
	s_and_saveexec_b64 s[4:5], vcc
	s_cbranch_execz .LBB137_120
; %bb.119:
	v_mul_u32_u24_e32 v3, 0x508, v90
	v_add_u32_e32 v6, v2, v3
	v_add_u32_e32 v4, 0x50, v6
	ds_read2st64_b32 v[2:3], v4 offset0:50 offset1:51
	ds_read2st64_b32 v[4:5], v4 offset0:52 offset1:53
	ds_read_b32 v6, v6 offset:13904
	v_add_u32_e32 v0, s2, v0
	v_lshl_add_u64 v[0:1], v[0:1], 2, s[0:1]
	s_waitcnt lgkmcnt(2)
	v_add_f32_e32 v2, 0, v2
	v_add_f32_e32 v2, v2, v3
	s_waitcnt lgkmcnt(1)
	v_add_f32_e32 v2, v2, v4
	v_add_f32_e32 v2, v2, v5
	s_waitcnt lgkmcnt(0)
	v_add_f32_e32 v2, v2, v6
	global_store_dword v[0:1], v2, off
.LBB137_120:
	s_endpgm
	.section	.rodata,"a",@progbits
	.p2align	6, 0x0
	.amdhsa_kernel _ZL9mul_mat_fI15__hip_bfloat162Li64ELi14ELi5ELb0EEvPKT_PKfPKiPfiiiiiiiiiiiiiiii
		.amdhsa_group_segment_fixed_size 0
		.amdhsa_private_segment_fixed_size 0
		.amdhsa_kernarg_size 96
		.amdhsa_user_sgpr_count 2
		.amdhsa_user_sgpr_dispatch_ptr 0
		.amdhsa_user_sgpr_queue_ptr 0
		.amdhsa_user_sgpr_kernarg_segment_ptr 1
		.amdhsa_user_sgpr_dispatch_id 0
		.amdhsa_user_sgpr_kernarg_preload_length 0
		.amdhsa_user_sgpr_kernarg_preload_offset 0
		.amdhsa_user_sgpr_private_segment_size 0
		.amdhsa_uses_dynamic_stack 0
		.amdhsa_enable_private_segment 0
		.amdhsa_system_sgpr_workgroup_id_x 1
		.amdhsa_system_sgpr_workgroup_id_y 1
		.amdhsa_system_sgpr_workgroup_id_z 1
		.amdhsa_system_sgpr_workgroup_info 0
		.amdhsa_system_vgpr_workitem_id 1
		.amdhsa_next_free_vgpr 107
		.amdhsa_next_free_sgpr 100
		.amdhsa_accum_offset 108
		.amdhsa_reserve_vcc 1
		.amdhsa_float_round_mode_32 0
		.amdhsa_float_round_mode_16_64 0
		.amdhsa_float_denorm_mode_32 3
		.amdhsa_float_denorm_mode_16_64 3
		.amdhsa_dx10_clamp 1
		.amdhsa_ieee_mode 1
		.amdhsa_fp16_overflow 0
		.amdhsa_tg_split 0
		.amdhsa_exception_fp_ieee_invalid_op 0
		.amdhsa_exception_fp_denorm_src 0
		.amdhsa_exception_fp_ieee_div_zero 0
		.amdhsa_exception_fp_ieee_overflow 0
		.amdhsa_exception_fp_ieee_underflow 0
		.amdhsa_exception_fp_ieee_inexact 0
		.amdhsa_exception_int_div_zero 0
	.end_amdhsa_kernel
	.section	.text._ZL9mul_mat_fI15__hip_bfloat162Li64ELi14ELi5ELb0EEvPKT_PKfPKiPfiiiiiiiiiiiiiiii,"axG",@progbits,_ZL9mul_mat_fI15__hip_bfloat162Li64ELi14ELi5ELb0EEvPKT_PKfPKiPfiiiiiiiiiiiiiiii,comdat
.Lfunc_end137:
	.size	_ZL9mul_mat_fI15__hip_bfloat162Li64ELi14ELi5ELb0EEvPKT_PKfPKiPfiiiiiiiiiiiiiiii, .Lfunc_end137-_ZL9mul_mat_fI15__hip_bfloat162Li64ELi14ELi5ELb0EEvPKT_PKfPKiPfiiiiiiiiiiiiiiii
                                        ; -- End function
	.section	.AMDGPU.csdata,"",@progbits
; Kernel info:
; codeLenInByte = 7064
; NumSgprs: 106
; NumVgprs: 107
; NumAgprs: 0
; TotalNumVgprs: 107
; ScratchSize: 0
; MemoryBound: 0
; FloatMode: 240
; IeeeMode: 1
; LDSByteSize: 0 bytes/workgroup (compile time only)
; SGPRBlocks: 13
; VGPRBlocks: 13
; NumSGPRsForWavesPerEU: 106
; NumVGPRsForWavesPerEU: 107
; AccumOffset: 108
; Occupancy: 4
; WaveLimiterHint : 0
; COMPUTE_PGM_RSRC2:SCRATCH_EN: 0
; COMPUTE_PGM_RSRC2:USER_SGPR: 2
; COMPUTE_PGM_RSRC2:TRAP_HANDLER: 0
; COMPUTE_PGM_RSRC2:TGID_X_EN: 1
; COMPUTE_PGM_RSRC2:TGID_Y_EN: 1
; COMPUTE_PGM_RSRC2:TGID_Z_EN: 1
; COMPUTE_PGM_RSRC2:TIDIG_COMP_CNT: 1
; COMPUTE_PGM_RSRC3_GFX90A:ACCUM_OFFSET: 26
; COMPUTE_PGM_RSRC3_GFX90A:TG_SPLIT: 0
	.section	.text._ZL13mul_mat_f_idsI15__hip_bfloat162Li64ELi14ELi6EEvPKT_PKfPKiS7_S7_Pfiiiiiiiiiiiiii15HIP_vector_typeIjLj3EESA_,"axG",@progbits,_ZL13mul_mat_f_idsI15__hip_bfloat162Li64ELi14ELi6EEvPKT_PKfPKiS7_S7_Pfiiiiiiiiiiiiii15HIP_vector_typeIjLj3EESA_,comdat
	.globl	_ZL13mul_mat_f_idsI15__hip_bfloat162Li64ELi14ELi6EEvPKT_PKfPKiS7_S7_Pfiiiiiiiiiiiiii15HIP_vector_typeIjLj3EESA_ ; -- Begin function _ZL13mul_mat_f_idsI15__hip_bfloat162Li64ELi14ELi6EEvPKT_PKfPKiS7_S7_Pfiiiiiiiiiiiiii15HIP_vector_typeIjLj3EESA_
	.p2align	8
	.type	_ZL13mul_mat_f_idsI15__hip_bfloat162Li64ELi14ELi6EEvPKT_PKfPKiS7_S7_Pfiiiiiiiiiiiiii15HIP_vector_typeIjLj3EESA_,@function
_ZL13mul_mat_f_idsI15__hip_bfloat162Li64ELi14ELi6EEvPKT_PKfPKiS7_S7_Pfiiiiiiiiiiiiii15HIP_vector_typeIjLj3EESA_: ; @_ZL13mul_mat_f_idsI15__hip_bfloat162Li64ELi14ELi6EEvPKT_PKfPKiS7_S7_Pfiiiiiiiiiiiiii15HIP_vector_typeIjLj3EESA_
; %bb.0:
	s_load_dwordx2 s[6:7], s[0:1], 0x20
	s_mov_b32 s34, s3
	s_ashr_i32 s35, s3, 31
	s_lshl_b64 s[8:9], s[34:35], 2
	s_waitcnt lgkmcnt(0)
	s_add_u32 s6, s6, s8
	s_addc_u32 s7, s7, s9
	s_load_dwordx2 s[26:27], s[6:7], 0x0
	s_waitcnt lgkmcnt(0)
	s_sub_i32 s33, s27, s26
	s_add_i32 s3, s33, 13
	s_mul_hi_i32 s5, s3, 0x92492493
	s_add_i32 s5, s5, s3
	s_lshr_b32 s3, s5, 31
	s_ashr_i32 s5, s5, 3
	s_add_i32 s5, s5, s3
	s_cmp_ge_i32 s4, s5
	s_cbranch_scc1 .LBB138_171
; %bb.1:
	v_bfe_u32 v16, v0, 10, 10
	v_lshlrev_b32_e32 v114, 6, v16
	v_and_b32_e32 v17, 0x3ff, v0
	s_load_dwordx4 s[12:15], s[0:1], 0x30
	s_load_dwordx2 s[20:21], s[0:1], 0x40
	s_load_dwordx4 s[8:11], s[0:1], 0x4c
	s_load_dwordx4 s[16:19], s[0:1], 0x68
	s_load_dwordx2 s[24:25], s[0:1], 0x78
	v_add_u32_e32 v116, v114, v17
	s_ashr_i32 s27, s26, 31
	s_waitcnt lgkmcnt(0)
	v_cmp_le_i32_e32 vcc, s12, v116
	v_and_b32_e32 v115, 15, v17
                                        ; implicit-def: $sgpr3
	s_and_saveexec_b64 s[6:7], vcc
	s_xor_b64 s[6:7], exec, s[6:7]
; %bb.2:
	v_and_b32_e32 v115, 15, v17
	s_mov_b32 s3, 0
                                        ; implicit-def: $vgpr116
; %bb.3:
	s_or_saveexec_b64 s[22:23], s[6:7]
	s_load_dwordx2 s[6:7], s[0:1], 0x18
                                        ; implicit-def: $vgpr119 : SGPR spill to VGPR lane
	s_lshl_b32 s11, s2, 6
	s_mul_i32 s2, s4, 14
	v_mov_b32_e32 v15, s3
	v_mov_b32_e32 v14, s3
	s_waitcnt lgkmcnt(0)
	v_writelane_b32 v119, s6, 0
	v_mov_b32_e32 v13, s3
	v_mov_b32_e32 v12, s3
	v_writelane_b32 v119, s7, 1
	s_load_dwordx2 s[6:7], s[0:1], 0x28
	v_mov_b32_e32 v3, s3
	v_mov_b32_e32 v2, s3
	;; [unrolled: 1-line block ×4, first 2 shown]
	s_waitcnt lgkmcnt(0)
	v_writelane_b32 v119, s6, 2
	v_mov_b32_e32 v7, s3
	v_mov_b32_e32 v6, s3
	v_writelane_b32 v119, s7, 3
	v_mov_b32_e32 v5, s3
	v_mov_b32_e32 v4, s3
	;; [unrolled: 1-line block ×6, first 2 shown]
	v_writelane_b32 v119, s22, 4
	s_nop 1
	v_writelane_b32 v119, s23, 5
	s_xor_b64 exec, exec, s[22:23]
	s_cbranch_execz .LBB138_161
; %bb.4:
	v_writelane_b32 v119, s24, 6
	s_load_dwordx4 s[4:7], s[0:1], 0x0
	s_load_dwordx2 s[22:23], s[0:1], 0x10
	v_writelane_b32 v119, s25, 7
	s_mul_i32 s0, s34, s8
	s_mul_i32 s24, s11, s15
	s_ashr_i32 s1, s0, 31
	s_ashr_i32 s25, s24, 31
	s_lshl_b64 s[24:25], s[24:25], 2
	s_lshl_b64 s[0:1], s[0:1], 2
	s_add_u32 s24, s0, s24
	v_writelane_b32 v119, s11, 8
	s_addc_u32 s25, s1, s25
	s_waitcnt lgkmcnt(0)
	s_add_u32 s0, s24, s4
	v_writelane_b32 v119, s26, 9
	s_addc_u32 s1, s25, s5
	s_movk_i32 s3, 0x1080
	v_writelane_b32 v119, s27, 10
	s_lshl_b64 s[26:27], s[26:27], 2
	s_add_u32 s8, s22, s26
	s_addc_u32 s11, s23, s27
	s_cmp_lt_i32 s2, s33
	v_mad_u32_u24 v1, v16, s3, 0
	s_cselect_b64 s[34:35], -1, 0
	s_ashr_i32 s3, s2, 31
	s_lshl_b64 s[22:23], s[2:3], 2
	s_add_u32 s36, s8, s22
	s_addc_u32 s37, s11, s23
	s_or_b32 s3, s2, 1
	s_cmp_lt_i32 s3, s33
	v_lshrrev_b32_e32 v3, 1, v17
	s_cselect_b64 s[38:39], -1, 0
	s_add_i32 s3, s2, 2
	v_mov_b32_e32 v19, 0
	v_lshlrev_b32_e32 v0, 2, v17
	v_mul_u32_u24_e32 v2, 0x108, v115
	v_and_b32_e32 v3, 0x1f8, v3
	s_cmp_lt_i32 s3, s33
	v_lshlrev_b32_e32 v18, 8, v16
	v_add_u32_e32 v117, v1, v0
	v_add3_u32 v118, v1, v2, v3
	s_cselect_b64 s[40:41], -1, 0
	s_add_i32 s3, s2, 3
	v_lshl_add_u64 v[2:3], s[24:25], 0, v[18:19]
	v_mov_b32_e32 v1, v19
	s_cmp_lt_i32 s3, s33
	v_lshl_add_u64 v[0:1], v[2:3], 0, v[0:1]
	s_cselect_b64 s[42:43], -1, 0
	s_add_i32 s3, s2, 4
	v_lshl_add_u64 v[20:21], s[4:5], 0, v[0:1]
	s_mul_i32 s4, s15, 3
	s_cmp_lt_i32 s3, s33
	v_writelane_b32 v119, s4, 11
	s_mul_i32 s4, s15, 5
	s_cselect_b64 s[44:45], -1, 0
	s_add_i32 s3, s2, 5
	v_writelane_b32 v119, s4, 12
	s_mul_i32 s4, s15, 6
	s_cmp_lt_i32 s3, s33
	v_writelane_b32 v119, s4, 13
	s_mul_i32 s4, s15, 7
	s_cselect_b64 s[46:47], -1, 0
	s_add_i32 s3, s2, 6
	v_writelane_b32 v119, s4, 14
	;; [unrolled: 7-line block ×9, first 2 shown]
	s_mul_i32 s4, s15, 24
	s_cmp_lt_i32 s3, s33
	v_writelane_b32 v119, s4, 29
	s_mul_i32 s4, s15, 25
	s_cselect_b64 s[62:63], -1, 0
	s_ashr_i32 s23, s15, 31
	s_mov_b32 s22, s15
	v_writelane_b32 v119, s4, 30
	s_mul_i32 s4, s15, 26
	s_lshl_b64 s[64:65], s[22:23], 2
	s_lshl_b32 s3, s15, 1
	s_lshl_b32 s70, s15, 2
	s_lshl_b32 s74, s15, 3
	s_lshl_b32 s82, s15, 4
	v_writelane_b32 v119, s4, 31
	s_mul_i32 s93, s15, 27
	v_mov_b32_e32 v8, 0
	v_mov_b32_e32 v9, v19
	;; [unrolled: 1-line block ×16, first 2 shown]
	s_mul_i32 s94, s15, 28
	s_mul_i32 s95, s15, 29
	;; [unrolled: 1-line block ×4, first 2 shown]
	s_lshl_b32 s98, s15, 5
	s_mul_i32 s99, s15, 33
	s_mul_i32 s24, s15, 34
	;; [unrolled: 1-line block ×31, first 2 shown]
	s_mov_b32 s90, 0x7f800000
	s_movk_i32 s91, 0x7fff
	s_mov_b32 s92, 0x7060302
	s_mov_b64 s[4:5], 0
	s_mov_b64 s[66:67], 0x600
	s_branch .LBB138_6
.LBB138_5:                              ;   in Loop: Header=BB138_6 Depth=1
	s_or_b64 exec, exec, s[68:69]
	v_perm_b32 v18, v86, v18, s92
	v_add_u32_e32 v86, 0xc00, v117
	ds_write2_b32 v86, v18, v19 offset0:90 offset1:156
	ds_write_b32 v117, v19 offset:3960
	ds_read2_b64 v[86:89], v118 offset1:4
	v_add_u32_e32 v116, 0x180, v116
	v_cmp_le_i32_e32 vcc, s12, v116
	v_lshl_add_u64 v[20:21], v[20:21], 0, s[66:67]
	s_waitcnt lgkmcnt(0)
	v_mfma_f32_16x16x16_bf16 v[0:3], v[70:71], v[86:87], v[0:3]
	s_or_b64 s[4:5], vcc, s[4:5]
	v_mfma_f32_16x16x16_bf16 v[8:11], v[38:39], v[86:87], v[8:11]
	v_mfma_f32_16x16x16_bf16 v[4:7], v[54:55], v[86:87], v[4:7]
	v_mfma_f32_16x16x16_bf16 v[12:15], v[84:85], v[86:87], v[12:15]
	v_mfma_f32_16x16x16_bf16 v[0:3], v[68:69], v[88:89], v[0:3]
	ds_read2_b64 v[68:71], v118 offset0:8 offset1:12
	v_mfma_f32_16x16x16_bf16 v[8:11], v[34:35], v[88:89], v[8:11]
	v_mfma_f32_16x16x16_bf16 v[4:7], v[50:51], v[88:89], v[4:7]
	v_mfma_f32_16x16x16_bf16 v[12:15], v[82:83], v[88:89], v[12:15]
	s_waitcnt lgkmcnt(0)
	v_mfma_f32_16x16x16_bf16 v[8:11], v[32:33], v[68:69], v[8:11]
	v_mfma_f32_16x16x16_bf16 v[4:7], v[48:49], v[68:69], v[4:7]
	v_mfma_f32_16x16x16_bf16 v[0:3], v[66:67], v[68:69], v[0:3]
	v_mfma_f32_16x16x16_bf16 v[12:15], v[78:79], v[68:69], v[12:15]
	v_mfma_f32_16x16x16_bf16 v[8:11], v[30:31], v[70:71], v[8:11]
	ds_read2_b64 v[30:33], v118 offset0:16 offset1:20
	v_mfma_f32_16x16x16_bf16 v[4:7], v[46:47], v[70:71], v[4:7]
	v_mfma_f32_16x16x16_bf16 v[0:3], v[64:65], v[70:71], v[0:3]
	v_mfma_f32_16x16x16_bf16 v[12:15], v[74:75], v[70:71], v[12:15]
	s_waitcnt lgkmcnt(0)
	v_mfma_f32_16x16x16_bf16 v[8:11], v[28:29], v[30:31], v[8:11]
	v_mfma_f32_16x16x16_bf16 v[4:7], v[44:45], v[30:31], v[4:7]
	v_mfma_f32_16x16x16_bf16 v[0:3], v[60:61], v[30:31], v[0:3]
	v_mfma_f32_16x16x16_bf16 v[12:15], v[80:81], v[30:31], v[12:15]
	v_mfma_f32_16x16x16_bf16 v[8:11], v[26:27], v[32:33], v[8:11]
	ds_read2_b64 v[26:29], v118 offset0:24 offset1:28
	v_mfma_f32_16x16x16_bf16 v[4:7], v[42:43], v[32:33], v[4:7]
	v_mfma_f32_16x16x16_bf16 v[0:3], v[58:59], v[32:33], v[0:3]
	v_mfma_f32_16x16x16_bf16 v[12:15], v[76:77], v[32:33], v[12:15]
	s_waitcnt lgkmcnt(0)
	v_mfma_f32_16x16x16_bf16 v[8:11], v[24:25], v[26:27], v[8:11]
	v_mfma_f32_16x16x16_bf16 v[4:7], v[40:41], v[26:27], v[4:7]
	v_mfma_f32_16x16x16_bf16 v[0:3], v[56:57], v[26:27], v[0:3]
	;; [unrolled: 1-line block ×7, first 2 shown]
	s_andn2_b64 exec, exec, s[4:5]
	s_cbranch_execz .LBB138_160
.LBB138_6:                              ; =>This Inner Loop Header: Depth=1
	v_readlane_b32 s68, v119, 11
	v_lshl_add_u64 v[22:23], v[20:21], 0, s[64:65]
	global_load_dword v18, v[20:21], off
	global_load_dword v48, v[22:23], off
	v_add_u32_e32 v24, s68, v116
	v_readlane_b32 s68, v119, 12
	v_add_u32_e32 v22, s3, v116
	v_ashrrev_i32_e32 v23, 31, v22
	v_add_u32_e32 v28, s68, v116
	v_readlane_b32 s68, v119, 13
	v_add_u32_e32 v26, s70, v116
	v_lshl_add_u64 v[22:23], v[22:23], 2, s[0:1]
	v_add_u32_e32 v30, s68, v116
	v_readlane_b32 s68, v119, 14
	v_ashrrev_i32_e32 v25, 31, v24
	v_ashrrev_i32_e32 v27, 31, v26
	v_add_u32_e32 v32, s68, v116
	v_ashrrev_i32_e32 v29, 31, v28
	v_ashrrev_i32_e32 v31, 31, v30
	;; [unrolled: 1-line block ×3, first 2 shown]
	v_lshl_add_u64 v[24:25], v[24:25], 2, s[0:1]
	v_lshl_add_u64 v[26:27], v[26:27], 2, s[0:1]
	;; [unrolled: 1-line block ×5, first 2 shown]
	global_load_dword v49, v[22:23], off
	global_load_dword v50, v[24:25], off
	;; [unrolled: 1-line block ×6, first 2 shown]
	v_readlane_b32 s68, v119, 15
	v_add_u32_e32 v22, s74, v116
	v_add_u32_e32 v38, s82, v116
	;; [unrolled: 1-line block ×3, first 2 shown]
	v_readlane_b32 s68, v119, 16
	v_ashrrev_i32_e32 v23, 31, v22
	v_ashrrev_i32_e32 v25, 31, v24
	v_add_u32_e32 v26, s68, v116
	v_readlane_b32 s68, v119, 17
	v_ashrrev_i32_e32 v27, 31, v26
	v_ashrrev_i32_e32 v39, 31, v38
	v_add_u32_e32 v28, s68, v116
	v_readlane_b32 s68, v119, 18
	v_ashrrev_i32_e32 v29, 31, v28
	v_lshl_add_u64 v[22:23], v[22:23], 2, s[0:1]
	v_add_u32_e32 v30, s68, v116
	v_readlane_b32 s68, v119, 19
	v_ashrrev_i32_e32 v31, 31, v30
	v_lshl_add_u64 v[24:25], v[24:25], 2, s[0:1]
	;; [unrolled: 4-line block ×6, first 2 shown]
	v_add_u32_e32 v42, s68, v116
	v_readlane_b32 s68, v119, 24
	v_lshl_add_u64 v[32:33], v[32:33], 2, s[0:1]
	v_lshl_add_u64 v[34:35], v[34:35], 2, s[0:1]
	v_add_u32_e32 v44, s68, v116
	v_readlane_b32 s68, v119, 25
	v_lshl_add_u64 v[36:37], v[36:37], 2, s[0:1]
	v_lshl_add_u64 v[38:39], v[38:39], 2, s[0:1]
	v_add_u32_e32 v46, s68, v116
	v_readlane_b32 s68, v119, 26
	global_load_dword v55, v[22:23], off
	global_load_dword v56, v[24:25], off
	;; [unrolled: 1-line block ×9, first 2 shown]
	s_nop 0
	global_load_dword v40, v[40:41], off
	v_add_u32_e32 v22, s68, v116
	v_readlane_b32 s68, v119, 27
	v_ashrrev_i32_e32 v43, 31, v42
	v_ashrrev_i32_e32 v45, 31, v44
	v_add_u32_e32 v24, s68, v116
	v_readlane_b32 s68, v119, 28
	v_ashrrev_i32_e32 v47, 31, v46
	v_ashrrev_i32_e32 v23, 31, v22
	v_add_u32_e32 v26, s68, v116
	v_readlane_b32 s68, v119, 29
	v_lshl_add_u64 v[42:43], v[42:43], 2, s[0:1]
	v_lshl_add_u64 v[44:45], v[44:45], 2, s[0:1]
	v_add_u32_e32 v28, s68, v116
	v_readlane_b32 s68, v119, 30
	v_lshl_add_u64 v[46:47], v[46:47], 2, s[0:1]
	s_waitcnt vmcnt(17)
	ds_write_b32 v117, v18
	s_waitcnt vmcnt(16)
	ds_write_b32 v117, v48 offset:264
	s_waitcnt vmcnt(15)
	ds_write_b32 v117, v49 offset:528
	;; [unrolled: 2-line block ×7, first 2 shown]
	v_add_u32_e32 v30, s68, v116
	v_lshl_add_u64 v[22:23], v[22:23], 2, s[0:1]
	v_ashrrev_i32_e32 v25, 31, v24
	v_ashrrev_i32_e32 v27, 31, v26
	;; [unrolled: 1-line block ×4, first 2 shown]
	v_readlane_b32 s68, v119, 31
	v_lshl_add_u64 v[24:25], v[24:25], 2, s[0:1]
	v_lshl_add_u64 v[26:27], v[26:27], 2, s[0:1]
	;; [unrolled: 1-line block ×4, first 2 shown]
	global_load_dword v18, v[42:43], off
	global_load_dword v41, v[44:45], off
	s_nop 0
	global_load_dword v42, v[46:47], off
	global_load_dword v43, v[22:23], off
	;; [unrolled: 1-line block ×4, first 2 shown]
	s_nop 0
	global_load_dword v46, v[28:29], off
	global_load_dword v47, v[30:31], off
	v_add_u32_e32 v22, s68, v116
	v_ashrrev_i32_e32 v23, 31, v22
	v_add_u32_e32 v24, s93, v116
	v_add_u32_e32 v26, s94, v116
	v_add_u32_e32 v28, s95, v116
	v_add_u32_e32 v30, s96, v116
	v_add_u32_e32 v32, s97, v116
	v_add_u32_e32 v34, s98, v116
	v_add_u32_e32 v36, s99, v116
	v_lshl_add_u64 v[22:23], v[22:23], 2, s[0:1]
	v_ashrrev_i32_e32 v25, 31, v24
	v_ashrrev_i32_e32 v27, 31, v26
	v_ashrrev_i32_e32 v29, 31, v28
	v_ashrrev_i32_e32 v31, 31, v30
	v_ashrrev_i32_e32 v33, 31, v32
	v_ashrrev_i32_e32 v35, 31, v34
	v_ashrrev_i32_e32 v37, 31, v36
	v_lshl_add_u64 v[24:25], v[24:25], 2, s[0:1]
	v_lshl_add_u64 v[26:27], v[26:27], 2, s[0:1]
	v_lshl_add_u64 v[28:29], v[28:29], 2, s[0:1]
	v_lshl_add_u64 v[30:31], v[30:31], 2, s[0:1]
	v_lshl_add_u64 v[32:33], v[32:33], 2, s[0:1]
	v_lshl_add_u64 v[34:35], v[34:35], 2, s[0:1]
	v_lshl_add_u64 v[36:37], v[36:37], 2, s[0:1]
	global_load_dword v48, v[22:23], off
	global_load_dword v49, v[24:25], off
	global_load_dword v50, v[26:27], off
	global_load_dword v51, v[28:29], off
	global_load_dword v52, v[30:31], off
	global_load_dword v53, v[32:33], off
	global_load_dword v64, v[34:35], off
	global_load_dword v65, v[36:37], off
	v_add_u32_e32 v22, s24, v116
	v_ashrrev_i32_e32 v23, 31, v22
	v_add_u32_e32 v24, s25, v116
	v_add_u32_e32 v26, s22, v116
	v_add_u32_e32 v28, s23, v116
	v_add_u32_e32 v30, s28, v116
	v_add_u32_e32 v32, s29, v116
	v_add_u32_e32 v34, s11, v116
	v_add_u32_e32 v36, s30, v116
	v_lshl_add_u64 v[22:23], v[22:23], 2, s[0:1]
	v_ashrrev_i32_e32 v25, 31, v24
	v_ashrrev_i32_e32 v27, 31, v26
	v_ashrrev_i32_e32 v29, 31, v28
	v_ashrrev_i32_e32 v31, 31, v30
	v_ashrrev_i32_e32 v33, 31, v32
	v_ashrrev_i32_e32 v35, 31, v34
	v_ashrrev_i32_e32 v37, 31, v36
	v_lshl_add_u64 v[24:25], v[24:25], 2, s[0:1]
	v_lshl_add_u64 v[26:27], v[26:27], 2, s[0:1]
	v_lshl_add_u64 v[28:29], v[28:29], 2, s[0:1]
	v_lshl_add_u64 v[30:31], v[30:31], 2, s[0:1]
	v_lshl_add_u64 v[32:33], v[32:33], 2, s[0:1]
	v_lshl_add_u64 v[34:35], v[34:35], 2, s[0:1]
	v_lshl_add_u64 v[36:37], v[36:37], 2, s[0:1]
	global_load_dword v66, v[22:23], off
	global_load_dword v67, v[24:25], off
	global_load_dword v68, v[26:27], off
	global_load_dword v69, v[28:29], off
	global_load_dword v70, v[30:31], off
	global_load_dword v71, v[32:33], off
	;; [unrolled: 32-line block ×4, first 2 shown]
	global_load_dword v88, v[34:35], off
	global_load_dword v89, v[36:37], off
	v_add_u32_e32 v22, s85, v116
	v_ashrrev_i32_e32 v23, 31, v22
	v_add_u32_e32 v24, s86, v116
	v_add_u32_e32 v26, s87, v116
	;; [unrolled: 1-line block ×5, first 2 shown]
	v_lshl_add_u64 v[22:23], v[22:23], 2, s[0:1]
	v_ashrrev_i32_e32 v25, 31, v24
	v_ashrrev_i32_e32 v27, 31, v26
	;; [unrolled: 1-line block ×5, first 2 shown]
	v_lshl_add_u64 v[24:25], v[24:25], 2, s[0:1]
	v_lshl_add_u64 v[26:27], v[26:27], 2, s[0:1]
	;; [unrolled: 1-line block ×5, first 2 shown]
	global_load_dword v90, v[22:23], off
	global_load_dword v91, v[24:25], off
	;; [unrolled: 1-line block ×6, first 2 shown]
	s_waitcnt vmcnt(55)
	ds_write_b32 v117, v55 offset:2112
	s_waitcnt vmcnt(54)
	ds_write_b32 v117, v56 offset:2376
	s_waitcnt vmcnt(53)
	ds_write_b32 v117, v57 offset:2640
	s_waitcnt vmcnt(52)
	ds_write_b32 v117, v58 offset:2904
	s_waitcnt vmcnt(51)
	ds_write_b32 v117, v59 offset:3168
	s_waitcnt vmcnt(50)
	ds_write_b32 v117, v60 offset:3432
	s_waitcnt vmcnt(49)
	ds_write_b32 v117, v61 offset:3696
	s_waitcnt vmcnt(48)
	ds_write_b32 v117, v62 offset:3960
	ds_read_b64 v[38:39], v118
	ds_read_b64 v[34:35], v118 offset:32
	ds_read_b64 v[32:33], v118 offset:64
	ds_read_b64 v[30:31], v118 offset:96
	ds_read_b64 v[28:29], v118 offset:128
	ds_read_b64 v[26:27], v118 offset:160
	ds_read_b64 v[24:25], v118 offset:192
	ds_read_b64 v[22:23], v118 offset:224
	s_waitcnt vmcnt(47)
	ds_write_b32 v117, v63
	s_waitcnt vmcnt(46)
	ds_write_b32 v117, v40 offset:264
	s_waitcnt vmcnt(45)
	ds_write_b32 v117, v18 offset:528
	s_waitcnt vmcnt(44)
	ds_write_b32 v117, v41 offset:792
	s_waitcnt vmcnt(43)
	ds_write_b32 v117, v42 offset:1056
	s_waitcnt vmcnt(42)
	ds_write_b32 v117, v43 offset:1320
	s_waitcnt vmcnt(41)
	ds_write_b32 v117, v44 offset:1584
	s_waitcnt vmcnt(40)
	ds_write_b32 v117, v45 offset:1848
	s_waitcnt vmcnt(39)
	ds_write_b32 v117, v46 offset:2112
	s_waitcnt vmcnt(38)
	ds_write_b32 v117, v47 offset:2376
	s_waitcnt vmcnt(37)
	ds_write_b32 v117, v48 offset:2640
	s_waitcnt vmcnt(36)
	ds_write_b32 v117, v49 offset:2904
	s_waitcnt vmcnt(35)
	ds_write_b32 v117, v50 offset:3168
	s_waitcnt vmcnt(34)
	ds_write_b32 v117, v51 offset:3432
	s_waitcnt vmcnt(33)
	ds_write_b32 v117, v52 offset:3696
	s_waitcnt vmcnt(32)
	ds_write_b32 v117, v53 offset:3960
	ds_read_b64 v[54:55], v118
	ds_read_b64 v[50:51], v118 offset:32
	ds_read_b64 v[48:49], v118 offset:64
	ds_read_b64 v[46:47], v118 offset:96
	ds_read_b64 v[44:45], v118 offset:128
	ds_read_b64 v[42:43], v118 offset:160
	ds_read_b64 v[40:41], v118 offset:192
	ds_read_b64 v[36:37], v118 offset:224
	s_waitcnt vmcnt(31)
	ds_write_b32 v117, v64
	s_waitcnt vmcnt(30)
	ds_write_b32 v117, v65 offset:264
	s_waitcnt vmcnt(29)
	ds_write_b32 v117, v66 offset:528
	s_waitcnt vmcnt(28)
	ds_write_b32 v117, v67 offset:792
	s_waitcnt vmcnt(27)
	ds_write_b32 v117, v68 offset:1056
	s_waitcnt vmcnt(26)
	ds_write_b32 v117, v69 offset:1320
	s_waitcnt vmcnt(25)
	ds_write_b32 v117, v70 offset:1584
	s_waitcnt vmcnt(24)
	ds_write_b32 v117, v71 offset:1848
	;; [unrolled: 40-line block ×3, first 2 shown]
	s_waitcnt vmcnt(7)
	ds_write_b32 v117, v88 offset:2112
	s_waitcnt vmcnt(6)
	ds_write_b32 v117, v89 offset:2376
	s_waitcnt vmcnt(5)
	ds_write_b32 v117, v90 offset:2640
	s_waitcnt vmcnt(4)
	ds_write_b32 v117, v91 offset:2904
	s_waitcnt vmcnt(3)
	ds_write_b32 v117, v92 offset:3168
	s_waitcnt vmcnt(2)
	ds_write_b32 v117, v93 offset:3432
	s_waitcnt vmcnt(1)
	ds_write_b32 v117, v94 offset:3696
	s_waitcnt vmcnt(0)
	ds_write_b32 v117, v95 offset:3960
	ds_read_b64 v[84:85], v118
	ds_read_b64 v[82:83], v118 offset:32
	ds_read_b64 v[78:79], v118 offset:64
	;; [unrolled: 1-line block ×7, first 2 shown]
	s_andn2_b64 vcc, exec, s[34:35]
	v_mov_b32_e32 v112, 0
	v_mov_b32_e32 v113, 0
	s_cbranch_vccnz .LBB138_9
; %bb.7:                                ;   in Loop: Header=BB138_6 Depth=1
	s_load_dword s68, s[36:37], 0x0
	v_mov_b32_e32 v113, 0
	v_mov_b32_e32 v112, 0
	s_waitcnt lgkmcnt(0)
	s_mul_hi_u32 s69, s68, s16
	s_add_i32 s69, s68, s69
	s_lshr_b32 s69, s69, s17
	s_cmp_ge_i32 s69, s13
	s_cbranch_scc1 .LBB138_9
; %bb.8:                                ;   in Loop: Header=BB138_6 Depth=1
	s_mul_i32 vcc_lo, s69, s18
	s_sub_i32 s68, s68, vcc_lo
	s_mul_i32 s69, s69, s20
	s_mul_i32 s68, s68, s9
	v_add_u32_e32 v18, s69, v116
	v_lshl_add_u32 v86, v18, 1, s68
	v_ashrrev_i32_e32 v87, 31, v86
	v_lshl_add_u64 v[86:87], v[86:87], 2, s[6:7]
	global_load_dwordx2 v[112:113], v[86:87], off
.LBB138_9:                              ;   in Loop: Header=BB138_6 Depth=1
	s_andn2_b64 vcc, exec, s[38:39]
	v_mov_b32_e32 v106, 0
	v_mov_b32_e32 v110, 0
	v_mov_b32_e32 v111, 0
	s_cbranch_vccnz .LBB138_12
; %bb.10:                               ;   in Loop: Header=BB138_6 Depth=1
	s_load_dword s68, s[36:37], 0x4
	v_mov_b32_e32 v111, 0
	v_mov_b32_e32 v110, 0
	s_waitcnt lgkmcnt(0)
	s_mul_hi_u32 s69, s68, s16
	s_add_i32 s69, s68, s69
	s_lshr_b32 s69, s69, s17
	s_cmp_ge_i32 s69, s13
	s_cbranch_scc1 .LBB138_12
; %bb.11:                               ;   in Loop: Header=BB138_6 Depth=1
	s_mul_i32 vcc_lo, s69, s18
	s_sub_i32 s68, s68, vcc_lo
	s_mul_i32 s69, s69, s20
	s_mul_i32 s68, s68, s9
	v_add_u32_e32 v18, s69, v116
	v_lshl_add_u32 v86, v18, 1, s68
	v_ashrrev_i32_e32 v87, 31, v86
	v_lshl_add_u64 v[86:87], v[86:87], 2, s[6:7]
	global_load_dwordx2 v[110:111], v[86:87], off
.LBB138_12:                             ;   in Loop: Header=BB138_6 Depth=1
	s_andn2_b64 vcc, exec, s[40:41]
	v_mov_b32_e32 v107, 0
	s_cbranch_vccnz .LBB138_15
; %bb.13:                               ;   in Loop: Header=BB138_6 Depth=1
	s_load_dword s68, s[36:37], 0x8
	v_mov_b32_e32 v107, 0
	v_mov_b32_e32 v106, 0
	s_waitcnt lgkmcnt(0)
	s_mul_hi_u32 s69, s68, s16
	s_add_i32 s69, s68, s69
	s_lshr_b32 s69, s69, s17
	s_cmp_ge_i32 s69, s13
	s_cbranch_scc1 .LBB138_15
; %bb.14:                               ;   in Loop: Header=BB138_6 Depth=1
	s_mul_i32 vcc_lo, s69, s18
	s_sub_i32 s68, s68, vcc_lo
	s_mul_i32 s69, s69, s20
	s_mul_i32 s68, s68, s9
	v_add_u32_e32 v18, s69, v116
	v_lshl_add_u32 v86, v18, 1, s68
	v_ashrrev_i32_e32 v87, 31, v86
	v_lshl_add_u64 v[86:87], v[86:87], 2, s[6:7]
	global_load_dwordx2 v[106:107], v[86:87], off
.LBB138_15:                             ;   in Loop: Header=BB138_6 Depth=1
	s_andn2_b64 vcc, exec, s[42:43]
	v_mov_b32_e32 v102, 0
	v_mov_b32_e32 v108, 0
	v_mov_b32_e32 v109, 0
	s_cbranch_vccnz .LBB138_18
; %bb.16:                               ;   in Loop: Header=BB138_6 Depth=1
	s_load_dword s68, s[36:37], 0xc
	v_mov_b32_e32 v109, 0
	v_mov_b32_e32 v108, 0
	s_waitcnt lgkmcnt(0)
	s_mul_hi_u32 s69, s68, s16
	s_add_i32 s69, s68, s69
	s_lshr_b32 s69, s69, s17
	s_cmp_ge_i32 s69, s13
	s_cbranch_scc1 .LBB138_18
; %bb.17:                               ;   in Loop: Header=BB138_6 Depth=1
	s_mul_i32 vcc_lo, s69, s18
	s_sub_i32 s68, s68, vcc_lo
	s_mul_i32 s69, s69, s20
	s_mul_i32 s68, s68, s9
	v_add_u32_e32 v18, s69, v116
	v_lshl_add_u32 v86, v18, 1, s68
	v_ashrrev_i32_e32 v87, 31, v86
	v_lshl_add_u64 v[86:87], v[86:87], 2, s[6:7]
	global_load_dwordx2 v[108:109], v[86:87], off
.LBB138_18:                             ;   in Loop: Header=BB138_6 Depth=1
	s_andn2_b64 vcc, exec, s[44:45]
	v_mov_b32_e32 v103, 0
	s_cbranch_vccnz .LBB138_21
; %bb.19:                               ;   in Loop: Header=BB138_6 Depth=1
	s_load_dword s68, s[36:37], 0x10
	v_mov_b32_e32 v103, 0
	v_mov_b32_e32 v102, 0
	s_waitcnt lgkmcnt(0)
	s_mul_hi_u32 s69, s68, s16
	s_add_i32 s69, s68, s69
	s_lshr_b32 s69, s69, s17
	s_cmp_ge_i32 s69, s13
	s_cbranch_scc1 .LBB138_21
; %bb.20:                               ;   in Loop: Header=BB138_6 Depth=1
	s_mul_i32 vcc_lo, s69, s18
	s_sub_i32 s68, s68, vcc_lo
	s_mul_i32 s69, s69, s20
	s_mul_i32 s68, s68, s9
	v_add_u32_e32 v18, s69, v116
	v_lshl_add_u32 v86, v18, 1, s68
	v_ashrrev_i32_e32 v87, 31, v86
	v_lshl_add_u64 v[86:87], v[86:87], 2, s[6:7]
	global_load_dwordx2 v[102:103], v[86:87], off
.LBB138_21:                             ;   in Loop: Header=BB138_6 Depth=1
	;; [unrolled: 50-line block ×6, first 2 shown]
	s_andn2_b64 vcc, exec, s[62:63]
	v_mov_b32_e32 v88, 0
	v_mov_b32_e32 v89, 0
	s_cbranch_vccnz .LBB138_48
; %bb.46:                               ;   in Loop: Header=BB138_6 Depth=1
	s_load_dword s68, s[36:37], 0x34
	v_mov_b32_e32 v89, 0
	v_mov_b32_e32 v88, 0
	s_waitcnt lgkmcnt(0)
	s_mul_hi_u32 s69, s68, s16
	s_add_i32 s69, s68, s69
	s_lshr_b32 s69, s69, s17
	s_cmp_ge_i32 s69, s13
	s_cbranch_scc1 .LBB138_48
; %bb.47:                               ;   in Loop: Header=BB138_6 Depth=1
	s_mul_i32 vcc_lo, s69, s18
	s_sub_i32 s68, s68, vcc_lo
	s_mul_i32 s69, s69, s20
	s_mul_i32 s68, s68, s9
	v_add_u32_e32 v18, s69, v116
	v_lshl_add_u32 v88, v18, 1, s68
	v_ashrrev_i32_e32 v89, 31, v88
	v_lshl_add_u64 v[88:89], v[88:89], 2, s[6:7]
	global_load_dwordx2 v[88:89], v[88:89], off
.LBB138_48:                             ;   in Loop: Header=BB138_6 Depth=1
	s_waitcnt vmcnt(0)
	v_and_b32_e32 v18, 0x7f800000, v112
	v_cmp_ne_u32_e32 vcc, s90, v18
                                        ; implicit-def: $vgpr18
	s_and_saveexec_b64 s[68:69], vcc
	s_xor_b64 s[68:69], exec, s[68:69]
; %bb.49:                               ;   in Loop: Header=BB138_6 Depth=1
	v_bfe_u32 v18, v112, 16, 1
	v_add3_u32 v18, v112, v18, s91
; %bb.50:                               ;   in Loop: Header=BB138_6 Depth=1
	s_andn2_saveexec_b64 s[68:69], s[68:69]
; %bb.51:                               ;   in Loop: Header=BB138_6 Depth=1
	v_or_b32_e32 v18, 0x10000, v112
	v_cmp_eq_u32_sdwa vcc, v112, v19 src0_sel:WORD_0 src1_sel:DWORD
	s_nop 1
	v_cndmask_b32_e32 v18, v18, v112, vcc
; %bb.52:                               ;   in Loop: Header=BB138_6 Depth=1
	s_or_b64 exec, exec, s[68:69]
	v_and_b32_e32 v112, 0x7f800000, v113
	v_cmp_ne_u32_e32 vcc, s90, v112
                                        ; implicit-def: $vgpr112
	s_and_saveexec_b64 s[68:69], vcc
	s_xor_b64 s[68:69], exec, s[68:69]
; %bb.53:                               ;   in Loop: Header=BB138_6 Depth=1
	v_bfe_u32 v112, v113, 16, 1
	v_add3_u32 v112, v113, v112, s91
                                        ; implicit-def: $vgpr113
; %bb.54:                               ;   in Loop: Header=BB138_6 Depth=1
	s_andn2_saveexec_b64 s[68:69], s[68:69]
; %bb.55:                               ;   in Loop: Header=BB138_6 Depth=1
	v_or_b32_e32 v112, 0x10000, v113
	v_cmp_eq_u32_sdwa vcc, v113, v19 src0_sel:WORD_0 src1_sel:DWORD
	s_nop 1
	v_cndmask_b32_e32 v112, v112, v113, vcc
; %bb.56:                               ;   in Loop: Header=BB138_6 Depth=1
	s_or_b64 exec, exec, s[68:69]
	v_perm_b32 v18, v112, v18, s92
	ds_write_b32 v117, v18
	v_and_b32_e32 v18, 0x7f800000, v110
	v_cmp_ne_u32_e32 vcc, s90, v18
                                        ; implicit-def: $vgpr18
	s_and_saveexec_b64 s[68:69], vcc
	s_xor_b64 s[68:69], exec, s[68:69]
; %bb.57:                               ;   in Loop: Header=BB138_6 Depth=1
	v_bfe_u32 v18, v110, 16, 1
	v_add3_u32 v18, v110, v18, s91
; %bb.58:                               ;   in Loop: Header=BB138_6 Depth=1
	s_andn2_saveexec_b64 s[68:69], s[68:69]
; %bb.59:                               ;   in Loop: Header=BB138_6 Depth=1
	v_or_b32_e32 v18, 0x10000, v110
	v_cmp_eq_u32_sdwa vcc, v110, v19 src0_sel:WORD_0 src1_sel:DWORD
	s_nop 1
	v_cndmask_b32_e32 v18, v18, v110, vcc
; %bb.60:                               ;   in Loop: Header=BB138_6 Depth=1
	s_or_b64 exec, exec, s[68:69]
	v_and_b32_e32 v110, 0x7f800000, v111
	v_cmp_ne_u32_e32 vcc, s90, v110
                                        ; implicit-def: $vgpr110
	s_and_saveexec_b64 s[68:69], vcc
	s_xor_b64 s[68:69], exec, s[68:69]
; %bb.61:                               ;   in Loop: Header=BB138_6 Depth=1
	v_bfe_u32 v110, v111, 16, 1
	v_add3_u32 v110, v111, v110, s91
                                        ; implicit-def: $vgpr111
; %bb.62:                               ;   in Loop: Header=BB138_6 Depth=1
	s_andn2_saveexec_b64 s[68:69], s[68:69]
; %bb.63:                               ;   in Loop: Header=BB138_6 Depth=1
	v_or_b32_e32 v110, 0x10000, v111
	v_cmp_eq_u32_sdwa vcc, v111, v19 src0_sel:WORD_0 src1_sel:DWORD
	s_nop 1
	v_cndmask_b32_e32 v110, v110, v111, vcc
; %bb.64:                               ;   in Loop: Header=BB138_6 Depth=1
	s_or_b64 exec, exec, s[68:69]
	v_perm_b32 v18, v110, v18, s92
	ds_write_b32 v117, v18 offset:264
	v_and_b32_e32 v18, 0x7f800000, v106
	v_cmp_ne_u32_e32 vcc, s90, v18
                                        ; implicit-def: $vgpr18
	s_and_saveexec_b64 s[68:69], vcc
	s_xor_b64 s[68:69], exec, s[68:69]
; %bb.65:                               ;   in Loop: Header=BB138_6 Depth=1
	v_bfe_u32 v18, v106, 16, 1
	v_add3_u32 v18, v106, v18, s91
; %bb.66:                               ;   in Loop: Header=BB138_6 Depth=1
	s_andn2_saveexec_b64 s[68:69], s[68:69]
; %bb.67:                               ;   in Loop: Header=BB138_6 Depth=1
	v_or_b32_e32 v18, 0x10000, v106
	v_cmp_eq_u32_sdwa vcc, v106, v19 src0_sel:WORD_0 src1_sel:DWORD
	s_nop 1
	v_cndmask_b32_e32 v18, v18, v106, vcc
; %bb.68:                               ;   in Loop: Header=BB138_6 Depth=1
	s_or_b64 exec, exec, s[68:69]
	v_and_b32_e32 v106, 0x7f800000, v107
	v_cmp_ne_u32_e32 vcc, s90, v106
                                        ; implicit-def: $vgpr106
	s_and_saveexec_b64 s[68:69], vcc
	s_xor_b64 s[68:69], exec, s[68:69]
; %bb.69:                               ;   in Loop: Header=BB138_6 Depth=1
	v_bfe_u32 v106, v107, 16, 1
	v_add3_u32 v106, v107, v106, s91
                                        ; implicit-def: $vgpr107
; %bb.70:                               ;   in Loop: Header=BB138_6 Depth=1
	s_andn2_saveexec_b64 s[68:69], s[68:69]
; %bb.71:                               ;   in Loop: Header=BB138_6 Depth=1
	v_or_b32_e32 v106, 0x10000, v107
	v_cmp_eq_u32_sdwa vcc, v107, v19 src0_sel:WORD_0 src1_sel:DWORD
	s_nop 1
	v_cndmask_b32_e32 v106, v106, v107, vcc
; %bb.72:                               ;   in Loop: Header=BB138_6 Depth=1
	s_or_b64 exec, exec, s[68:69]
	v_perm_b32 v18, v106, v18, s92
	ds_write_b32 v117, v18 offset:528
	v_and_b32_e32 v18, 0x7f800000, v108
	v_cmp_ne_u32_e32 vcc, s90, v18
                                        ; implicit-def: $vgpr18
	s_and_saveexec_b64 s[68:69], vcc
	s_xor_b64 s[68:69], exec, s[68:69]
; %bb.73:                               ;   in Loop: Header=BB138_6 Depth=1
	v_bfe_u32 v18, v108, 16, 1
	v_add3_u32 v18, v108, v18, s91
; %bb.74:                               ;   in Loop: Header=BB138_6 Depth=1
	s_andn2_saveexec_b64 s[68:69], s[68:69]
; %bb.75:                               ;   in Loop: Header=BB138_6 Depth=1
	v_or_b32_e32 v18, 0x10000, v108
	v_cmp_eq_u32_sdwa vcc, v108, v19 src0_sel:WORD_0 src1_sel:DWORD
	s_nop 1
	v_cndmask_b32_e32 v18, v18, v108, vcc
; %bb.76:                               ;   in Loop: Header=BB138_6 Depth=1
	s_or_b64 exec, exec, s[68:69]
	v_and_b32_e32 v106, 0x7f800000, v109
	v_cmp_ne_u32_e32 vcc, s90, v106
                                        ; implicit-def: $vgpr106
	s_and_saveexec_b64 s[68:69], vcc
	s_xor_b64 s[68:69], exec, s[68:69]
; %bb.77:                               ;   in Loop: Header=BB138_6 Depth=1
	v_bfe_u32 v106, v109, 16, 1
	v_add3_u32 v106, v109, v106, s91
                                        ; implicit-def: $vgpr109
; %bb.78:                               ;   in Loop: Header=BB138_6 Depth=1
	s_andn2_saveexec_b64 s[68:69], s[68:69]
; %bb.79:                               ;   in Loop: Header=BB138_6 Depth=1
	v_or_b32_e32 v106, 0x10000, v109
	v_cmp_eq_u32_sdwa vcc, v109, v19 src0_sel:WORD_0 src1_sel:DWORD
	s_nop 1
	v_cndmask_b32_e32 v106, v106, v109, vcc
; %bb.80:                               ;   in Loop: Header=BB138_6 Depth=1
	s_or_b64 exec, exec, s[68:69]
	v_perm_b32 v18, v106, v18, s92
	ds_write_b32 v117, v18 offset:792
	v_and_b32_e32 v18, 0x7f800000, v102
	v_cmp_ne_u32_e32 vcc, s90, v18
                                        ; implicit-def: $vgpr18
	s_and_saveexec_b64 s[68:69], vcc
	s_xor_b64 s[68:69], exec, s[68:69]
; %bb.81:                               ;   in Loop: Header=BB138_6 Depth=1
	v_bfe_u32 v18, v102, 16, 1
	v_add3_u32 v18, v102, v18, s91
; %bb.82:                               ;   in Loop: Header=BB138_6 Depth=1
	s_andn2_saveexec_b64 s[68:69], s[68:69]
; %bb.83:                               ;   in Loop: Header=BB138_6 Depth=1
	v_or_b32_e32 v18, 0x10000, v102
	v_cmp_eq_u32_sdwa vcc, v102, v19 src0_sel:WORD_0 src1_sel:DWORD
	s_nop 1
	v_cndmask_b32_e32 v18, v18, v102, vcc
; %bb.84:                               ;   in Loop: Header=BB138_6 Depth=1
	s_or_b64 exec, exec, s[68:69]
	v_and_b32_e32 v102, 0x7f800000, v103
	v_cmp_ne_u32_e32 vcc, s90, v102
                                        ; implicit-def: $vgpr102
	s_and_saveexec_b64 s[68:69], vcc
	s_xor_b64 s[68:69], exec, s[68:69]
; %bb.85:                               ;   in Loop: Header=BB138_6 Depth=1
	v_bfe_u32 v102, v103, 16, 1
	v_add3_u32 v102, v103, v102, s91
                                        ; implicit-def: $vgpr103
; %bb.86:                               ;   in Loop: Header=BB138_6 Depth=1
	s_andn2_saveexec_b64 s[68:69], s[68:69]
; %bb.87:                               ;   in Loop: Header=BB138_6 Depth=1
	v_or_b32_e32 v102, 0x10000, v103
	v_cmp_eq_u32_sdwa vcc, v103, v19 src0_sel:WORD_0 src1_sel:DWORD
	s_nop 1
	v_cndmask_b32_e32 v102, v102, v103, vcc
; %bb.88:                               ;   in Loop: Header=BB138_6 Depth=1
	s_or_b64 exec, exec, s[68:69]
	v_perm_b32 v18, v102, v18, s92
	ds_write_b32 v117, v18 offset:1056
	v_and_b32_e32 v18, 0x7f800000, v104
	v_cmp_ne_u32_e32 vcc, s90, v18
                                        ; implicit-def: $vgpr18
	s_and_saveexec_b64 s[68:69], vcc
	s_xor_b64 s[68:69], exec, s[68:69]
; %bb.89:                               ;   in Loop: Header=BB138_6 Depth=1
	v_bfe_u32 v18, v104, 16, 1
	v_add3_u32 v18, v104, v18, s91
; %bb.90:                               ;   in Loop: Header=BB138_6 Depth=1
	s_andn2_saveexec_b64 s[68:69], s[68:69]
; %bb.91:                               ;   in Loop: Header=BB138_6 Depth=1
	v_or_b32_e32 v18, 0x10000, v104
	v_cmp_eq_u32_sdwa vcc, v104, v19 src0_sel:WORD_0 src1_sel:DWORD
	s_nop 1
	v_cndmask_b32_e32 v18, v18, v104, vcc
; %bb.92:                               ;   in Loop: Header=BB138_6 Depth=1
	s_or_b64 exec, exec, s[68:69]
	v_and_b32_e32 v102, 0x7f800000, v105
	v_cmp_ne_u32_e32 vcc, s90, v102
                                        ; implicit-def: $vgpr102
	s_and_saveexec_b64 s[68:69], vcc
	s_xor_b64 s[68:69], exec, s[68:69]
; %bb.93:                               ;   in Loop: Header=BB138_6 Depth=1
	v_bfe_u32 v102, v105, 16, 1
	v_add3_u32 v102, v105, v102, s91
                                        ; implicit-def: $vgpr105
; %bb.94:                               ;   in Loop: Header=BB138_6 Depth=1
	s_andn2_saveexec_b64 s[68:69], s[68:69]
; %bb.95:                               ;   in Loop: Header=BB138_6 Depth=1
	v_or_b32_e32 v102, 0x10000, v105
	v_cmp_eq_u32_sdwa vcc, v105, v19 src0_sel:WORD_0 src1_sel:DWORD
	s_nop 1
	v_cndmask_b32_e32 v102, v102, v105, vcc
; %bb.96:                               ;   in Loop: Header=BB138_6 Depth=1
	s_or_b64 exec, exec, s[68:69]
	v_perm_b32 v18, v102, v18, s92
	ds_write_b32 v117, v18 offset:1320
	v_and_b32_e32 v18, 0x7f800000, v98
	v_cmp_ne_u32_e32 vcc, s90, v18
                                        ; implicit-def: $vgpr18
	s_and_saveexec_b64 s[68:69], vcc
	s_xor_b64 s[68:69], exec, s[68:69]
; %bb.97:                               ;   in Loop: Header=BB138_6 Depth=1
	v_bfe_u32 v18, v98, 16, 1
	v_add3_u32 v18, v98, v18, s91
; %bb.98:                               ;   in Loop: Header=BB138_6 Depth=1
	s_andn2_saveexec_b64 s[68:69], s[68:69]
; %bb.99:                               ;   in Loop: Header=BB138_6 Depth=1
	v_or_b32_e32 v18, 0x10000, v98
	v_cmp_eq_u32_sdwa vcc, v98, v19 src0_sel:WORD_0 src1_sel:DWORD
	s_nop 1
	v_cndmask_b32_e32 v18, v18, v98, vcc
; %bb.100:                              ;   in Loop: Header=BB138_6 Depth=1
	s_or_b64 exec, exec, s[68:69]
	v_and_b32_e32 v98, 0x7f800000, v99
	v_cmp_ne_u32_e32 vcc, s90, v98
                                        ; implicit-def: $vgpr98
	s_and_saveexec_b64 s[68:69], vcc
	s_xor_b64 s[68:69], exec, s[68:69]
; %bb.101:                              ;   in Loop: Header=BB138_6 Depth=1
	v_bfe_u32 v98, v99, 16, 1
	v_add3_u32 v98, v99, v98, s91
                                        ; implicit-def: $vgpr99
; %bb.102:                              ;   in Loop: Header=BB138_6 Depth=1
	s_andn2_saveexec_b64 s[68:69], s[68:69]
; %bb.103:                              ;   in Loop: Header=BB138_6 Depth=1
	v_or_b32_e32 v98, 0x10000, v99
	v_cmp_eq_u32_sdwa vcc, v99, v19 src0_sel:WORD_0 src1_sel:DWORD
	s_nop 1
	v_cndmask_b32_e32 v98, v98, v99, vcc
; %bb.104:                              ;   in Loop: Header=BB138_6 Depth=1
	s_or_b64 exec, exec, s[68:69]
	v_perm_b32 v18, v98, v18, s92
	ds_write_b32 v117, v18 offset:1584
	v_and_b32_e32 v18, 0x7f800000, v100
	v_cmp_ne_u32_e32 vcc, s90, v18
                                        ; implicit-def: $vgpr18
	s_and_saveexec_b64 s[68:69], vcc
	s_xor_b64 s[68:69], exec, s[68:69]
; %bb.105:                              ;   in Loop: Header=BB138_6 Depth=1
	v_bfe_u32 v18, v100, 16, 1
	v_add3_u32 v18, v100, v18, s91
; %bb.106:                              ;   in Loop: Header=BB138_6 Depth=1
	s_andn2_saveexec_b64 s[68:69], s[68:69]
; %bb.107:                              ;   in Loop: Header=BB138_6 Depth=1
	v_or_b32_e32 v18, 0x10000, v100
	v_cmp_eq_u32_sdwa vcc, v100, v19 src0_sel:WORD_0 src1_sel:DWORD
	s_nop 1
	v_cndmask_b32_e32 v18, v18, v100, vcc
; %bb.108:                              ;   in Loop: Header=BB138_6 Depth=1
	s_or_b64 exec, exec, s[68:69]
	v_and_b32_e32 v98, 0x7f800000, v101
	v_cmp_ne_u32_e32 vcc, s90, v98
                                        ; implicit-def: $vgpr98
	s_and_saveexec_b64 s[68:69], vcc
	s_xor_b64 s[68:69], exec, s[68:69]
; %bb.109:                              ;   in Loop: Header=BB138_6 Depth=1
	v_bfe_u32 v98, v101, 16, 1
	v_add3_u32 v98, v101, v98, s91
                                        ; implicit-def: $vgpr101
; %bb.110:                              ;   in Loop: Header=BB138_6 Depth=1
	s_andn2_saveexec_b64 s[68:69], s[68:69]
; %bb.111:                              ;   in Loop: Header=BB138_6 Depth=1
	v_or_b32_e32 v98, 0x10000, v101
	v_cmp_eq_u32_sdwa vcc, v101, v19 src0_sel:WORD_0 src1_sel:DWORD
	s_nop 1
	v_cndmask_b32_e32 v98, v98, v101, vcc
; %bb.112:                              ;   in Loop: Header=BB138_6 Depth=1
	s_or_b64 exec, exec, s[68:69]
	v_perm_b32 v18, v98, v18, s92
	ds_write_b32 v117, v18 offset:1848
	v_and_b32_e32 v18, 0x7f800000, v94
	v_cmp_ne_u32_e32 vcc, s90, v18
                                        ; implicit-def: $vgpr18
	s_and_saveexec_b64 s[68:69], vcc
	s_xor_b64 s[68:69], exec, s[68:69]
; %bb.113:                              ;   in Loop: Header=BB138_6 Depth=1
	v_bfe_u32 v18, v94, 16, 1
	v_add3_u32 v18, v94, v18, s91
; %bb.114:                              ;   in Loop: Header=BB138_6 Depth=1
	s_andn2_saveexec_b64 s[68:69], s[68:69]
; %bb.115:                              ;   in Loop: Header=BB138_6 Depth=1
	v_or_b32_e32 v18, 0x10000, v94
	v_cmp_eq_u32_sdwa vcc, v94, v19 src0_sel:WORD_0 src1_sel:DWORD
	s_nop 1
	v_cndmask_b32_e32 v18, v18, v94, vcc
; %bb.116:                              ;   in Loop: Header=BB138_6 Depth=1
	s_or_b64 exec, exec, s[68:69]
	v_and_b32_e32 v94, 0x7f800000, v95
	v_cmp_ne_u32_e32 vcc, s90, v94
                                        ; implicit-def: $vgpr94
	s_and_saveexec_b64 s[68:69], vcc
	s_xor_b64 s[68:69], exec, s[68:69]
; %bb.117:                              ;   in Loop: Header=BB138_6 Depth=1
	v_bfe_u32 v94, v95, 16, 1
	v_add3_u32 v94, v95, v94, s91
                                        ; implicit-def: $vgpr95
; %bb.118:                              ;   in Loop: Header=BB138_6 Depth=1
	s_andn2_saveexec_b64 s[68:69], s[68:69]
; %bb.119:                              ;   in Loop: Header=BB138_6 Depth=1
	v_or_b32_e32 v94, 0x10000, v95
	v_cmp_eq_u32_sdwa vcc, v95, v19 src0_sel:WORD_0 src1_sel:DWORD
	s_nop 1
	v_cndmask_b32_e32 v94, v94, v95, vcc
; %bb.120:                              ;   in Loop: Header=BB138_6 Depth=1
	s_or_b64 exec, exec, s[68:69]
	v_perm_b32 v18, v94, v18, s92
	ds_write_b32 v117, v18 offset:2112
	v_and_b32_e32 v18, 0x7f800000, v96
	v_cmp_ne_u32_e32 vcc, s90, v18
                                        ; implicit-def: $vgpr18
	s_and_saveexec_b64 s[68:69], vcc
	s_xor_b64 s[68:69], exec, s[68:69]
; %bb.121:                              ;   in Loop: Header=BB138_6 Depth=1
	v_bfe_u32 v18, v96, 16, 1
	v_add3_u32 v18, v96, v18, s91
; %bb.122:                              ;   in Loop: Header=BB138_6 Depth=1
	s_andn2_saveexec_b64 s[68:69], s[68:69]
; %bb.123:                              ;   in Loop: Header=BB138_6 Depth=1
	v_or_b32_e32 v18, 0x10000, v96
	v_cmp_eq_u32_sdwa vcc, v96, v19 src0_sel:WORD_0 src1_sel:DWORD
	s_nop 1
	v_cndmask_b32_e32 v18, v18, v96, vcc
; %bb.124:                              ;   in Loop: Header=BB138_6 Depth=1
	s_or_b64 exec, exec, s[68:69]
	v_and_b32_e32 v94, 0x7f800000, v97
	v_cmp_ne_u32_e32 vcc, s90, v94
                                        ; implicit-def: $vgpr94
	s_and_saveexec_b64 s[68:69], vcc
	s_xor_b64 s[68:69], exec, s[68:69]
; %bb.125:                              ;   in Loop: Header=BB138_6 Depth=1
	v_bfe_u32 v94, v97, 16, 1
	v_add3_u32 v94, v97, v94, s91
                                        ; implicit-def: $vgpr97
; %bb.126:                              ;   in Loop: Header=BB138_6 Depth=1
	s_andn2_saveexec_b64 s[68:69], s[68:69]
; %bb.127:                              ;   in Loop: Header=BB138_6 Depth=1
	v_or_b32_e32 v94, 0x10000, v97
	v_cmp_eq_u32_sdwa vcc, v97, v19 src0_sel:WORD_0 src1_sel:DWORD
	s_nop 1
	v_cndmask_b32_e32 v94, v94, v97, vcc
; %bb.128:                              ;   in Loop: Header=BB138_6 Depth=1
	s_or_b64 exec, exec, s[68:69]
	v_perm_b32 v18, v94, v18, s92
	ds_write_b32 v117, v18 offset:2376
	v_and_b32_e32 v18, 0x7f800000, v90
	v_cmp_ne_u32_e32 vcc, s90, v18
                                        ; implicit-def: $vgpr18
	s_and_saveexec_b64 s[68:69], vcc
	s_xor_b64 s[68:69], exec, s[68:69]
; %bb.129:                              ;   in Loop: Header=BB138_6 Depth=1
	v_bfe_u32 v18, v90, 16, 1
	v_add3_u32 v18, v90, v18, s91
; %bb.130:                              ;   in Loop: Header=BB138_6 Depth=1
	s_andn2_saveexec_b64 s[68:69], s[68:69]
; %bb.131:                              ;   in Loop: Header=BB138_6 Depth=1
	v_or_b32_e32 v18, 0x10000, v90
	v_cmp_eq_u32_sdwa vcc, v90, v19 src0_sel:WORD_0 src1_sel:DWORD
	s_nop 1
	v_cndmask_b32_e32 v18, v18, v90, vcc
; %bb.132:                              ;   in Loop: Header=BB138_6 Depth=1
	s_or_b64 exec, exec, s[68:69]
	v_and_b32_e32 v90, 0x7f800000, v91
	v_cmp_ne_u32_e32 vcc, s90, v90
                                        ; implicit-def: $vgpr90
	s_and_saveexec_b64 s[68:69], vcc
	s_xor_b64 s[68:69], exec, s[68:69]
; %bb.133:                              ;   in Loop: Header=BB138_6 Depth=1
	v_bfe_u32 v90, v91, 16, 1
	v_add3_u32 v90, v91, v90, s91
                                        ; implicit-def: $vgpr91
; %bb.134:                              ;   in Loop: Header=BB138_6 Depth=1
	s_andn2_saveexec_b64 s[68:69], s[68:69]
; %bb.135:                              ;   in Loop: Header=BB138_6 Depth=1
	v_or_b32_e32 v90, 0x10000, v91
	v_cmp_eq_u32_sdwa vcc, v91, v19 src0_sel:WORD_0 src1_sel:DWORD
	s_nop 1
	v_cndmask_b32_e32 v90, v90, v91, vcc
; %bb.136:                              ;   in Loop: Header=BB138_6 Depth=1
	s_or_b64 exec, exec, s[68:69]
	v_perm_b32 v18, v90, v18, s92
	ds_write_b32 v117, v18 offset:2640
	v_and_b32_e32 v18, 0x7f800000, v92
	v_cmp_ne_u32_e32 vcc, s90, v18
                                        ; implicit-def: $vgpr18
	s_and_saveexec_b64 s[68:69], vcc
	s_xor_b64 s[68:69], exec, s[68:69]
; %bb.137:                              ;   in Loop: Header=BB138_6 Depth=1
	v_bfe_u32 v18, v92, 16, 1
	v_add3_u32 v18, v92, v18, s91
; %bb.138:                              ;   in Loop: Header=BB138_6 Depth=1
	s_andn2_saveexec_b64 s[68:69], s[68:69]
; %bb.139:                              ;   in Loop: Header=BB138_6 Depth=1
	v_or_b32_e32 v18, 0x10000, v92
	v_cmp_eq_u32_sdwa vcc, v92, v19 src0_sel:WORD_0 src1_sel:DWORD
	s_nop 1
	v_cndmask_b32_e32 v18, v18, v92, vcc
; %bb.140:                              ;   in Loop: Header=BB138_6 Depth=1
	s_or_b64 exec, exec, s[68:69]
	v_and_b32_e32 v90, 0x7f800000, v93
	v_cmp_ne_u32_e32 vcc, s90, v90
                                        ; implicit-def: $vgpr90
	s_and_saveexec_b64 s[68:69], vcc
	s_xor_b64 s[68:69], exec, s[68:69]
; %bb.141:                              ;   in Loop: Header=BB138_6 Depth=1
	v_bfe_u32 v90, v93, 16, 1
	v_add3_u32 v90, v93, v90, s91
                                        ; implicit-def: $vgpr93
; %bb.142:                              ;   in Loop: Header=BB138_6 Depth=1
	s_andn2_saveexec_b64 s[68:69], s[68:69]
; %bb.143:                              ;   in Loop: Header=BB138_6 Depth=1
	v_or_b32_e32 v90, 0x10000, v93
	v_cmp_eq_u32_sdwa vcc, v93, v19 src0_sel:WORD_0 src1_sel:DWORD
	s_nop 1
	v_cndmask_b32_e32 v90, v90, v93, vcc
; %bb.144:                              ;   in Loop: Header=BB138_6 Depth=1
	s_or_b64 exec, exec, s[68:69]
	v_perm_b32 v18, v90, v18, s92
	ds_write_b32 v117, v18 offset:2904
	v_and_b32_e32 v18, 0x7f800000, v86
	v_cmp_ne_u32_e32 vcc, s90, v18
                                        ; implicit-def: $vgpr18
	s_and_saveexec_b64 s[68:69], vcc
	s_xor_b64 s[68:69], exec, s[68:69]
; %bb.145:                              ;   in Loop: Header=BB138_6 Depth=1
	v_bfe_u32 v18, v86, 16, 1
	v_add3_u32 v18, v86, v18, s91
; %bb.146:                              ;   in Loop: Header=BB138_6 Depth=1
	s_andn2_saveexec_b64 s[68:69], s[68:69]
; %bb.147:                              ;   in Loop: Header=BB138_6 Depth=1
	v_or_b32_e32 v18, 0x10000, v86
	v_cmp_eq_u32_sdwa vcc, v86, v19 src0_sel:WORD_0 src1_sel:DWORD
	s_nop 1
	v_cndmask_b32_e32 v18, v18, v86, vcc
; %bb.148:                              ;   in Loop: Header=BB138_6 Depth=1
	s_or_b64 exec, exec, s[68:69]
	v_and_b32_e32 v86, 0x7f800000, v87
	v_cmp_ne_u32_e32 vcc, s90, v86
                                        ; implicit-def: $vgpr86
	s_and_saveexec_b64 s[68:69], vcc
	s_xor_b64 s[68:69], exec, s[68:69]
; %bb.149:                              ;   in Loop: Header=BB138_6 Depth=1
	v_bfe_u32 v86, v87, 16, 1
	v_add3_u32 v86, v87, v86, s91
                                        ; implicit-def: $vgpr87
; %bb.150:                              ;   in Loop: Header=BB138_6 Depth=1
	s_andn2_saveexec_b64 s[68:69], s[68:69]
; %bb.151:                              ;   in Loop: Header=BB138_6 Depth=1
	v_or_b32_e32 v86, 0x10000, v87
	v_cmp_eq_u32_sdwa vcc, v87, v19 src0_sel:WORD_0 src1_sel:DWORD
	s_nop 1
	v_cndmask_b32_e32 v86, v86, v87, vcc
; %bb.152:                              ;   in Loop: Header=BB138_6 Depth=1
	s_or_b64 exec, exec, s[68:69]
	v_perm_b32 v18, v86, v18, s92
	ds_write_b32 v117, v18 offset:3168
	v_and_b32_e32 v18, 0x7f800000, v88
	v_cmp_ne_u32_e32 vcc, s90, v18
                                        ; implicit-def: $vgpr18
	s_and_saveexec_b64 s[68:69], vcc
	s_xor_b64 s[68:69], exec, s[68:69]
; %bb.153:                              ;   in Loop: Header=BB138_6 Depth=1
	v_bfe_u32 v18, v88, 16, 1
	v_add3_u32 v18, v88, v18, s91
; %bb.154:                              ;   in Loop: Header=BB138_6 Depth=1
	s_andn2_saveexec_b64 s[68:69], s[68:69]
; %bb.155:                              ;   in Loop: Header=BB138_6 Depth=1
	v_or_b32_e32 v18, 0x10000, v88
	v_cmp_eq_u32_sdwa vcc, v88, v19 src0_sel:WORD_0 src1_sel:DWORD
	s_nop 1
	v_cndmask_b32_e32 v18, v18, v88, vcc
; %bb.156:                              ;   in Loop: Header=BB138_6 Depth=1
	s_or_b64 exec, exec, s[68:69]
	v_and_b32_e32 v86, 0x7f800000, v89
	v_cmp_ne_u32_e32 vcc, s90, v86
                                        ; implicit-def: $vgpr86
	s_and_saveexec_b64 s[68:69], vcc
	s_xor_b64 s[68:69], exec, s[68:69]
; %bb.157:                              ;   in Loop: Header=BB138_6 Depth=1
	v_bfe_u32 v86, v89, 16, 1
	v_add3_u32 v86, v89, v86, s91
                                        ; implicit-def: $vgpr89
; %bb.158:                              ;   in Loop: Header=BB138_6 Depth=1
	s_andn2_saveexec_b64 s[68:69], s[68:69]
	s_cbranch_execz .LBB138_5
; %bb.159:                              ;   in Loop: Header=BB138_6 Depth=1
	v_or_b32_e32 v86, 0x10000, v89
	v_cmp_eq_u32_sdwa vcc, v89, v19 src0_sel:WORD_0 src1_sel:DWORD
	s_nop 1
	v_cndmask_b32_e32 v86, v86, v89, vcc
	s_branch .LBB138_5
.LBB138_160:
	s_or_b64 exec, exec, s[4:5]
	v_readlane_b32 s24, v119, 6
	v_readlane_b32 s26, v119, 9
	v_readlane_b32 s25, v119, 7
	v_readlane_b32 s27, v119, 10
	v_readlane_b32 s11, v119, 8
.LBB138_161:
	v_readlane_b32 s0, v119, 4
	v_readlane_b32 s1, v119, 5
	s_or_b64 exec, exec, s[0:1]
	v_mul_u32_u24_e32 v18, 0x608, v115
	v_lshlrev_b32_e32 v19, 2, v114
	v_add3_u32 v18, 0, v18, v19
	v_and_b32_e32 v19, 0x3f0, v17
	v_add_u32_e32 v19, v18, v19
	s_lshl_b64 s[0:1], s[26:27], 2
	v_readlane_b32 s4, v119, 0
	s_barrier
	ds_write2_b32 v19, v8, v9 offset1:1
	ds_write_b32 v19, v10 offset:8
	v_or_b32_e32 v8, 12, v17
	v_readlane_b32 s5, v119, 1
	s_add_u32 s4, s4, s0
	v_and_b32_e32 v8, 0x3fc, v8
	s_addc_u32 s5, s5, s1
	v_add_u32_e32 v8, v18, v8
	ds_write_b32 v8, v11
	ds_write2_b32 v19, v4, v5 offset0:16 offset1:17
	ds_write_b32 v19, v6 offset:72
	ds_write_b32 v8, v7 offset:64
	ds_write2_b32 v19, v0, v1 offset0:32 offset1:33
	ds_write_b32 v19, v2 offset:136
	ds_write_b32 v8, v3 offset:128
	ds_write2_b32 v19, v12, v13 offset0:48 offset1:49
	ds_write_b32 v19, v14 offset:200
	ds_write_b32 v8, v15 offset:192
	s_cmp_gt_i32 s14, 0
	v_add_u32_e32 v0, s2, v16
	s_cselect_b64 s[6:7], -1, 0
	v_cmp_gt_i32_e64 s[0:1], s33, v0
	v_cmp_gt_u32_e32 vcc, 14, v16
	s_and_b64 s[0:1], s[6:7], s[0:1]
	v_lshl_add_u32 v3, v17, 2, 0
	v_add_u32_e32 v2, s11, v17
	v_mul_u32_u24_e32 v4, 0x608, v16
	s_and_b64 s[8:9], vcc, s[0:1]
	s_waitcnt lgkmcnt(0)
	s_barrier
	s_and_saveexec_b64 s[0:1], s[8:9]
	s_cbranch_execz .LBB138_164
; %bb.162:
	v_ashrrev_i32_e32 v1, 31, v0
	v_lshl_add_u64 v[6:7], v[0:1], 2, s[4:5]
	global_load_dword v5, v[6:7], off
	s_waitcnt vmcnt(0)
	v_mul_hi_u32 v1, v5, s19
	v_add_u32_e32 v1, v5, v1
	v_lshrrev_b32_e32 v1, s24, v1
	v_cmp_gt_i32_e32 vcc, s13, v1
	s_and_b64 exec, exec, vcc
	s_cbranch_execz .LBB138_164
; %bb.163:
	v_add_u32_e32 v10, v3, v4
	ds_read2st64_b32 v[6:7], v10 offset1:1
	ds_read2st64_b32 v[8:9], v10 offset0:2 offset1:3
	ds_read2st64_b32 v[10:11], v10 offset0:4 offset1:5
	v_mul_lo_u32 v12, v1, s25
	v_sub_u32_e32 v5, v5, v12
	v_mul_lo_u32 v5, v5, s10
	s_waitcnt lgkmcnt(2)
	v_add_f32_e32 v6, 0, v6
	v_add_f32_e32 v6, v6, v7
	s_waitcnt lgkmcnt(1)
	v_add_f32_e32 v6, v6, v8
	v_add_f32_e32 v6, v6, v9
	s_waitcnt lgkmcnt(0)
	v_add_f32_e32 v6, v6, v10
	v_mul_lo_u32 v1, v1, s21
	v_readlane_b32 s8, v119, 2
	v_add_f32_e32 v8, v6, v11
	v_add3_u32 v6, v2, v1, v5
	v_mov_b32_e32 v7, 0
	v_readlane_b32 s9, v119, 3
	s_nop 1
	v_lshl_add_u64 v[6:7], v[6:7], 2, s[8:9]
	global_store_dword v[6:7], v8, off
.LBB138_164:
	s_or_b64 exec, exec, s[0:1]
	v_add_u32_e32 v0, 6, v0
	v_cmp_gt_i32_e64 s[0:1], s33, v0
	v_cmp_gt_u32_e32 vcc, 8, v16
	s_and_b64 s[0:1], s[6:7], s[0:1]
	s_and_b64 s[8:9], vcc, s[0:1]
	s_and_saveexec_b64 s[0:1], s[8:9]
	s_cbranch_execz .LBB138_167
; %bb.165:
	s_ashr_i32 s3, s2, 31
	v_mov_b32_e32 v17, 0
	v_lshl_add_u64 v[0:1], v[16:17], 0, s[2:3]
	v_lshl_add_u64 v[0:1], v[0:1], 2, s[4:5]
	global_load_dword v1, v[0:1], off offset:24
	s_waitcnt vmcnt(0)
	v_mul_hi_u32 v0, v1, s19
	v_add_u32_e32 v0, v1, v0
	v_lshrrev_b32_e32 v0, s24, v0
	v_cmp_gt_i32_e32 vcc, s13, v0
	s_and_b64 exec, exec, vcc
	s_cbranch_execz .LBB138_167
; %bb.166:
	v_add_u32_e32 v4, v4, v3
	v_add_u32_e32 v8, 48, v4
	ds_read2st64_b32 v[4:5], v8 offset0:36 offset1:37
	ds_read2st64_b32 v[6:7], v8 offset0:38 offset1:39
	v_mul_lo_u32 v9, v0, s25
	v_sub_u32_e32 v1, v1, v9
	ds_read2st64_b32 v[8:9], v8 offset0:40 offset1:41
	s_waitcnt lgkmcnt(2)
	v_add_f32_e32 v4, 0, v4
	v_add_f32_e32 v4, v4, v5
	s_waitcnt lgkmcnt(1)
	v_add_f32_e32 v4, v4, v6
	v_add_f32_e32 v4, v4, v7
	v_mul_lo_u32 v1, v1, s10
	v_mul_lo_u32 v0, v0, s21
	v_readlane_b32 s8, v119, 2
	s_waitcnt lgkmcnt(0)
	v_add_f32_e32 v4, v4, v8
	v_add3_u32 v0, v2, v0, v1
	v_mov_b32_e32 v1, v17
	v_readlane_b32 s9, v119, 3
	v_add_f32_e32 v4, v4, v9
	s_nop 0
	v_lshl_add_u64 v[0:1], v[0:1], 2, s[8:9]
	global_store_dword v[0:1], v4, off
.LBB138_167:
	s_or_b64 exec, exec, s[0:1]
	v_cmp_gt_u32_e32 vcc, 2, v16
	s_and_saveexec_b64 s[0:1], vcc
	s_cbranch_execz .LBB138_171
; %bb.168:
	v_or_b32_e32 v0, 12, v16
	v_add_u32_e32 v1, s2, v0
	v_cmp_gt_i32_e32 vcc, s33, v1
	s_and_b64 s[0:1], s[6:7], vcc
	s_and_b64 exec, exec, s[0:1]
	s_cbranch_execz .LBB138_171
; %bb.169:
	s_ashr_i32 s3, s2, 31
	v_mov_b32_e32 v17, 0
	v_lshl_add_u64 v[4:5], v[16:17], 0, s[2:3]
	v_lshl_add_u64 v[4:5], v[4:5], 2, s[4:5]
	global_load_dword v4, v[4:5], off offset:48
	s_waitcnt vmcnt(0)
	v_mul_hi_u32 v1, v4, s19
	v_add_u32_e32 v1, v4, v1
	v_lshrrev_b32_e32 v1, s24, v1
	v_cmp_gt_i32_e32 vcc, s13, v1
	s_and_b64 exec, exec, vcc
	s_cbranch_execz .LBB138_171
; %bb.170:
	s_movk_i32 s0, 0x608
	v_mad_u32_u24 v0, v0, s0, v3
	ds_read2st64_b32 v[6:7], v0 offset1:1
	ds_read2st64_b32 v[8:9], v0 offset0:2 offset1:3
	v_mul_lo_u32 v3, v1, s25
	v_sub_u32_e32 v3, v4, v3
	ds_read2st64_b32 v[4:5], v0 offset0:4 offset1:5
	s_waitcnt lgkmcnt(2)
	v_add_f32_e32 v0, 0, v6
	v_add_f32_e32 v0, v0, v7
	s_waitcnt lgkmcnt(1)
	v_add_f32_e32 v0, v0, v8
	v_add_f32_e32 v0, v0, v9
	;; [unrolled: 3-line block ×3, first 2 shown]
	v_mul_lo_u32 v0, v3, s10
	v_mul_lo_u32 v1, v1, s21
	v_readlane_b32 s0, v119, 2
	v_add3_u32 v16, v2, v1, v0
	v_readlane_b32 s1, v119, 3
	s_nop 1
	v_lshl_add_u64 v[0:1], v[16:17], 2, s[0:1]
	global_store_dword v[0:1], v4, off
.LBB138_171:
	s_endpgm
	.section	.rodata,"a",@progbits
	.p2align	6, 0x0
	.amdhsa_kernel _ZL13mul_mat_f_idsI15__hip_bfloat162Li64ELi14ELi6EEvPKT_PKfPKiS7_S7_Pfiiiiiiiiiiiiii15HIP_vector_typeIjLj3EESA_
		.amdhsa_group_segment_fixed_size 0
		.amdhsa_private_segment_fixed_size 0
		.amdhsa_kernarg_size 128
		.amdhsa_user_sgpr_count 2
		.amdhsa_user_sgpr_dispatch_ptr 0
		.amdhsa_user_sgpr_queue_ptr 0
		.amdhsa_user_sgpr_kernarg_segment_ptr 1
		.amdhsa_user_sgpr_dispatch_id 0
		.amdhsa_user_sgpr_kernarg_preload_length 0
		.amdhsa_user_sgpr_kernarg_preload_offset 0
		.amdhsa_user_sgpr_private_segment_size 0
		.amdhsa_uses_dynamic_stack 0
		.amdhsa_enable_private_segment 0
		.amdhsa_system_sgpr_workgroup_id_x 1
		.amdhsa_system_sgpr_workgroup_id_y 1
		.amdhsa_system_sgpr_workgroup_id_z 1
		.amdhsa_system_sgpr_workgroup_info 0
		.amdhsa_system_vgpr_workitem_id 1
		.amdhsa_next_free_vgpr 120
		.amdhsa_next_free_sgpr 100
		.amdhsa_accum_offset 120
		.amdhsa_reserve_vcc 1
		.amdhsa_float_round_mode_32 0
		.amdhsa_float_round_mode_16_64 0
		.amdhsa_float_denorm_mode_32 3
		.amdhsa_float_denorm_mode_16_64 3
		.amdhsa_dx10_clamp 1
		.amdhsa_ieee_mode 1
		.amdhsa_fp16_overflow 0
		.amdhsa_tg_split 0
		.amdhsa_exception_fp_ieee_invalid_op 0
		.amdhsa_exception_fp_denorm_src 0
		.amdhsa_exception_fp_ieee_div_zero 0
		.amdhsa_exception_fp_ieee_overflow 0
		.amdhsa_exception_fp_ieee_underflow 0
		.amdhsa_exception_fp_ieee_inexact 0
		.amdhsa_exception_int_div_zero 0
	.end_amdhsa_kernel
	.section	.text._ZL13mul_mat_f_idsI15__hip_bfloat162Li64ELi14ELi6EEvPKT_PKfPKiS7_S7_Pfiiiiiiiiiiiiii15HIP_vector_typeIjLj3EESA_,"axG",@progbits,_ZL13mul_mat_f_idsI15__hip_bfloat162Li64ELi14ELi6EEvPKT_PKfPKiS7_S7_Pfiiiiiiiiiiiiii15HIP_vector_typeIjLj3EESA_,comdat
.Lfunc_end138:
	.size	_ZL13mul_mat_f_idsI15__hip_bfloat162Li64ELi14ELi6EEvPKT_PKfPKiS7_S7_Pfiiiiiiiiiiiiii15HIP_vector_typeIjLj3EESA_, .Lfunc_end138-_ZL13mul_mat_f_idsI15__hip_bfloat162Li64ELi14ELi6EEvPKT_PKfPKiS7_S7_Pfiiiiiiiiiiiiii15HIP_vector_typeIjLj3EESA_
                                        ; -- End function
	.section	.AMDGPU.csdata,"",@progbits
; Kernel info:
; codeLenInByte = 8904
; NumSgprs: 106
; NumVgprs: 120
; NumAgprs: 0
; TotalNumVgprs: 120
; ScratchSize: 0
; MemoryBound: 0
; FloatMode: 240
; IeeeMode: 1
; LDSByteSize: 0 bytes/workgroup (compile time only)
; SGPRBlocks: 13
; VGPRBlocks: 14
; NumSGPRsForWavesPerEU: 106
; NumVGPRsForWavesPerEU: 120
; AccumOffset: 120
; Occupancy: 4
; WaveLimiterHint : 1
; COMPUTE_PGM_RSRC2:SCRATCH_EN: 0
; COMPUTE_PGM_RSRC2:USER_SGPR: 2
; COMPUTE_PGM_RSRC2:TRAP_HANDLER: 0
; COMPUTE_PGM_RSRC2:TGID_X_EN: 1
; COMPUTE_PGM_RSRC2:TGID_Y_EN: 1
; COMPUTE_PGM_RSRC2:TGID_Z_EN: 1
; COMPUTE_PGM_RSRC2:TIDIG_COMP_CNT: 1
; COMPUTE_PGM_RSRC3_GFX90A:ACCUM_OFFSET: 29
; COMPUTE_PGM_RSRC3_GFX90A:TG_SPLIT: 0
	.section	.text._ZL9mul_mat_fI15__hip_bfloat162Li64ELi14ELi6ELb1EEvPKT_PKfPKiPfiiiiiiiiiiiiiiii,"axG",@progbits,_ZL9mul_mat_fI15__hip_bfloat162Li64ELi14ELi6ELb1EEvPKT_PKfPKiPfiiiiiiiiiiiiiiii,comdat
	.globl	_ZL9mul_mat_fI15__hip_bfloat162Li64ELi14ELi6ELb1EEvPKT_PKfPKiPfiiiiiiiiiiiiiiii ; -- Begin function _ZL9mul_mat_fI15__hip_bfloat162Li64ELi14ELi6ELb1EEvPKT_PKfPKiPfiiiiiiiiiiiiiiii
	.p2align	8
	.type	_ZL9mul_mat_fI15__hip_bfloat162Li64ELi14ELi6ELb1EEvPKT_PKfPKiPfiiiiiiiiiiiiiiii,@function
_ZL9mul_mat_fI15__hip_bfloat162Li64ELi14ELi6ELb1EEvPKT_PKfPKiPfiiiiiiiiiiiiiiii: ; @_ZL9mul_mat_fI15__hip_bfloat162Li64ELi14ELi6ELb1EEvPKT_PKfPKiPfiiiiiiiiiiiiiiii
; %bb.0:
	s_load_dwordx8 s[44:51], s[0:1], 0x20
	s_load_dword s7, s[0:1], 0x64
	s_load_dwordx4 s[52:55], s[0:1], 0x44
	s_load_dwordx2 s[8:9], s[0:1], 0x10
	v_and_b32_e32 v16, 0x3ff, v0
	v_bfe_u32 v17, v0, 10, 10
	s_waitcnt lgkmcnt(0)
	s_add_i32 s6, s45, 13
	s_mul_hi_i32 s5, s6, 0x92492493
	s_add_i32 s5, s5, s6
	s_lshr_b32 s6, s5, 31
	s_ashr_i32 s5, s5, 3
	s_add_i32 s5, s5, s6
	v_cvt_f32_u32_e32 v1, s5
	s_add_u32 s12, s0, 0x60
	s_addc_u32 s13, s1, 0
	s_sub_i32 s6, 0, s5
	v_rcp_iflag_f32_e32 v1, v1
	s_abs_i32 s22, s55
	v_mul_f32_e32 v1, 0x4f7ffffe, v1
	v_cvt_u32_f32_e32 v1, v1
	v_mul_lo_u32 v2, s6, v1
	v_mul_hi_u32 v2, v1, v2
	v_add_u32_e32 v1, v1, v2
	v_mul_hi_u32 v1, s7, v1
	v_mul_lo_u32 v2, v1, s5
	v_sub_u32_e32 v2, s7, v2
	v_add_u32_e32 v3, 1, v1
	v_subrev_u32_e32 v4, s5, v2
	v_cmp_le_u32_e32 vcc, s5, v2
	s_nop 1
	v_cndmask_b32_e32 v1, v1, v3, vcc
	v_cndmask_b32_e32 v2, v2, v4, vcc
	v_add_u32_e32 v3, 1, v1
	v_cmp_le_u32_e32 vcc, s5, v2
	s_nop 1
	v_cndmask_b32_e32 v1, v1, v3, vcc
	v_cvt_f32_u32_e32 v2, v1
	v_cvt_f32_u32_e32 v3, s22
	v_sub_u32_e32 v4, 0, v1
	v_cmp_eq_u32_e32 vcc, 0, v16
	v_rcp_iflag_f32_e32 v2, v2
	v_rcp_iflag_f32_e32 v3, v3
	v_mul_f32_e32 v2, 0x4f7ffffe, v2
	v_cvt_u32_f32_e32 v2, v2
	v_mul_lo_u32 v4, v4, v2
	v_mul_hi_u32 v4, v2, v4
	v_add_u32_e32 v2, v2, v4
	v_mul_hi_u32 v2, s3, v2
	s_and_saveexec_b64 s[6:7], vcc
	s_cbranch_execz .LBB139_2
; %bb.1:
	v_mov_b32_e32 v4, 0x100
	v_lshl_add_u32 v4, v17, 2, v4
	v_mov_b32_e32 v5, -1
	ds_write_b32 v4, v5
.LBB139_2:
	s_or_b64 exec, exec, s[6:7]
	v_mul_f32_e32 v8, 0x4f7ffffe, v3
	v_mul_lo_u32 v3, v2, v1
	v_sub_u32_e32 v3, s3, v3
	v_add_u32_e32 v4, 1, v2
	v_sub_u32_e32 v5, v3, v1
	v_cmp_ge_u32_e64 s[6:7], v3, v1
	s_nop 1
	v_cndmask_b32_e64 v2, v2, v4, s[6:7]
	v_cndmask_b32_e64 v3, v3, v5, s[6:7]
	v_add_u32_e32 v4, 1, v2
	v_cmp_ge_u32_e64 s[6:7], v3, v1
	s_nop 1
	v_cndmask_b32_e64 v2, v2, v4, s[6:7]
	v_mul_lo_u32 v92, v2, 14
	v_mul_lo_u32 v1, v2, v1
	v_mul_hi_i32 v3, v92, s51
	v_mul_lo_u32 v2, v92, s51
	v_sub_u32_e32 v18, s3, v1
	v_lshlrev_b64 v[2:3], 2, v[2:3]
	v_add_u32_e32 v1, v17, v92
	v_lshl_add_u64 v[2:3], s[8:9], 0, v[2:3]
	v_cmp_gt_i32_e64 s[6:7], s46, v16
	v_cmp_gt_i32_e64 s[24:25], s45, v1
	v_mov_b32_e32 v1, 0
	s_and_saveexec_b64 s[14:15], s[24:25]
	s_cbranch_execz .LBB139_10
; %bb.3:
	v_mov_b32_e32 v1, 0
	s_and_saveexec_b64 s[16:17], s[6:7]
	s_cbranch_execz .LBB139_9
; %bb.4:
	v_mul_lo_u32 v4, v17, s51
	v_ashrrev_i32_e32 v5, 31, v4
	v_mov_b32_e32 v1, 0x100
	v_lshl_add_u64 v[4:5], v[4:5], 2, v[2:3]
	v_lshl_add_u32 v9, v17, 2, v1
	v_mul_lo_u32 v6, v16, s50
	s_lshl_b32 s3, s50, 6
	s_mov_b64 s[18:19], 0
	v_mov_b32_e32 v1, 0
	v_mov_b32_e32 v10, v16
	s_branch .LBB139_6
.LBB139_5:                              ;   in Loop: Header=BB139_6 Depth=1
	s_or_b64 exec, exec, s[20:21]
	v_add_u32_e32 v10, 64, v10
	v_cmp_le_i32_e64 s[10:11], s46, v10
	s_xor_b64 s[8:9], s[8:9], -1
	s_or_b64 s[8:9], s[8:9], s[10:11]
	s_and_b64 s[8:9], exec, s[8:9]
	s_or_b64 s[18:19], s[8:9], s[18:19]
	v_add_u32_e32 v6, s3, v6
	s_andn2_b64 exec, exec, s[18:19]
	s_cbranch_execz .LBB139_8
.LBB139_6:                              ; =>This Inner Loop Header: Depth=1
	v_ashrrev_i32_e32 v7, 31, v6
	v_lshl_add_u64 v[12:13], v[6:7], 2, v[4:5]
	global_load_dword v7, v[12:13], off
	s_waitcnt vmcnt(0)
	v_cmp_ne_u32_e64 s[8:9], v7, v18
	v_cmp_eq_u32_e64 s[10:11], v7, v18
	s_and_saveexec_b64 s[20:21], s[10:11]
	s_cbranch_execz .LBB139_5
; %bb.7:                                ;   in Loop: Header=BB139_6 Depth=1
	v_mov_b32_e32 v1, 1
	ds_write_b32 v9, v10
	s_branch .LBB139_5
.LBB139_8:
	s_or_b64 exec, exec, s[18:19]
.LBB139_9:
	s_or_b64 exec, exec, s[16:17]
.LBB139_10:
	s_or_b64 exec, exec, s[14:15]
	v_cvt_u32_f32_e32 v8, v8
	s_sub_i32 s3, 0, s22
	s_and_saveexec_b64 s[8:9], vcc
	s_cbranch_execz .LBB139_12
; %bb.11:
	v_mov_b32_e32 v4, 0x100
	v_lshl_add_u32 v4, v17, 2, v4
	v_mov_b32_e32 v5, -1
	ds_write_b32 v4, v5 offset:24
.LBB139_12:
	s_or_b64 exec, exec, s[8:9]
	v_add_u32_e32 v93, 6, v17
	v_mul_lo_u32 v9, s3, v8
	v_add_u32_e32 v4, v93, v92
	v_cmp_gt_i32_e64 s[8:9], s45, v4
	s_mov_b64 s[14:15], exec
                                        ; implicit-def: $vgpr110 : SGPR spill to VGPR lane
	s_nop 0
	v_writelane_b32 v110, s8, 0
	s_nop 1
	v_writelane_b32 v110, s9, 1
	s_and_b64 s[8:9], s[14:15], s[8:9]
	s_mov_b64 exec, s[8:9]
	s_cbranch_execz .LBB139_20
; %bb.13:
	s_and_saveexec_b64 s[16:17], s[6:7]
	s_cbranch_execz .LBB139_19
; %bb.14:
	v_mul_lo_u32 v4, v93, s51
	v_ashrrev_i32_e32 v5, 31, v4
	v_mov_b32_e32 v6, 0x100
	v_lshl_add_u64 v[4:5], v[4:5], 2, v[2:3]
	v_lshl_add_u32 v10, v17, 2, v6
	v_mul_lo_u32 v6, v16, s50
	s_lshl_b32 s3, s50, 6
	s_mov_b64 s[18:19], 0
	v_mov_b32_e32 v11, v16
	s_branch .LBB139_16
.LBB139_15:                             ;   in Loop: Header=BB139_16 Depth=1
	s_or_b64 exec, exec, s[20:21]
	v_add_u32_e32 v11, 64, v11
	v_cmp_le_i32_e64 s[10:11], s46, v11
	s_xor_b64 s[8:9], s[8:9], -1
	s_or_b64 s[8:9], s[8:9], s[10:11]
	s_and_b64 s[8:9], exec, s[8:9]
	s_or_b64 s[18:19], s[8:9], s[18:19]
	v_add_u32_e32 v6, s3, v6
	s_andn2_b64 exec, exec, s[18:19]
	s_cbranch_execz .LBB139_18
.LBB139_16:                             ; =>This Inner Loop Header: Depth=1
	v_ashrrev_i32_e32 v7, 31, v6
	v_lshl_add_u64 v[12:13], v[6:7], 2, v[4:5]
	global_load_dword v7, v[12:13], off
	s_waitcnt vmcnt(0)
	v_cmp_ne_u32_e64 s[8:9], v7, v18
	v_cmp_eq_u32_e64 s[10:11], v7, v18
	s_and_saveexec_b64 s[20:21], s[10:11]
	s_cbranch_execz .LBB139_15
; %bb.17:                               ;   in Loop: Header=BB139_16 Depth=1
	v_mov_b32_e32 v1, 1
	ds_write_b32 v10, v11 offset:24
	s_branch .LBB139_15
.LBB139_18:
	s_or_b64 exec, exec, s[18:19]
.LBB139_19:
	s_or_b64 exec, exec, s[16:17]
.LBB139_20:
	s_or_b64 exec, exec, s[14:15]
	v_mul_hi_u32 v4, v8, v9
	s_and_saveexec_b64 s[8:9], vcc
	s_cbranch_execz .LBB139_22
; %bb.21:
	v_mov_b32_e32 v5, 0x100
	v_lshl_add_u32 v5, v17, 2, v5
	v_mov_b32_e32 v6, -1
	ds_write_b32 v5, v6 offset:48
.LBB139_22:
	s_or_b64 exec, exec, s[8:9]
	s_load_dwordx4 s[28:31], s[0:1], 0x54
	v_add_u32_e32 v94, 12, v17
	s_abs_i32 s3, s4
	v_add_u32_e32 v6, v8, v4
	v_add_u32_e32 v4, v94, v92
	v_cmp_gt_i32_e64 s[10:11], s45, v4
	s_mov_b64 s[8:9], exec
	s_nop 0
	v_writelane_b32 v110, s10, 2
	s_nop 1
	v_writelane_b32 v110, s11, 3
	s_and_b64 s[10:11], s[8:9], s[10:11]
	s_mov_b64 exec, s[10:11]
	s_cbranch_execz .LBB139_30
; %bb.23:
	s_and_saveexec_b64 s[10:11], s[6:7]
	s_cbranch_execz .LBB139_29
; %bb.24:
	v_mul_lo_u32 v4, v94, s51
	v_ashrrev_i32_e32 v5, 31, v4
	v_lshl_add_u64 v[2:3], v[4:5], 2, v[2:3]
	v_mov_b32_e32 v4, 0x100
	v_lshl_add_u32 v7, v17, 2, v4
	v_mul_lo_u32 v4, v16, s50
	s_lshl_b32 s5, s50, 6
	s_mov_b64 s[14:15], 0
	v_mov_b32_e32 v8, v16
	s_branch .LBB139_26
.LBB139_25:                             ;   in Loop: Header=BB139_26 Depth=1
	s_or_b64 exec, exec, s[16:17]
	v_add_u32_e32 v8, 64, v8
	v_cmp_le_i32_e64 s[6:7], s46, v8
	s_xor_b64 s[16:17], vcc, -1
	s_or_b64 s[6:7], s[16:17], s[6:7]
	s_and_b64 s[6:7], exec, s[6:7]
	s_or_b64 s[14:15], s[6:7], s[14:15]
	v_add_u32_e32 v4, s5, v4
	s_andn2_b64 exec, exec, s[14:15]
	s_cbranch_execz .LBB139_28
.LBB139_26:                             ; =>This Inner Loop Header: Depth=1
	v_ashrrev_i32_e32 v5, 31, v4
	v_lshl_add_u64 v[10:11], v[4:5], 2, v[2:3]
	global_load_dword v5, v[10:11], off
	s_waitcnt vmcnt(0)
	v_cmp_ne_u32_e32 vcc, v5, v18
	v_cmp_eq_u32_e64 s[6:7], v5, v18
	s_and_saveexec_b64 s[16:17], s[6:7]
	s_cbranch_execz .LBB139_25
; %bb.27:                               ;   in Loop: Header=BB139_26 Depth=1
	v_mov_b32_e32 v1, 1
	ds_write_b32 v7, v8 offset:48
	s_branch .LBB139_25
.LBB139_28:
	s_or_b64 exec, exec, s[14:15]
.LBB139_29:
	s_or_b64 exec, exec, s[10:11]
.LBB139_30:
	s_or_b64 exec, exec, s[8:9]
	s_load_dwordx2 s[6:7], s[12:13], 0xc
	s_load_dwordx2 s[8:9], s[0:1], 0x8
	s_load_dwordx2 s[10:11], s[0:1], 0x18
	v_cmp_ne_u32_e32 vcc, 0, v1
	v_mul_hi_u32 v19, s3, v6
	s_waitcnt lgkmcnt(0)
	s_and_b32 s5, s7, 0xffff
	v_cndmask_b32_e64 v1, 0, 1, vcc
	v_writelane_b32 v110, s10, 4
	s_lshr_b32 s7, s6, 16
	v_or_b32_dpp v1, v1, v1 row_shl:1 row_mask:0xf bank_mask:0xf bound_ctrl:1
	s_and_b32 s6, s6, 0xffff
	v_writelane_b32 v110, s11, 5
	v_or_b32_dpp v1, v1, v1 row_shl:2 row_mask:0xf bank_mask:0xf bound_ctrl:1
	s_mul_i32 s10, s7, s6
	s_bfe_i32 s10, s10, 0x180000
	v_or_b32_dpp v1, v1, v1 row_shl:4 row_mask:0xf bank_mask:0xf bound_ctrl:1
	s_mul_i32 s5, s10, s5
	s_add_i32 s10, s5, 63
	v_or_b32_dpp v1, v1, v1 row_shl:8 row_mask:0xf bank_mask:0xf bound_ctrl:1
	s_bitcmp1_b32 exec_hi, 0
                                        ; kill: killed $sgpr12 killed $sgpr13
	s_nop 0
	v_mov_b32_dpp v2, v1 wave_shl:1 row_mask:0xf bank_mask:0xf bound_ctrl:1
	s_nop 1
	v_or_b32_dpp v1, v2, v1 row_mirror row_mask:0xf bank_mask:0xf bound_ctrl:1
	s_nop 0
	v_readlane_b32 s5, v1, 32
	s_cselect_b32 s5, s5, 0
	v_readlane_b32 s11, v1, 0
	s_or_b32 s5, s5, s11
	s_andn2_b32 s10, s10, 63
	s_cmp_lg_u32 s10, 64
	v_mov_b32_e32 v1, s5
	s_cbranch_scc0 .LBB139_37
; %bb.31:
	v_bfe_u32 v0, v0, 20, 10
	v_mbcnt_lo_u32_b32 v1, -1, 0
	v_mad_u32_u24 v0, v0, s7, v17
	v_mbcnt_hi_u32_b32 v2, -1, v1
	v_mad_u64_u32 v[0:1], s[6:7], v0, s6, v[16:17]
	v_lshrrev_b32_e32 v1, 6, v0
	v_or_b32_e32 v1, v2, v1
	v_cmp_eq_u32_e32 vcc, 0, v1
	s_and_saveexec_b64 s[6:7], vcc
	s_cbranch_execz .LBB139_33
; %bb.32:
	v_mov_b32_e32 v1, 0
	v_mov_b32_e32 v3, s5
	ds_write_b32 v1, v3
.LBB139_33:
	s_or_b64 exec, exec, s[6:7]
	v_cmp_eq_u32_e32 vcc, 0, v2
	v_cmp_lt_u32_e64 s[6:7], 63, v0
	s_and_b64 s[10:11], s[6:7], vcc
	s_waitcnt lgkmcnt(0)
	s_barrier
	s_and_saveexec_b64 s[6:7], s[10:11]
	s_cbranch_execz .LBB139_36
; %bb.34:
	v_mbcnt_lo_u32_b32 v0, exec_lo, 0
	v_mbcnt_hi_u32_b32 v0, exec_hi, v0
	v_cmp_eq_u32_e32 vcc, 0, v0
	s_and_b64 exec, exec, vcc
	s_cbranch_execz .LBB139_36
; %bb.35:
	v_mov_b32_e32 v0, 0
	v_mov_b32_e32 v1, s5
	ds_or_b32 v0, v1
.LBB139_36:
	s_or_b64 exec, exec, s[6:7]
	v_mov_b32_e32 v0, 0
	s_waitcnt lgkmcnt(0)
	s_barrier
	ds_read_b32 v1, v0
	s_waitcnt lgkmcnt(0)
	s_barrier
.LBB139_37:
	s_load_dwordx2 s[6:7], s[0:1], 0x0
	v_cmp_ne_u32_e32 vcc, 0, v1
	s_ashr_i32 s5, s4, 31
	s_ashr_i32 s10, s55, 31
	s_cbranch_vccz .LBB139_209
; %bb.38:
	v_lshlrev_b32_e32 v95, 6, v17
	v_add_u32_e32 v97, v95, v16
	v_cmp_le_i32_e32 vcc, s44, v97
	v_and_b32_e32 v96, 15, v16
                                        ; implicit-def: $sgpr11
	s_and_saveexec_b64 s[0:1], vcc
	s_xor_b64 s[0:1], exec, s[0:1]
; %bb.39:
	v_and_b32_e32 v96, 15, v16
	s_mov_b32 s11, 0
                                        ; implicit-def: $vgpr97
                                        ; implicit-def: $vgpr19
                                        ; implicit-def: $vgpr18
; %bb.40:
	s_or_saveexec_b64 s[0:1], s[0:1]
	s_lshl_b32 s12, s2, 6
	v_mov_b32_e32 v11, s11
	v_mov_b32_e32 v10, s11
	;; [unrolled: 1-line block ×16, first 2 shown]
	v_writelane_b32 v110, s0, 6
	s_nop 1
	v_writelane_b32 v110, s1, 7
	s_xor_b64 exec, exec, s[0:1]
	s_cbranch_execz .LBB139_198
; %bb.41:
	v_mul_lo_u32 v0, v19, s22
	v_sub_u32_e32 v0, s3, v0
	v_add_u32_e32 v1, 1, v19
	v_subrev_u32_e32 v2, s22, v0
	v_cmp_le_u32_e32 vcc, s22, v0
	s_xor_b32 s0, s5, s10
	v_writelane_b32 v110, s24, 8
	v_cndmask_b32_e32 v1, v19, v1, vcc
	v_cndmask_b32_e32 v0, v0, v2, vcc
	v_add_u32_e32 v2, 1, v1
	v_cmp_le_u32_e32 vcc, s22, v0
	v_writelane_b32 v110, s25, 9
	v_writelane_b32 v110, s12, 10
	v_cndmask_b32_e32 v0, v1, v2, vcc
	v_xor_b32_e32 v0, s0, v0
	v_subrev_u32_e32 v0, s0, v0
	v_mul_hi_i32 v1, v0, s28
	v_mul_lo_u32 v0, v0, s28
	v_mul_lo_u32 v2, v18, s52
	v_ashrrev_i32_e32 v3, 31, v2
	s_mul_i32 s0, s12, s47
	v_lshlrev_b64 v[0:1], 2, v[0:1]
	s_movk_i32 s2, 0x1080
	v_mov_b32_e32 v98, 0x100
	v_writelane_b32 v110, s4, 11
	s_waitcnt lgkmcnt(0)
	v_lshl_add_u64 v[4:5], s[6:7], 0, v[0:1]
	v_lshlrev_b64 v[2:3], 2, v[2:3]
	s_ashr_i32 s1, s0, 31
	v_mad_u32_u24 v6, v17, s2, v98
	s_mul_hi_i32 s3, s29, s4
	v_writelane_b32 v110, s28, 12
	s_mul_i32 s2, s29, s4
	v_lshl_add_u64 v[4:5], v[4:5], 0, v[2:3]
	s_lshl_b64 s[0:1], s[0:1], 2
	s_lshl_b64 s[2:3], s[2:3], 2
	v_lshl_add_u64 v[18:19], v[4:5], 0, s[0:1]
	v_writelane_b32 v110, s29, 13
	v_mul_hi_i32 v5, s48, v92
	v_mul_lo_u32 v4, s48, v92
	s_add_u32 s2, s8, s2
	v_writelane_b32 v110, s30, 14
	v_lshlrev_b64 v[4:5], 3, v[4:5]
	s_addc_u32 s3, s9, s3
	v_writelane_b32 v110, s31, 15
	v_lshl_add_u64 v[20:21], s[2:3], 0, v[4:5]
	s_lshl_b32 s2, s48, 3
	v_writelane_b32 v110, s2, 16
	s_mul_i32 s2, s48, 6
	v_writelane_b32 v110, s2, 17
	s_lshl_b32 s2, s48, 4
	v_writelane_b32 v110, s2, 18
	s_mul_i32 s2, s48, 10
	v_writelane_b32 v110, s2, 19
	s_mul_i32 s2, s48, 12
	v_writelane_b32 v110, s2, 20
	v_lshl_add_u64 v[0:1], v[0:1], 0, s[0:1]
	s_mul_i32 s0, s48, 26
	v_writelane_b32 v110, s0, 21
	s_mul_i32 s0, s48, 24
	v_writelane_b32 v110, s0, 22
	;; [unrolled: 2-line block ×6, first 2 shown]
	s_lshl_b32 s0, s48, 1
	v_writelane_b32 v110, s0, 27
	s_mul_i32 s0, s47, 3
	v_writelane_b32 v110, s0, 28
	s_mul_i32 s0, s47, 5
	;; [unrolled: 2-line block ×4, first 2 shown]
	v_lshrrev_b32_e32 v5, 1, v16
	v_writelane_b32 v110, s0, 31
	s_mul_i32 s0, s47, 9
	v_mul_u32_u24_e32 v4, 0x108, v96
	v_and_b32_e32 v5, 0x1f8, v5
	v_lshl_add_u64 v[0:1], v[0:1], 0, v[2:3]
	v_writelane_b32 v110, s0, 32
	s_mul_i32 s0, s47, 10
	v_add3_u32 v100, v6, v4, v5
	v_or_b32_e32 v26, 1, v92
	v_add_u32_e32 v27, 2, v92
	s_lshl_b32 s46, s48, 2
	v_add_u32_e32 v28, 3, v92
	v_add_u32_e32 v29, 4, v92
	v_add_u32_e32 v30, 5, v92
	v_add_u32_e32 v31, 6, v92
	v_add_u32_e32 v32, 7, v92
	v_add_u32_e32 v33, 8, v92
	v_add_u32_e32 v34, 9, v92
	v_add_u32_e32 v35, 10, v92
	v_add_u32_e32 v36, 11, v92
	v_add_u32_e32 v37, 12, v92
	v_add_u32_e32 v38, 13, v92
	s_ashr_i32 s3, s47, 31
	s_mov_b32 s2, s47
	v_lshlrev_b32_e32 v4, 1, v16
	v_lshlrev_b32_e32 v22, 2, v97
	v_mov_b32_e32 v23, 0
	v_lshl_add_u64 v[0:1], s[6:7], 0, v[0:1]
	v_writelane_b32 v110, s0, 33
	s_mul_i32 s0, s47, 11
	v_lshl_add_u32 v99, v16, 2, v6
	v_lshl_add_u32 v101, v17, 7, v4
	s_lshl_b64 s[2:3], s[2:3], 2
	v_lshl_add_u64 v[24:25], v[0:1], 0, v[22:23]
	s_lshl_b32 s68, s47, 1
	s_lshl_b32 s70, s47, 2
	;; [unrolled: 1-line block ×3, first 2 shown]
	v_writelane_b32 v110, s0, 34
	s_mul_i32 s78, s47, 12
	s_mul_i32 s79, s47, 13
	;; [unrolled: 1-line block ×4, first 2 shown]
	s_lshl_b32 s82, s47, 4
	s_mul_i32 s83, s47, 17
	s_mul_i32 s84, s47, 18
	s_mul_i32 s85, s47, 19
	s_mul_i32 s86, s47, 20
	s_mul_i32 s87, s47, 21
	s_mul_i32 s88, s47, 22
	s_mul_i32 s89, s47, 23
	s_mul_i32 s90, s47, 24
	s_mul_i32 s91, s47, 25
	s_mul_i32 s92, s47, 26
	s_mul_i32 s93, s47, 27
	s_mul_i32 s94, s47, 28
	s_mul_i32 s95, s47, 29
	s_mul_i32 s96, s47, 30
	s_mul_i32 s97, s47, 31
	s_lshl_b32 s98, s47, 5
	s_mul_i32 s99, s47, 33
	s_mul_i32 s42, s47, 34
	;; [unrolled: 1-line block ×10, first 2 shown]
	v_cmp_gt_i32_e64 s[6:7], s45, v92
	s_mul_i32 s64, s47, 43
	s_mul_i32 s65, s47, 44
	v_mov_b32_e32 v12, 0
	v_mov_b32_e32 v13, v23
	;; [unrolled: 1-line block ×16, first 2 shown]
	s_mul_i32 s66, s47, 45
	s_mul_i32 s67, s47, 46
	;; [unrolled: 1-line block ×19, first 2 shown]
	s_mov_b32 s75, 0x7f800000
	s_movk_i32 s76, 0x7fff
	s_mov_b32 s77, 0x7060302
	v_cmp_gt_i32_e64 s[8:9], s45, v26
	v_cmp_gt_i32_e64 s[10:11], s45, v27
	;; [unrolled: 1-line block ×13, first 2 shown]
	s_mov_b32 s45, s46
	s_mov_b64 s[46:47], 0
	s_mov_b64 s[50:51], 0x600
	s_branch .LBB139_43
.LBB139_42:                             ;   in Loop: Header=BB139_43 Depth=1
	s_or_b64 exec, exec, s[56:57]
	v_perm_b32 v22, v90, v22, s77
	v_add_u32_e32 v90, 0xc00, v99
	ds_write2_b32 v90, v22, v23 offset0:106 offset1:172
	ds_write_b32 v99, v23 offset:4024
	ds_read2_b64 v[102:105], v100 offset0:8 offset1:12
	v_add_u32_e32 v97, 0x180, v97
	v_cmp_le_i32_e32 vcc, s44, v97
	v_add_u32_e32 v101, 0x300, v101
	s_waitcnt lgkmcnt(0)
	v_mfma_f32_16x16x16_bf16 v[4:7], v[58:59], v[102:103], v[4:7]
	v_lshl_add_u64 v[24:25], v[24:25], 0, s[50:51]
	s_or_b64 s[46:47], vcc, s[46:47]
	v_mfma_f32_16x16x16_bf16 v[8:11], v[42:43], v[102:103], v[8:11]
	v_mfma_f32_16x16x16_bf16 v[0:3], v[74:75], v[102:103], v[0:3]
	v_mfma_f32_16x16x16_bf16 v[12:15], v[88:89], v[102:103], v[12:15]
	v_mfma_f32_16x16x16_bf16 v[4:7], v[56:57], v[104:105], v[4:7]
	ds_read2_b64 v[56:59], v100 offset0:16 offset1:20
	v_mfma_f32_16x16x16_bf16 v[8:11], v[38:39], v[104:105], v[8:11]
	v_mfma_f32_16x16x16_bf16 v[0:3], v[72:73], v[104:105], v[0:3]
	v_mfma_f32_16x16x16_bf16 v[12:15], v[86:87], v[104:105], v[12:15]
	s_waitcnt lgkmcnt(0)
	v_mfma_f32_16x16x16_bf16 v[8:11], v[36:37], v[56:57], v[8:11]
	v_mfma_f32_16x16x16_bf16 v[4:7], v[52:53], v[56:57], v[4:7]
	v_mfma_f32_16x16x16_bf16 v[0:3], v[70:71], v[56:57], v[0:3]
	v_mfma_f32_16x16x16_bf16 v[12:15], v[82:83], v[56:57], v[12:15]
	v_mfma_f32_16x16x16_bf16 v[8:11], v[34:35], v[58:59], v[8:11]
	ds_read2_b64 v[34:37], v100 offset0:24 offset1:28
	v_mfma_f32_16x16x16_bf16 v[4:7], v[50:51], v[58:59], v[4:7]
	v_mfma_f32_16x16x16_bf16 v[0:3], v[68:69], v[58:59], v[0:3]
	v_mfma_f32_16x16x16_bf16 v[12:15], v[78:79], v[58:59], v[12:15]
	s_waitcnt lgkmcnt(0)
	v_mfma_f32_16x16x16_bf16 v[8:11], v[32:33], v[34:35], v[8:11]
	;; [unrolled: 10-line block ×3, first 2 shown]
	v_mfma_f32_16x16x16_bf16 v[4:7], v[44:45], v[30:31], v[4:7]
	v_mfma_f32_16x16x16_bf16 v[0:3], v[60:61], v[30:31], v[0:3]
	;; [unrolled: 1-line block ×7, first 2 shown]
	s_andn2_b64 exec, exec, s[46:47]
	s_cbranch_execz .LBB139_197
.LBB139_43:                             ; =>This Inner Loop Header: Depth=1
	v_readlane_b32 s56, v110, 28
	v_lshl_add_u64 v[26:27], v[24:25], 0, s[2:3]
	global_load_dword v22, v[24:25], off
	global_load_dword v52, v[26:27], off
	v_add_u32_e32 v28, s56, v97
	v_readlane_b32 s56, v110, 29
	v_add_u32_e32 v26, s68, v97
	v_ashrrev_i32_e32 v27, 31, v26
	v_add_u32_e32 v32, s56, v97
	v_readlane_b32 s56, v110, 30
	v_add_u32_e32 v30, s70, v97
	v_lshl_add_u64 v[26:27], v[26:27], 2, v[18:19]
	v_add_u32_e32 v34, s56, v97
	v_readlane_b32 s56, v110, 31
	v_ashrrev_i32_e32 v29, 31, v28
	v_ashrrev_i32_e32 v31, 31, v30
	v_add_u32_e32 v36, s56, v97
	v_ashrrev_i32_e32 v33, 31, v32
	v_ashrrev_i32_e32 v35, 31, v34
	;; [unrolled: 1-line block ×3, first 2 shown]
	v_lshl_add_u64 v[28:29], v[28:29], 2, v[18:19]
	v_lshl_add_u64 v[30:31], v[30:31], 2, v[18:19]
	;; [unrolled: 1-line block ×5, first 2 shown]
	global_load_dword v53, v[26:27], off
	global_load_dword v54, v[28:29], off
	;; [unrolled: 1-line block ×6, first 2 shown]
	v_readlane_b32 s56, v110, 32
	v_add_u32_e32 v26, s74, v97
	v_add_u32_e32 v44, s83, v97
	v_add_u32_e32 v28, s56, v97
	v_readlane_b32 s56, v110, 33
	v_add_u32_e32 v34, s78, v97
	v_add_u32_e32 v36, s79, v97
	v_add_u32_e32 v30, s56, v97
	;; [unrolled: 4-line block ×3, first 2 shown]
	v_add_u32_e32 v42, s82, v97
	v_ashrrev_i32_e32 v27, 31, v26
	v_ashrrev_i32_e32 v45, 31, v44
	;; [unrolled: 1-line block ×10, first 2 shown]
	v_lshl_add_u64 v[26:27], v[26:27], 2, v[18:19]
	v_lshl_add_u64 v[44:45], v[44:45], 2, v[18:19]
	v_add_u32_e32 v46, s84, v97
	v_add_u32_e32 v48, s85, v97
	;; [unrolled: 1-line block ×3, first 2 shown]
	v_lshl_add_u64 v[28:29], v[28:29], 2, v[18:19]
	v_lshl_add_u64 v[30:31], v[30:31], 2, v[18:19]
	;; [unrolled: 1-line block ×8, first 2 shown]
	global_load_dword v59, v[26:27], off
	global_load_dword v60, v[28:29], off
	;; [unrolled: 1-line block ×9, first 2 shown]
	s_nop 0
	global_load_dword v44, v[44:45], off
	v_add_u32_e32 v26, s87, v97
	v_ashrrev_i32_e32 v47, 31, v46
	v_ashrrev_i32_e32 v49, 31, v48
	;; [unrolled: 1-line block ×4, first 2 shown]
	v_add_u32_e32 v28, s88, v97
	v_add_u32_e32 v30, s89, v97
	;; [unrolled: 1-line block ×4, first 2 shown]
	v_lshl_add_u64 v[46:47], v[46:47], 2, v[18:19]
	v_lshl_add_u64 v[48:49], v[48:49], 2, v[18:19]
	;; [unrolled: 1-line block ×4, first 2 shown]
	v_ashrrev_i32_e32 v29, 31, v28
	v_ashrrev_i32_e32 v31, 31, v30
	;; [unrolled: 1-line block ×4, first 2 shown]
	v_lshl_add_u64 v[28:29], v[28:29], 2, v[18:19]
	v_lshl_add_u64 v[30:31], v[30:31], 2, v[18:19]
	;; [unrolled: 1-line block ×4, first 2 shown]
	v_add_u32_e32 v36, s97, v97
	v_add_u32_e32 v38, s98, v97
	s_waitcnt vmcnt(17)
	ds_write_b32 v99, v22 offset:64
	s_waitcnt vmcnt(16)
	ds_write_b32 v99, v52 offset:328
	;; [unrolled: 2-line block ×8, first 2 shown]
	global_load_dword v22, v[46:47], off
	global_load_dword v45, v[48:49], off
	s_nop 0
	global_load_dword v46, v[50:51], off
	global_load_dword v47, v[26:27], off
	global_load_dword v48, v[28:29], off
	global_load_dword v49, v[30:31], off
	s_nop 0
	global_load_dword v50, v[32:33], off
	global_load_dword v51, v[34:35], off
	v_add_u32_e32 v26, s92, v97
	v_ashrrev_i32_e32 v27, 31, v26
	v_add_u32_e32 v28, s93, v97
	v_add_u32_e32 v30, s94, v97
	v_add_u32_e32 v32, s95, v97
	v_add_u32_e32 v34, s96, v97
	v_add_u32_e32 v40, s99, v97
	v_lshl_add_u64 v[26:27], v[26:27], 2, v[18:19]
	v_ashrrev_i32_e32 v29, 31, v28
	v_ashrrev_i32_e32 v31, 31, v30
	v_ashrrev_i32_e32 v33, 31, v32
	v_ashrrev_i32_e32 v35, 31, v34
	v_ashrrev_i32_e32 v37, 31, v36
	v_ashrrev_i32_e32 v39, 31, v38
	v_ashrrev_i32_e32 v41, 31, v40
	v_lshl_add_u64 v[28:29], v[28:29], 2, v[18:19]
	v_lshl_add_u64 v[30:31], v[30:31], 2, v[18:19]
	v_lshl_add_u64 v[32:33], v[32:33], 2, v[18:19]
	v_lshl_add_u64 v[34:35], v[34:35], 2, v[18:19]
	v_lshl_add_u64 v[36:37], v[36:37], 2, v[18:19]
	v_lshl_add_u64 v[38:39], v[38:39], 2, v[18:19]
	v_lshl_add_u64 v[40:41], v[40:41], 2, v[18:19]
	global_load_dword v52, v[26:27], off
	global_load_dword v53, v[28:29], off
	global_load_dword v54, v[30:31], off
	global_load_dword v55, v[32:33], off
	global_load_dword v56, v[34:35], off
	global_load_dword v57, v[36:37], off
	global_load_dword v68, v[38:39], off
	global_load_dword v69, v[40:41], off
	v_add_u32_e32 v26, s42, v97
	v_ashrrev_i32_e32 v27, 31, v26
	v_add_u32_e32 v28, s43, v97
	v_add_u32_e32 v30, s5, v97
	v_add_u32_e32 v32, s58, v97
	v_add_u32_e32 v34, s55, v97
	v_add_u32_e32 v36, s60, v97
	v_add_u32_e32 v38, s61, v97
	v_add_u32_e32 v40, s62, v97
	v_lshl_add_u64 v[26:27], v[26:27], 2, v[18:19]
	v_ashrrev_i32_e32 v29, 31, v28
	v_ashrrev_i32_e32 v31, 31, v30
	v_ashrrev_i32_e32 v33, 31, v32
	v_ashrrev_i32_e32 v35, 31, v34
	v_ashrrev_i32_e32 v37, 31, v36
	v_ashrrev_i32_e32 v39, 31, v38
	v_ashrrev_i32_e32 v41, 31, v40
	v_lshl_add_u64 v[28:29], v[28:29], 2, v[18:19]
	v_lshl_add_u64 v[30:31], v[30:31], 2, v[18:19]
	v_lshl_add_u64 v[32:33], v[32:33], 2, v[18:19]
	v_lshl_add_u64 v[34:35], v[34:35], 2, v[18:19]
	v_lshl_add_u64 v[36:37], v[36:37], 2, v[18:19]
	v_lshl_add_u64 v[38:39], v[38:39], 2, v[18:19]
	v_lshl_add_u64 v[40:41], v[40:41], 2, v[18:19]
	global_load_dword v70, v[26:27], off
	global_load_dword v71, v[28:29], off
	global_load_dword v72, v[30:31], off
	global_load_dword v73, v[32:33], off
	global_load_dword v74, v[34:35], off
	global_load_dword v75, v[36:37], off
	global_load_dword v76, v[38:39], off
	global_load_dword v77, v[40:41], off
	v_add_u32_e32 v26, s63, v97
	v_ashrrev_i32_e32 v27, 31, v26
	v_add_u32_e32 v28, s64, v97
	v_add_u32_e32 v30, s65, v97
	;; [unrolled: 32-line block ×4, first 2 shown]
	v_add_u32_e32 v32, s71, v97
	v_add_u32_e32 v34, s72, v97
	;; [unrolled: 1-line block ×3, first 2 shown]
	v_lshl_add_u64 v[26:27], v[26:27], 2, v[18:19]
	v_ashrrev_i32_e32 v29, 31, v28
	v_ashrrev_i32_e32 v31, 31, v30
	;; [unrolled: 1-line block ×5, first 2 shown]
	v_lshl_add_u64 v[28:29], v[28:29], 2, v[18:19]
	v_lshl_add_u64 v[30:31], v[30:31], 2, v[18:19]
	;; [unrolled: 1-line block ×5, first 2 shown]
	global_load_dword v104, v[26:27], off
	global_load_dword v105, v[28:29], off
	;; [unrolled: 1-line block ×6, first 2 shown]
	s_waitcnt vmcnt(55)
	ds_write_b32 v99, v59 offset:2176
	s_waitcnt vmcnt(54)
	ds_write_b32 v99, v60 offset:2440
	s_waitcnt vmcnt(53)
	ds_write_b32 v99, v61 offset:2704
	s_waitcnt vmcnt(52)
	ds_write_b32 v99, v62 offset:2968
	s_waitcnt vmcnt(51)
	ds_write_b32 v99, v63 offset:3232
	s_waitcnt vmcnt(50)
	ds_write_b32 v99, v64 offset:3496
	s_waitcnt vmcnt(49)
	ds_write_b32 v99, v65 offset:3760
	s_waitcnt vmcnt(48)
	ds_write_b32 v99, v66 offset:4024
	ds_read_b64 v[42:43], v100 offset:64
	ds_read_b64 v[38:39], v100 offset:96
	ds_read_b64 v[36:37], v100 offset:128
	ds_read_b64 v[34:35], v100 offset:160
	ds_read_b64 v[32:33], v100 offset:192
	ds_read_b64 v[30:31], v100 offset:224
	ds_read_b64 v[28:29], v100 offset:256
	ds_read_b64 v[26:27], v100 offset:288
	s_waitcnt vmcnt(47)
	ds_write_b32 v99, v67 offset:64
	s_waitcnt vmcnt(46)
	ds_write_b32 v99, v44 offset:328
	s_waitcnt vmcnt(45)
	ds_write_b32 v99, v22 offset:592
	s_waitcnt vmcnt(44)
	ds_write_b32 v99, v45 offset:856
	s_waitcnt vmcnt(43)
	ds_write_b32 v99, v46 offset:1120
	s_waitcnt vmcnt(42)
	ds_write_b32 v99, v47 offset:1384
	s_waitcnt vmcnt(41)
	ds_write_b32 v99, v48 offset:1648
	s_waitcnt vmcnt(40)
	ds_write_b32 v99, v49 offset:1912
	s_waitcnt vmcnt(39)
	ds_write_b32 v99, v50 offset:2176
	s_waitcnt vmcnt(38)
	ds_write_b32 v99, v51 offset:2440
	s_waitcnt vmcnt(37)
	ds_write_b32 v99, v52 offset:2704
	s_waitcnt vmcnt(36)
	ds_write_b32 v99, v53 offset:2968
	s_waitcnt vmcnt(35)
	ds_write_b32 v99, v54 offset:3232
	s_waitcnt vmcnt(34)
	ds_write_b32 v99, v55 offset:3496
	s_waitcnt vmcnt(33)
	ds_write_b32 v99, v56 offset:3760
	s_waitcnt vmcnt(32)
	ds_write_b32 v99, v57 offset:4024
	ds_read_b64 v[58:59], v100 offset:64
	ds_read_b64 v[56:57], v100 offset:96
	ds_read_b64 v[52:53], v100 offset:128
	ds_read_b64 v[50:51], v100 offset:160
	ds_read_b64 v[48:49], v100 offset:192
	ds_read_b64 v[46:47], v100 offset:224
	ds_read_b64 v[44:45], v100 offset:256
	ds_read_b64 v[40:41], v100 offset:288
	s_waitcnt vmcnt(31)
	ds_write_b32 v99, v68 offset:64
	s_waitcnt vmcnt(30)
	ds_write_b32 v99, v69 offset:328
	s_waitcnt vmcnt(29)
	ds_write_b32 v99, v70 offset:592
	s_waitcnt vmcnt(28)
	ds_write_b32 v99, v71 offset:856
	s_waitcnt vmcnt(27)
	ds_write_b32 v99, v72 offset:1120
	s_waitcnt vmcnt(26)
	ds_write_b32 v99, v73 offset:1384
	s_waitcnt vmcnt(25)
	ds_write_b32 v99, v74 offset:1648
	s_waitcnt vmcnt(24)
	ds_write_b32 v99, v75 offset:1912
	;; [unrolled: 40-line block ×3, first 2 shown]
	s_waitcnt vmcnt(7)
	ds_write_b32 v99, v102 offset:2176
	s_waitcnt vmcnt(6)
	ds_write_b32 v99, v103 offset:2440
	;; [unrolled: 2-line block ×8, first 2 shown]
	ds_read_b64 v[88:89], v100 offset:64
	ds_read_b64 v[86:87], v100 offset:96
	;; [unrolled: 1-line block ×8, first 2 shown]
	s_andn2_b64 vcc, exec, s[6:7]
	v_mov_b32_e32 v90, 0
	v_mov_b32_e32 v91, 0
	s_cbranch_vccnz .LBB139_46
; %bb.44:                               ;   in Loop: Header=BB139_43 Depth=1
	ds_read_b32 v22, v98
	v_mov_b32_e32 v91, 0
	v_mov_b32_e32 v90, 0
	s_waitcnt lgkmcnt(0)
	v_cmp_gt_i32_e32 vcc, 0, v22
	s_cbranch_vccnz .LBB139_46
; %bb.45:                               ;   in Loop: Header=BB139_43 Depth=1
	v_mul_lo_u32 v22, v22, s53
	v_add_u32_e32 v90, v101, v22
	v_ashrrev_i32_e32 v91, 31, v90
	v_lshl_add_u64 v[90:91], v[90:91], 2, v[20:21]
	global_load_dwordx2 v[90:91], v[90:91], off
.LBB139_46:                             ;   in Loop: Header=BB139_43 Depth=1
	s_waitcnt vmcnt(0)
	v_and_b32_e32 v22, 0x7f800000, v90
	v_cmp_ne_u32_e32 vcc, s75, v22
                                        ; implicit-def: $vgpr22
	s_and_saveexec_b64 s[56:57], vcc
	s_xor_b64 s[56:57], exec, s[56:57]
; %bb.47:                               ;   in Loop: Header=BB139_43 Depth=1
	v_bfe_u32 v22, v90, 16, 1
	v_add3_u32 v22, v90, v22, s76
; %bb.48:                               ;   in Loop: Header=BB139_43 Depth=1
	s_andn2_saveexec_b64 s[56:57], s[56:57]
; %bb.49:                               ;   in Loop: Header=BB139_43 Depth=1
	v_or_b32_e32 v22, 0x10000, v90
	v_cmp_eq_u32_sdwa vcc, v90, v23 src0_sel:WORD_0 src1_sel:DWORD
	s_nop 1
	v_cndmask_b32_e32 v22, v22, v90, vcc
; %bb.50:                               ;   in Loop: Header=BB139_43 Depth=1
	s_or_b64 exec, exec, s[56:57]
	v_and_b32_e32 v90, 0x7f800000, v91
	v_cmp_ne_u32_e32 vcc, s75, v90
                                        ; implicit-def: $vgpr90
	s_and_saveexec_b64 s[56:57], vcc
	s_xor_b64 s[56:57], exec, s[56:57]
; %bb.51:                               ;   in Loop: Header=BB139_43 Depth=1
	v_bfe_u32 v90, v91, 16, 1
	v_add3_u32 v90, v91, v90, s76
                                        ; implicit-def: $vgpr91
; %bb.52:                               ;   in Loop: Header=BB139_43 Depth=1
	s_andn2_saveexec_b64 s[56:57], s[56:57]
; %bb.53:                               ;   in Loop: Header=BB139_43 Depth=1
	v_or_b32_e32 v90, 0x10000, v91
	v_cmp_eq_u32_sdwa vcc, v91, v23 src0_sel:WORD_0 src1_sel:DWORD
	s_nop 1
	v_cndmask_b32_e32 v90, v90, v91, vcc
; %bb.54:                               ;   in Loop: Header=BB139_43 Depth=1
	s_or_b64 exec, exec, s[56:57]
	v_perm_b32 v22, v90, v22, s77
	s_andn2_b64 vcc, exec, s[8:9]
	v_mov_b32_e32 v90, 0
	v_mov_b32_e32 v91, 0
	ds_write_b32 v99, v22 offset:64
	s_cbranch_vccnz .LBB139_57
; %bb.55:                               ;   in Loop: Header=BB139_43 Depth=1
	ds_read_b32 v22, v98 offset:4
	v_mov_b32_e32 v91, 0
	v_mov_b32_e32 v90, 0
	s_waitcnt lgkmcnt(0)
	v_cmp_gt_i32_e32 vcc, 0, v22
	s_cbranch_vccnz .LBB139_57
; %bb.56:                               ;   in Loop: Header=BB139_43 Depth=1
	v_mul_lo_u32 v22, v22, s53
	v_readlane_b32 s56, v110, 27
	s_nop 1
	v_add_u32_e32 v22, s56, v22
	v_add_u32_e32 v90, v22, v101
	v_ashrrev_i32_e32 v91, 31, v90
	v_lshl_add_u64 v[90:91], v[90:91], 2, v[20:21]
	global_load_dwordx2 v[90:91], v[90:91], off
.LBB139_57:                             ;   in Loop: Header=BB139_43 Depth=1
	s_waitcnt vmcnt(0)
	v_and_b32_e32 v22, 0x7f800000, v90
	v_cmp_ne_u32_e32 vcc, s75, v22
                                        ; implicit-def: $vgpr22
	s_and_saveexec_b64 s[56:57], vcc
	s_xor_b64 s[56:57], exec, s[56:57]
; %bb.58:                               ;   in Loop: Header=BB139_43 Depth=1
	v_bfe_u32 v22, v90, 16, 1
	v_add3_u32 v22, v90, v22, s76
; %bb.59:                               ;   in Loop: Header=BB139_43 Depth=1
	s_andn2_saveexec_b64 s[56:57], s[56:57]
; %bb.60:                               ;   in Loop: Header=BB139_43 Depth=1
	v_or_b32_e32 v22, 0x10000, v90
	v_cmp_eq_u32_sdwa vcc, v90, v23 src0_sel:WORD_0 src1_sel:DWORD
	s_nop 1
	v_cndmask_b32_e32 v22, v22, v90, vcc
; %bb.61:                               ;   in Loop: Header=BB139_43 Depth=1
	s_or_b64 exec, exec, s[56:57]
	v_and_b32_e32 v90, 0x7f800000, v91
	v_cmp_ne_u32_e32 vcc, s75, v90
                                        ; implicit-def: $vgpr90
	s_and_saveexec_b64 s[56:57], vcc
	s_xor_b64 s[56:57], exec, s[56:57]
; %bb.62:                               ;   in Loop: Header=BB139_43 Depth=1
	v_bfe_u32 v90, v91, 16, 1
	v_add3_u32 v90, v91, v90, s76
                                        ; implicit-def: $vgpr91
; %bb.63:                               ;   in Loop: Header=BB139_43 Depth=1
	s_andn2_saveexec_b64 s[56:57], s[56:57]
; %bb.64:                               ;   in Loop: Header=BB139_43 Depth=1
	v_or_b32_e32 v90, 0x10000, v91
	v_cmp_eq_u32_sdwa vcc, v91, v23 src0_sel:WORD_0 src1_sel:DWORD
	s_nop 1
	v_cndmask_b32_e32 v90, v90, v91, vcc
; %bb.65:                               ;   in Loop: Header=BB139_43 Depth=1
	s_or_b64 exec, exec, s[56:57]
	v_perm_b32 v22, v90, v22, s77
	s_andn2_b64 vcc, exec, s[10:11]
	v_mov_b32_e32 v90, 0
	v_mov_b32_e32 v91, 0
	ds_write_b32 v99, v22 offset:328
	s_cbranch_vccnz .LBB139_68
; %bb.66:                               ;   in Loop: Header=BB139_43 Depth=1
	ds_read_b32 v22, v98 offset:8
	v_mov_b32_e32 v91, 0
	v_mov_b32_e32 v90, 0
	s_waitcnt lgkmcnt(0)
	v_cmp_gt_i32_e32 vcc, 0, v22
	s_cbranch_vccnz .LBB139_68
; %bb.67:                               ;   in Loop: Header=BB139_43 Depth=1
	v_mul_lo_u32 v22, v22, s53
	v_add_u32_e32 v22, s45, v22
	v_add_u32_e32 v90, v22, v101
	v_ashrrev_i32_e32 v91, 31, v90
	v_lshl_add_u64 v[90:91], v[90:91], 2, v[20:21]
	global_load_dwordx2 v[90:91], v[90:91], off
.LBB139_68:                             ;   in Loop: Header=BB139_43 Depth=1
	s_waitcnt vmcnt(0)
	v_and_b32_e32 v22, 0x7f800000, v90
	v_cmp_ne_u32_e32 vcc, s75, v22
                                        ; implicit-def: $vgpr22
	s_and_saveexec_b64 s[56:57], vcc
	s_xor_b64 s[56:57], exec, s[56:57]
; %bb.69:                               ;   in Loop: Header=BB139_43 Depth=1
	v_bfe_u32 v22, v90, 16, 1
	v_add3_u32 v22, v90, v22, s76
; %bb.70:                               ;   in Loop: Header=BB139_43 Depth=1
	s_andn2_saveexec_b64 s[56:57], s[56:57]
; %bb.71:                               ;   in Loop: Header=BB139_43 Depth=1
	v_or_b32_e32 v22, 0x10000, v90
	v_cmp_eq_u32_sdwa vcc, v90, v23 src0_sel:WORD_0 src1_sel:DWORD
	s_nop 1
	v_cndmask_b32_e32 v22, v22, v90, vcc
; %bb.72:                               ;   in Loop: Header=BB139_43 Depth=1
	s_or_b64 exec, exec, s[56:57]
	v_and_b32_e32 v90, 0x7f800000, v91
	v_cmp_ne_u32_e32 vcc, s75, v90
                                        ; implicit-def: $vgpr90
	s_and_saveexec_b64 s[56:57], vcc
	s_xor_b64 s[56:57], exec, s[56:57]
; %bb.73:                               ;   in Loop: Header=BB139_43 Depth=1
	v_bfe_u32 v90, v91, 16, 1
	v_add3_u32 v90, v91, v90, s76
                                        ; implicit-def: $vgpr91
; %bb.74:                               ;   in Loop: Header=BB139_43 Depth=1
	s_andn2_saveexec_b64 s[56:57], s[56:57]
; %bb.75:                               ;   in Loop: Header=BB139_43 Depth=1
	v_or_b32_e32 v90, 0x10000, v91
	v_cmp_eq_u32_sdwa vcc, v91, v23 src0_sel:WORD_0 src1_sel:DWORD
	s_nop 1
	v_cndmask_b32_e32 v90, v90, v91, vcc
; %bb.76:                               ;   in Loop: Header=BB139_43 Depth=1
	s_or_b64 exec, exec, s[56:57]
	v_perm_b32 v22, v90, v22, s77
	s_andn2_b64 vcc, exec, s[12:13]
	v_mov_b32_e32 v90, 0
	v_mov_b32_e32 v91, 0
	ds_write_b32 v99, v22 offset:592
	s_cbranch_vccnz .LBB139_79
; %bb.77:                               ;   in Loop: Header=BB139_43 Depth=1
	ds_read_b32 v22, v98 offset:12
	v_mov_b32_e32 v91, 0
	v_mov_b32_e32 v90, 0
	s_waitcnt lgkmcnt(0)
	v_cmp_gt_i32_e32 vcc, 0, v22
	s_cbranch_vccnz .LBB139_79
; %bb.78:                               ;   in Loop: Header=BB139_43 Depth=1
	v_mul_lo_u32 v22, v22, s53
	v_readlane_b32 s56, v110, 17
	s_nop 1
	v_add_u32_e32 v22, s56, v22
	v_add_u32_e32 v90, v22, v101
	v_ashrrev_i32_e32 v91, 31, v90
	v_lshl_add_u64 v[90:91], v[90:91], 2, v[20:21]
	global_load_dwordx2 v[90:91], v[90:91], off
.LBB139_79:                             ;   in Loop: Header=BB139_43 Depth=1
	s_waitcnt vmcnt(0)
	v_and_b32_e32 v22, 0x7f800000, v90
	v_cmp_ne_u32_e32 vcc, s75, v22
                                        ; implicit-def: $vgpr22
	s_and_saveexec_b64 s[56:57], vcc
	s_xor_b64 s[56:57], exec, s[56:57]
; %bb.80:                               ;   in Loop: Header=BB139_43 Depth=1
	v_bfe_u32 v22, v90, 16, 1
	v_add3_u32 v22, v90, v22, s76
; %bb.81:                               ;   in Loop: Header=BB139_43 Depth=1
	s_andn2_saveexec_b64 s[56:57], s[56:57]
; %bb.82:                               ;   in Loop: Header=BB139_43 Depth=1
	v_or_b32_e32 v22, 0x10000, v90
	v_cmp_eq_u32_sdwa vcc, v90, v23 src0_sel:WORD_0 src1_sel:DWORD
	s_nop 1
	v_cndmask_b32_e32 v22, v22, v90, vcc
; %bb.83:                               ;   in Loop: Header=BB139_43 Depth=1
	s_or_b64 exec, exec, s[56:57]
	v_and_b32_e32 v90, 0x7f800000, v91
	v_cmp_ne_u32_e32 vcc, s75, v90
                                        ; implicit-def: $vgpr90
	s_and_saveexec_b64 s[56:57], vcc
	s_xor_b64 s[56:57], exec, s[56:57]
; %bb.84:                               ;   in Loop: Header=BB139_43 Depth=1
	v_bfe_u32 v90, v91, 16, 1
	v_add3_u32 v90, v91, v90, s76
                                        ; implicit-def: $vgpr91
; %bb.85:                               ;   in Loop: Header=BB139_43 Depth=1
	s_andn2_saveexec_b64 s[56:57], s[56:57]
; %bb.86:                               ;   in Loop: Header=BB139_43 Depth=1
	v_or_b32_e32 v90, 0x10000, v91
	v_cmp_eq_u32_sdwa vcc, v91, v23 src0_sel:WORD_0 src1_sel:DWORD
	s_nop 1
	v_cndmask_b32_e32 v90, v90, v91, vcc
; %bb.87:                               ;   in Loop: Header=BB139_43 Depth=1
	s_or_b64 exec, exec, s[56:57]
	v_perm_b32 v22, v90, v22, s77
	s_andn2_b64 vcc, exec, s[14:15]
	v_mov_b32_e32 v90, 0
	v_mov_b32_e32 v91, 0
	ds_write_b32 v99, v22 offset:856
	s_cbranch_vccnz .LBB139_90
; %bb.88:                               ;   in Loop: Header=BB139_43 Depth=1
	ds_read_b32 v22, v98 offset:16
	v_mov_b32_e32 v91, 0
	v_mov_b32_e32 v90, 0
	s_waitcnt lgkmcnt(0)
	v_cmp_gt_i32_e32 vcc, 0, v22
	s_cbranch_vccnz .LBB139_90
; %bb.89:                               ;   in Loop: Header=BB139_43 Depth=1
	v_mul_lo_u32 v22, v22, s53
	v_readlane_b32 s56, v110, 16
	s_nop 1
	v_add_u32_e32 v22, s56, v22
	v_add_u32_e32 v90, v22, v101
	v_ashrrev_i32_e32 v91, 31, v90
	v_lshl_add_u64 v[90:91], v[90:91], 2, v[20:21]
	global_load_dwordx2 v[90:91], v[90:91], off
.LBB139_90:                             ;   in Loop: Header=BB139_43 Depth=1
	s_waitcnt vmcnt(0)
	v_and_b32_e32 v22, 0x7f800000, v90
	v_cmp_ne_u32_e32 vcc, s75, v22
                                        ; implicit-def: $vgpr22
	s_and_saveexec_b64 s[56:57], vcc
	s_xor_b64 s[56:57], exec, s[56:57]
; %bb.91:                               ;   in Loop: Header=BB139_43 Depth=1
	v_bfe_u32 v22, v90, 16, 1
	v_add3_u32 v22, v90, v22, s76
; %bb.92:                               ;   in Loop: Header=BB139_43 Depth=1
	s_andn2_saveexec_b64 s[56:57], s[56:57]
; %bb.93:                               ;   in Loop: Header=BB139_43 Depth=1
	v_or_b32_e32 v22, 0x10000, v90
	v_cmp_eq_u32_sdwa vcc, v90, v23 src0_sel:WORD_0 src1_sel:DWORD
	s_nop 1
	v_cndmask_b32_e32 v22, v22, v90, vcc
; %bb.94:                               ;   in Loop: Header=BB139_43 Depth=1
	s_or_b64 exec, exec, s[56:57]
	v_and_b32_e32 v90, 0x7f800000, v91
	v_cmp_ne_u32_e32 vcc, s75, v90
                                        ; implicit-def: $vgpr90
	s_and_saveexec_b64 s[56:57], vcc
	s_xor_b64 s[56:57], exec, s[56:57]
; %bb.95:                               ;   in Loop: Header=BB139_43 Depth=1
	v_bfe_u32 v90, v91, 16, 1
	v_add3_u32 v90, v91, v90, s76
                                        ; implicit-def: $vgpr91
; %bb.96:                               ;   in Loop: Header=BB139_43 Depth=1
	s_andn2_saveexec_b64 s[56:57], s[56:57]
; %bb.97:                               ;   in Loop: Header=BB139_43 Depth=1
	v_or_b32_e32 v90, 0x10000, v91
	v_cmp_eq_u32_sdwa vcc, v91, v23 src0_sel:WORD_0 src1_sel:DWORD
	s_nop 1
	v_cndmask_b32_e32 v90, v90, v91, vcc
; %bb.98:                               ;   in Loop: Header=BB139_43 Depth=1
	s_or_b64 exec, exec, s[56:57]
	v_perm_b32 v22, v90, v22, s77
	s_andn2_b64 vcc, exec, s[16:17]
	v_mov_b32_e32 v90, 0
	v_mov_b32_e32 v91, 0
	ds_write_b32 v99, v22 offset:1120
	s_cbranch_vccnz .LBB139_101
; %bb.99:                               ;   in Loop: Header=BB139_43 Depth=1
	ds_read_b32 v22, v98 offset:20
	v_mov_b32_e32 v91, 0
	v_mov_b32_e32 v90, 0
	s_waitcnt lgkmcnt(0)
	v_cmp_gt_i32_e32 vcc, 0, v22
	s_cbranch_vccnz .LBB139_101
; %bb.100:                              ;   in Loop: Header=BB139_43 Depth=1
	v_mul_lo_u32 v22, v22, s53
	v_readlane_b32 s56, v110, 19
	s_nop 1
	v_add_u32_e32 v22, s56, v22
	v_add_u32_e32 v90, v22, v101
	v_ashrrev_i32_e32 v91, 31, v90
	v_lshl_add_u64 v[90:91], v[90:91], 2, v[20:21]
	global_load_dwordx2 v[90:91], v[90:91], off
.LBB139_101:                            ;   in Loop: Header=BB139_43 Depth=1
	s_waitcnt vmcnt(0)
	v_and_b32_e32 v22, 0x7f800000, v90
	v_cmp_ne_u32_e32 vcc, s75, v22
                                        ; implicit-def: $vgpr22
	s_and_saveexec_b64 s[56:57], vcc
	s_xor_b64 s[56:57], exec, s[56:57]
; %bb.102:                              ;   in Loop: Header=BB139_43 Depth=1
	v_bfe_u32 v22, v90, 16, 1
	v_add3_u32 v22, v90, v22, s76
; %bb.103:                              ;   in Loop: Header=BB139_43 Depth=1
	s_andn2_saveexec_b64 s[56:57], s[56:57]
; %bb.104:                              ;   in Loop: Header=BB139_43 Depth=1
	v_or_b32_e32 v22, 0x10000, v90
	v_cmp_eq_u32_sdwa vcc, v90, v23 src0_sel:WORD_0 src1_sel:DWORD
	s_nop 1
	v_cndmask_b32_e32 v22, v22, v90, vcc
; %bb.105:                              ;   in Loop: Header=BB139_43 Depth=1
	s_or_b64 exec, exec, s[56:57]
	v_and_b32_e32 v90, 0x7f800000, v91
	v_cmp_ne_u32_e32 vcc, s75, v90
                                        ; implicit-def: $vgpr90
	s_and_saveexec_b64 s[56:57], vcc
	s_xor_b64 s[56:57], exec, s[56:57]
; %bb.106:                              ;   in Loop: Header=BB139_43 Depth=1
	v_bfe_u32 v90, v91, 16, 1
	v_add3_u32 v90, v91, v90, s76
                                        ; implicit-def: $vgpr91
; %bb.107:                              ;   in Loop: Header=BB139_43 Depth=1
	s_andn2_saveexec_b64 s[56:57], s[56:57]
; %bb.108:                              ;   in Loop: Header=BB139_43 Depth=1
	v_or_b32_e32 v90, 0x10000, v91
	v_cmp_eq_u32_sdwa vcc, v91, v23 src0_sel:WORD_0 src1_sel:DWORD
	s_nop 1
	v_cndmask_b32_e32 v90, v90, v91, vcc
; %bb.109:                              ;   in Loop: Header=BB139_43 Depth=1
	s_or_b64 exec, exec, s[56:57]
	v_perm_b32 v22, v90, v22, s77
	s_andn2_b64 vcc, exec, s[18:19]
	v_mov_b32_e32 v90, 0
	v_mov_b32_e32 v91, 0
	ds_write_b32 v99, v22 offset:1384
	s_cbranch_vccnz .LBB139_112
; %bb.110:                              ;   in Loop: Header=BB139_43 Depth=1
	ds_read_b32 v22, v98 offset:24
	v_mov_b32_e32 v91, 0
	v_mov_b32_e32 v90, 0
	s_waitcnt lgkmcnt(0)
	v_cmp_gt_i32_e32 vcc, 0, v22
	s_cbranch_vccnz .LBB139_112
; %bb.111:                              ;   in Loop: Header=BB139_43 Depth=1
	v_mul_lo_u32 v22, v22, s53
	v_readlane_b32 s56, v110, 20
	s_nop 1
	v_add_u32_e32 v22, s56, v22
	v_add_u32_e32 v90, v22, v101
	v_ashrrev_i32_e32 v91, 31, v90
	v_lshl_add_u64 v[90:91], v[90:91], 2, v[20:21]
	global_load_dwordx2 v[90:91], v[90:91], off
.LBB139_112:                            ;   in Loop: Header=BB139_43 Depth=1
	s_waitcnt vmcnt(0)
	v_and_b32_e32 v22, 0x7f800000, v90
	v_cmp_ne_u32_e32 vcc, s75, v22
                                        ; implicit-def: $vgpr22
	s_and_saveexec_b64 s[56:57], vcc
	s_xor_b64 s[56:57], exec, s[56:57]
; %bb.113:                              ;   in Loop: Header=BB139_43 Depth=1
	v_bfe_u32 v22, v90, 16, 1
	v_add3_u32 v22, v90, v22, s76
; %bb.114:                              ;   in Loop: Header=BB139_43 Depth=1
	s_andn2_saveexec_b64 s[56:57], s[56:57]
; %bb.115:                              ;   in Loop: Header=BB139_43 Depth=1
	v_or_b32_e32 v22, 0x10000, v90
	v_cmp_eq_u32_sdwa vcc, v90, v23 src0_sel:WORD_0 src1_sel:DWORD
	s_nop 1
	v_cndmask_b32_e32 v22, v22, v90, vcc
; %bb.116:                              ;   in Loop: Header=BB139_43 Depth=1
	s_or_b64 exec, exec, s[56:57]
	v_and_b32_e32 v90, 0x7f800000, v91
	v_cmp_ne_u32_e32 vcc, s75, v90
                                        ; implicit-def: $vgpr90
	s_and_saveexec_b64 s[56:57], vcc
	s_xor_b64 s[56:57], exec, s[56:57]
; %bb.117:                              ;   in Loop: Header=BB139_43 Depth=1
	v_bfe_u32 v90, v91, 16, 1
	v_add3_u32 v90, v91, v90, s76
                                        ; implicit-def: $vgpr91
; %bb.118:                              ;   in Loop: Header=BB139_43 Depth=1
	s_andn2_saveexec_b64 s[56:57], s[56:57]
; %bb.119:                              ;   in Loop: Header=BB139_43 Depth=1
	v_or_b32_e32 v90, 0x10000, v91
	v_cmp_eq_u32_sdwa vcc, v91, v23 src0_sel:WORD_0 src1_sel:DWORD
	s_nop 1
	v_cndmask_b32_e32 v90, v90, v91, vcc
; %bb.120:                              ;   in Loop: Header=BB139_43 Depth=1
	s_or_b64 exec, exec, s[56:57]
	v_perm_b32 v22, v90, v22, s77
	s_andn2_b64 vcc, exec, s[20:21]
	v_mov_b32_e32 v90, 0
	v_mov_b32_e32 v91, 0
	ds_write_b32 v99, v22 offset:1648
	s_cbranch_vccnz .LBB139_123
; %bb.121:                              ;   in Loop: Header=BB139_43 Depth=1
	ds_read_b32 v22, v98 offset:28
	v_mov_b32_e32 v91, 0
	v_mov_b32_e32 v90, 0
	s_waitcnt lgkmcnt(0)
	v_cmp_gt_i32_e32 vcc, 0, v22
	s_cbranch_vccnz .LBB139_123
; %bb.122:                              ;   in Loop: Header=BB139_43 Depth=1
	v_mul_lo_u32 v22, v22, s53
	v_readlane_b32 s56, v110, 26
	s_nop 1
	v_add_u32_e32 v22, s56, v22
	v_add_u32_e32 v90, v22, v101
	v_ashrrev_i32_e32 v91, 31, v90
	v_lshl_add_u64 v[90:91], v[90:91], 2, v[20:21]
	global_load_dwordx2 v[90:91], v[90:91], off
.LBB139_123:                            ;   in Loop: Header=BB139_43 Depth=1
	;; [unrolled: 59-line block ×8, first 2 shown]
	s_waitcnt vmcnt(0)
	v_and_b32_e32 v22, 0x7f800000, v90
	v_cmp_ne_u32_e32 vcc, s75, v22
                                        ; implicit-def: $vgpr22
	s_and_saveexec_b64 s[56:57], vcc
	s_xor_b64 s[56:57], exec, s[56:57]
; %bb.190:                              ;   in Loop: Header=BB139_43 Depth=1
	v_bfe_u32 v22, v90, 16, 1
	v_add3_u32 v22, v90, v22, s76
; %bb.191:                              ;   in Loop: Header=BB139_43 Depth=1
	s_andn2_saveexec_b64 s[56:57], s[56:57]
; %bb.192:                              ;   in Loop: Header=BB139_43 Depth=1
	v_or_b32_e32 v22, 0x10000, v90
	v_cmp_eq_u32_sdwa vcc, v90, v23 src0_sel:WORD_0 src1_sel:DWORD
	s_nop 1
	v_cndmask_b32_e32 v22, v22, v90, vcc
; %bb.193:                              ;   in Loop: Header=BB139_43 Depth=1
	s_or_b64 exec, exec, s[56:57]
	v_and_b32_e32 v90, 0x7f800000, v91
	v_cmp_ne_u32_e32 vcc, s75, v90
                                        ; implicit-def: $vgpr90
	s_and_saveexec_b64 s[56:57], vcc
	s_xor_b64 s[56:57], exec, s[56:57]
; %bb.194:                              ;   in Loop: Header=BB139_43 Depth=1
	v_bfe_u32 v90, v91, 16, 1
	v_add3_u32 v90, v91, v90, s76
                                        ; implicit-def: $vgpr91
; %bb.195:                              ;   in Loop: Header=BB139_43 Depth=1
	s_andn2_saveexec_b64 s[56:57], s[56:57]
	s_cbranch_execz .LBB139_42
; %bb.196:                              ;   in Loop: Header=BB139_43 Depth=1
	v_or_b32_e32 v90, 0x10000, v91
	v_cmp_eq_u32_sdwa vcc, v91, v23 src0_sel:WORD_0 src1_sel:DWORD
	s_nop 1
	v_cndmask_b32_e32 v90, v90, v91, vcc
	s_branch .LBB139_42
.LBB139_197:
	s_or_b64 exec, exec, s[46:47]
	v_readlane_b32 s24, v110, 8
	v_readlane_b32 s28, v110, 12
	;; [unrolled: 1-line block ×8, first 2 shown]
.LBB139_198:
	v_readlane_b32 s0, v110, 6
	v_readlane_b32 s1, v110, 7
	s_or_b64 exec, exec, s[0:1]
	v_mul_u32_u24_e32 v18, 0x608, v96
	s_movk_i32 s1, 0x100
	v_lshlrev_b32_e32 v19, 2, v95
	v_add3_u32 v18, s1, v18, v19
	v_and_b32_e32 v20, 0x3f0, v16
	v_add_u32_e32 v21, v18, v20
	s_waitcnt lgkmcnt(0)
	s_barrier
	v_add_u32_e32 v19, 64, v18
	ds_write2_b32 v21, v8, v9 offset0:16 offset1:17
	v_or_b32_e32 v9, 12, v16
	v_add_u32_e32 v8, v19, v20
	v_and_b32_e32 v9, 0x3fc, v9
	ds_write_b32 v8, v10 offset:8
	v_add_u32_e32 v10, v18, v9
	ds_write_b32 v10, v11 offset:64
	ds_write2_b32 v8, v4, v5 offset0:16 offset1:17
	ds_write_b32 v8, v6 offset:72
	v_add_u32_e32 v4, v19, v9
	ds_write_b32 v4, v7 offset:64
	ds_write2_b32 v8, v0, v1 offset0:32 offset1:33
	ds_write_b32 v8, v2 offset:136
	ds_write_b32 v4, v3 offset:128
	ds_write2_b32 v8, v12, v13 offset0:48 offset1:49
	ds_write_b32 v8, v14 offset:200
	ds_write_b32 v4, v15 offset:192
	v_mov_b32_e32 v0, 0x100
	s_movk_i32 s0, 0x608
	v_lshl_add_u32 v9, v16, 2, v0
	v_mad_u32_u24 v1, v17, s0, v9
	s_waitcnt lgkmcnt(0)
	s_barrier
	ds_read2_b32 v[6:7], v1 offset0:16 offset1:80
	ds_read2_b32 v[2:3], v1 offset0:144 offset1:208
	v_add_u32_e32 v1, 64, v1
	ds_read2st64_b32 v[4:5], v1 offset0:4 offset1:5
	v_cmp_gt_u32_e32 vcc, 14, v17
	v_mov_b32_e32 v10, -1
	s_and_saveexec_b64 s[0:1], vcc
	s_cbranch_execz .LBB139_200
; %bb.199:
	v_lshl_add_u32 v0, v17, 2, v0
	ds_read_b32 v10, v0
.LBB139_200:
	s_or_b64 exec, exec, s[0:1]
	s_mul_hi_i32 s1, s30, s4
	s_mul_i32 s0, s30, s4
	s_lshl_b64 s[0:1], s[0:1], 2
	v_readlane_b32 s2, v110, 4
	v_mul_hi_i32 v1, v92, s49
	v_mul_lo_u32 v0, v92, s49
	v_readlane_b32 s3, v110, 5
	s_add_u32 s0, s2, s0
	s_addc_u32 s1, s3, s1
	v_lshlrev_b64 v[0:1], 2, v[0:1]
	s_waitcnt lgkmcnt(0)
	v_cmp_lt_i32_e32 vcc, -1, v10
	v_mul_u32_u24_e32 v11, 0x608, v17
	v_add_u32_e32 v8, s12, v16
	v_lshl_add_u64 v[0:1], s[0:1], 0, v[0:1]
	s_and_b64 s[2:3], vcc, s[24:25]
	s_and_saveexec_b64 s[0:1], s[2:3]
	s_cbranch_execz .LBB139_202
; %bb.201:
	v_add_f32_e32 v6, 0, v6
	v_add_f32_e32 v6, v6, v7
	;; [unrolled: 1-line block ×6, first 2 shown]
	v_mul_lo_u32 v2, v10, s54
	v_mul_lo_u32 v3, v17, s49
	v_add3_u32 v2, v8, v3, v2
	v_mov_b32_e32 v3, 0
	v_lshl_add_u64 v[2:3], v[2:3], 2, v[0:1]
	global_store_dword v[2:3], v4, off
.LBB139_202:
	s_or_b64 exec, exec, s[0:1]
	v_add_u32_e32 v9, v11, v9
	v_add_u32_e32 v2, 0x70, v9
	ds_read2st64_b32 v[6:7], v2 offset0:36 offset1:37
	ds_read2st64_b32 v[4:5], v2 offset0:38 offset1:39
	;; [unrolled: 1-line block ×3, first 2 shown]
	v_cmp_gt_u32_e32 vcc, 8, v17
	v_mov_b32_e32 v10, -1
	s_and_saveexec_b64 s[0:1], vcc
	s_cbranch_execz .LBB139_204
; %bb.203:
	v_mov_b32_e32 v10, 0x100
	v_lshl_add_u32 v10, v17, 2, v10
	ds_read_b32 v10, v10 offset:24
.LBB139_204:
	s_or_b64 exec, exec, s[0:1]
	v_readlane_b32 s0, v110, 0
	s_waitcnt lgkmcnt(0)
	v_cmp_lt_i32_e32 vcc, -1, v10
	v_readlane_b32 s1, v110, 1
	s_and_b64 s[2:3], vcc, s[0:1]
	s_and_saveexec_b64 s[0:1], s[2:3]
	s_cbranch_execz .LBB139_206
; %bb.205:
	v_add_f32_e32 v6, 0, v6
	v_add_f32_e32 v6, v6, v7
	;; [unrolled: 1-line block ×6, first 2 shown]
	v_mul_lo_u32 v2, v10, s54
	v_mul_lo_u32 v3, v93, s49
	v_add3_u32 v2, v8, v3, v2
	v_mov_b32_e32 v3, 0
	v_lshl_add_u64 v[2:3], v[2:3], 2, v[0:1]
	global_store_dword v[2:3], v4, off
.LBB139_206:
	s_or_b64 exec, exec, s[0:1]
	v_cmp_gt_u32_e32 vcc, 2, v17
	s_and_saveexec_b64 s[0:1], vcc
	s_cbranch_execz .LBB139_209
; %bb.207:
	v_mov_b32_e32 v2, 0x100
	v_lshl_add_u32 v2, v17, 2, v2
	ds_read_b32 v2, v2 offset:48
	v_readlane_b32 s0, v110, 2
	v_readlane_b32 s1, v110, 3
	s_waitcnt lgkmcnt(0)
	v_cmp_lt_i32_e32 vcc, -1, v2
	s_and_b64 s[0:1], vcc, s[0:1]
	s_and_b64 exec, exec, s[0:1]
	s_cbranch_execz .LBB139_209
; %bb.208:
	v_add_u32_e32 v6, 0xa0, v9
	ds_read2st64_b32 v[4:5], v6 offset0:72 offset1:73
	v_mul_lo_u32 v9, v2, s54
	ds_read2st64_b32 v[2:3], v6 offset0:74 offset1:75
	ds_read2st64_b32 v[6:7], v6 offset0:76 offset1:77
	v_mul_lo_u32 v10, v94, s49
	s_waitcnt lgkmcnt(2)
	v_add_f32_e32 v4, 0, v4
	v_add_f32_e32 v4, v4, v5
	s_waitcnt lgkmcnt(1)
	v_add_f32_e32 v2, v4, v2
	v_add_f32_e32 v2, v2, v3
	;; [unrolled: 3-line block ×3, first 2 shown]
	v_add3_u32 v2, v8, v10, v9
	v_mov_b32_e32 v3, 0
	v_lshl_add_u64 v[0:1], v[2:3], 2, v[0:1]
	global_store_dword v[0:1], v4, off
.LBB139_209:
	s_endpgm
	.section	.rodata,"a",@progbits
	.p2align	6, 0x0
	.amdhsa_kernel _ZL9mul_mat_fI15__hip_bfloat162Li64ELi14ELi6ELb1EEvPKT_PKfPKiPfiiiiiiiiiiiiiiii
		.amdhsa_group_segment_fixed_size 256
		.amdhsa_private_segment_fixed_size 0
		.amdhsa_kernarg_size 352
		.amdhsa_user_sgpr_count 2
		.amdhsa_user_sgpr_dispatch_ptr 0
		.amdhsa_user_sgpr_queue_ptr 0
		.amdhsa_user_sgpr_kernarg_segment_ptr 1
		.amdhsa_user_sgpr_dispatch_id 0
		.amdhsa_user_sgpr_kernarg_preload_length 0
		.amdhsa_user_sgpr_kernarg_preload_offset 0
		.amdhsa_user_sgpr_private_segment_size 0
		.amdhsa_uses_dynamic_stack 0
		.amdhsa_enable_private_segment 0
		.amdhsa_system_sgpr_workgroup_id_x 1
		.amdhsa_system_sgpr_workgroup_id_y 1
		.amdhsa_system_sgpr_workgroup_id_z 1
		.amdhsa_system_sgpr_workgroup_info 0
		.amdhsa_system_vgpr_workitem_id 2
		.amdhsa_next_free_vgpr 111
		.amdhsa_next_free_sgpr 100
		.amdhsa_accum_offset 112
		.amdhsa_reserve_vcc 1
		.amdhsa_float_round_mode_32 0
		.amdhsa_float_round_mode_16_64 0
		.amdhsa_float_denorm_mode_32 3
		.amdhsa_float_denorm_mode_16_64 3
		.amdhsa_dx10_clamp 1
		.amdhsa_ieee_mode 1
		.amdhsa_fp16_overflow 0
		.amdhsa_tg_split 0
		.amdhsa_exception_fp_ieee_invalid_op 0
		.amdhsa_exception_fp_denorm_src 0
		.amdhsa_exception_fp_ieee_div_zero 0
		.amdhsa_exception_fp_ieee_overflow 0
		.amdhsa_exception_fp_ieee_underflow 0
		.amdhsa_exception_fp_ieee_inexact 0
		.amdhsa_exception_int_div_zero 0
	.end_amdhsa_kernel
	.section	.text._ZL9mul_mat_fI15__hip_bfloat162Li64ELi14ELi6ELb1EEvPKT_PKfPKiPfiiiiiiiiiiiiiiii,"axG",@progbits,_ZL9mul_mat_fI15__hip_bfloat162Li64ELi14ELi6ELb1EEvPKT_PKfPKiPfiiiiiiiiiiiiiiii,comdat
.Lfunc_end139:
	.size	_ZL9mul_mat_fI15__hip_bfloat162Li64ELi14ELi6ELb1EEvPKT_PKfPKiPfiiiiiiiiiiiiiiii, .Lfunc_end139-_ZL9mul_mat_fI15__hip_bfloat162Li64ELi14ELi6ELb1EEvPKT_PKfPKiPfiiiiiiiiiiiiiiii
                                        ; -- End function
	.section	.AMDGPU.csdata,"",@progbits
; Kernel info:
; codeLenInByte = 10236
; NumSgprs: 106
; NumVgprs: 111
; NumAgprs: 0
; TotalNumVgprs: 111
; ScratchSize: 0
; MemoryBound: 0
; FloatMode: 240
; IeeeMode: 1
; LDSByteSize: 256 bytes/workgroup (compile time only)
; SGPRBlocks: 13
; VGPRBlocks: 13
; NumSGPRsForWavesPerEU: 106
; NumVGPRsForWavesPerEU: 111
; AccumOffset: 112
; Occupancy: 4
; WaveLimiterHint : 0
; COMPUTE_PGM_RSRC2:SCRATCH_EN: 0
; COMPUTE_PGM_RSRC2:USER_SGPR: 2
; COMPUTE_PGM_RSRC2:TRAP_HANDLER: 0
; COMPUTE_PGM_RSRC2:TGID_X_EN: 1
; COMPUTE_PGM_RSRC2:TGID_Y_EN: 1
; COMPUTE_PGM_RSRC2:TGID_Z_EN: 1
; COMPUTE_PGM_RSRC2:TIDIG_COMP_CNT: 2
; COMPUTE_PGM_RSRC3_GFX90A:ACCUM_OFFSET: 27
; COMPUTE_PGM_RSRC3_GFX90A:TG_SPLIT: 0
	.section	.text._ZL9mul_mat_fI15__hip_bfloat162Li64ELi14ELi6ELb0EEvPKT_PKfPKiPfiiiiiiiiiiiiiiii,"axG",@progbits,_ZL9mul_mat_fI15__hip_bfloat162Li64ELi14ELi6ELb0EEvPKT_PKfPKiPfiiiiiiiiiiiiiiii,comdat
	.globl	_ZL9mul_mat_fI15__hip_bfloat162Li64ELi14ELi6ELb0EEvPKT_PKfPKiPfiiiiiiiiiiiiiiii ; -- Begin function _ZL9mul_mat_fI15__hip_bfloat162Li64ELi14ELi6ELb0EEvPKT_PKfPKiPfiiiiiiiiiiiiiiii
	.p2align	8
	.type	_ZL9mul_mat_fI15__hip_bfloat162Li64ELi14ELi6ELb0EEvPKT_PKfPKiPfiiiiiiiiiiiiiiii,@function
_ZL9mul_mat_fI15__hip_bfloat162Li64ELi14ELi6ELb0EEvPKT_PKfPKiPfiiiiiiiiiiiiiiii: ; @_ZL9mul_mat_fI15__hip_bfloat162Li64ELi14ELi6ELb0EEvPKT_PKfPKiPfiiiiiiiiiiiiiiii
; %bb.0:
	s_load_dword s5, s[0:1], 0x20
	s_load_dwordx4 s[16:19], s[0:1], 0x2c
	v_bfe_u32 v90, v0, 10, 10
	v_lshlrev_b32_e32 v92, 6, v90
	v_and_b32_e32 v91, 0x3ff, v0
	v_add_u32_e32 v94, v92, v91
	s_mov_b32 s20, 0
	s_waitcnt lgkmcnt(0)
	s_ashr_i32 s19, s4, 31
	v_cmp_le_i32_e32 vcc, s5, v94
	v_and_b32_e32 v93, 15, v91
	s_and_saveexec_b64 s[6:7], vcc
	s_xor_b64 s[6:7], exec, s[6:7]
; %bb.1:
	v_and_b32_e32 v93, 15, v91
                                        ; implicit-def: $vgpr94
; %bb.2:
	s_or_saveexec_b64 s[24:25], s[6:7]
	s_load_dwordx8 s[8:15], s[0:1], 0x40
	s_load_dwordx2 s[6:7], s[0:1], 0x18
	s_lshl_b32 s27, s2, 6
	v_mov_b32_e32 v11, s20
	v_mov_b32_e32 v10, s20
	;; [unrolled: 1-line block ×16, first 2 shown]
	s_xor_b64 exec, exec, s[24:25]
	s_cbranch_execz .LBB140_118
; %bb.3:
	s_waitcnt lgkmcnt(0)
	s_abs_i32 s2, s8
	v_cvt_f32_u32_e32 v0, s2
                                        ; implicit-def: $vgpr106 : SGPR spill to VGPR lane
	s_abs_i32 s26, s4
	v_writelane_b32 v106, s6, 0
	v_lshrrev_b32_e32 v7, 1, v91
	v_rcp_iflag_f32_e32 v0, v0
	v_writelane_b32 v106, s7, 1
	s_abs_i32 s6, s12
	v_cvt_f32_u32_e32 v1, s6
	v_mul_f32_e32 v0, 0x4f7ffffe, v0
	v_cvt_u32_f32_e32 v0, v0
	s_sub_i32 s7, 0, s2
	v_rcp_iflag_f32_e32 v1, v1
	s_sub_i32 s20, 0, s6
	v_mul_lo_u32 v2, s7, v0
	v_mul_hi_u32 v2, v0, v2
	v_mul_f32_e32 v1, 0x4f7ffffe, v1
	v_cvt_u32_f32_e32 v1, v1
	s_abs_i32 s7, s3
	v_add_u32_e32 v0, v0, v2
	v_mul_hi_u32 v0, s7, v0
	v_mul_lo_u32 v3, s20, v1
	v_mul_lo_u32 v2, v0, s2
	v_mul_hi_u32 v3, v1, v3
	v_sub_u32_e32 v2, s7, v2
	v_add_u32_e32 v1, v1, v3
	v_add_u32_e32 v3, 1, v0
	v_subrev_u32_e32 v4, s2, v2
	v_cmp_le_u32_e32 vcc, s2, v2
	s_load_dwordx4 s[20:23], s[0:1], 0x0
	s_ashr_i32 s0, s3, 31
	v_cndmask_b32_e32 v0, v0, v3, vcc
	v_cndmask_b32_e32 v2, v2, v4, vcc
	s_ashr_i32 s1, s8, 31
	v_add_u32_e32 v3, 1, v0
	v_cmp_le_u32_e32 vcc, s2, v2
	s_xor_b32 s0, s0, s1
	v_mul_hi_u32 v1, s26, v1
	v_cndmask_b32_e32 v0, v0, v3, vcc
	v_xor_b32_e32 v0, s0, v0
	v_subrev_u32_e32 v2, s0, v0
	v_mul_lo_u32 v0, v1, s6
	v_sub_u32_e32 v0, s26, v0
	v_add_u32_e32 v3, 1, v1
	v_subrev_u32_e32 v4, s6, v0
	v_cmp_le_u32_e32 vcc, s6, v0
	s_ashr_i32 s8, s12, 31
	s_xor_b32 s0, s19, s8
	v_cndmask_b32_e32 v1, v1, v3, vcc
	v_cndmask_b32_e32 v0, v0, v4, vcc
	v_add_u32_e32 v3, 1, v1
	v_cmp_le_u32_e32 vcc, s6, v0
	v_mul_lo_u32 v2, v2, s9
	s_mul_i32 s8, s3, s10
	v_cndmask_b32_e32 v0, v1, v3, vcc
	v_xor_b32_e32 v0, s0, v0
	v_subrev_u32_e32 v0, s0, v0
	s_mul_i32 s0, s27, s16
	v_mul_hi_i32 v1, v0, s13
	v_mul_lo_u32 v0, v0, s13
	v_ashrrev_i32_e32 v3, 31, v2
	s_ashr_i32 s1, s0, 31
	v_lshlrev_b64 v[0:1], 2, v[0:1]
	s_lshl_b64 s[0:1], s[0:1], 2
	v_lshlrev_b64 v[2:3], 2, v[2:3]
	s_waitcnt lgkmcnt(0)
	v_lshl_add_u64 v[4:5], s[20:21], 0, v[0:1]
	s_mul_hi_i32 s7, s14, s4
	s_mul_i32 s6, s14, s4
	v_lshl_add_u64 v[2:3], v[2:3], 0, s[0:1]
	s_ashr_i32 s9, s8, 31
	s_movk_i32 s2, 0x1080
	v_lshl_add_u64 v[16:17], v[2:3], 0, v[4:5]
	s_lshl_b64 s[6:7], s[6:7], 2
	s_lshl_b64 s[0:1], s[8:9], 2
	v_mad_u32_u24 v5, v90, s2, 0
	v_lshlrev_b32_e32 v4, 2, v91
	v_mul_u32_u24_e32 v6, 0x108, v93
	v_and_b32_e32 v7, 0x1f8, v7
	v_lshlrev_b32_e32 v18, 8, v90
	v_mov_b32_e32 v19, 0
	v_lshl_add_u64 v[0:1], v[2:3], 0, v[0:1]
	s_add_u32 s22, s22, s0
	v_add_u32_e32 v95, v5, v4
	v_add3_u32 v96, v5, v6, v7
	v_lshl_add_u64 v[0:1], v[0:1], 0, v[18:19]
	v_mov_b32_e32 v5, v19
	s_addc_u32 s23, s23, s1
	v_lshl_add_u64 v[0:1], v[0:1], 0, v[4:5]
	v_lshlrev_b32_e32 v18, 9, v90
	s_add_u32 s0, s22, s6
	v_lshl_add_u64 v[20:21], s[20:21], 0, v[0:1]
	v_lshl_add_u64 v[0:1], s[6:7], 0, v[18:19]
	v_lshlrev_b32_e32 v18, 3, v91
	s_addc_u32 s1, s23, s7
	s_ashr_i32 s9, s16, 31
	s_mov_b32 s8, s16
	s_ashr_i32 s13, s17, 31
	s_mov_b32 s12, s17
	v_lshl_add_u64 v[0:1], v[0:1], 0, v[18:19]
	s_lshl_b64 s[8:9], s[8:9], 2
	s_lshl_b64 s[12:13], s[12:13], 3
	v_lshl_add_u64 v[22:23], s[22:23], 0, v[0:1]
	s_mul_i32 s10, s16, 63
	s_lshl_b32 s14, s17, 1
	s_mul_i32 s19, s17, 3
	s_lshl_b32 s28, s17, 2
	s_mul_i32 s29, s17, 5
	s_mul_i32 s30, s17, 6
	;; [unrolled: 1-line block ×3, first 2 shown]
	s_lshl_b32 s33, s17, 3
	s_mul_i32 s34, s17, 9
	s_mul_i32 s35, s17, 10
	s_mul_i32 s36, s17, 11
	s_mul_i32 s37, s17, 12
	s_mul_i32 s38, s17, 13
	s_lshl_b32 s39, s16, 1
	s_mul_i32 s40, s16, 3
	s_lshl_b32 s41, s16, 2
	s_mul_i32 s42, s16, 5
	s_mul_i32 s43, s16, 6
	;; [unrolled: 1-line block ×3, first 2 shown]
	s_lshl_b32 s45, s16, 3
	s_mul_i32 s46, s16, 9
	s_mul_i32 s47, s16, 10
	;; [unrolled: 1-line block ×7, first 2 shown]
	s_lshl_b32 s53, s16, 4
	s_mul_i32 s54, s16, 17
	s_mul_i32 s55, s16, 18
	;; [unrolled: 1-line block ×15, first 2 shown]
	s_lshl_b32 s69, s16, 5
	s_mul_i32 s70, s16, 33
	s_mul_i32 s71, s16, 34
	s_mul_i32 s72, s16, 35
	s_mul_i32 s73, s16, 36
	s_mul_i32 s74, s16, 37
	s_mul_i32 s75, s16, 38
	s_mul_i32 s76, s16, 39
	s_mul_i32 s77, s16, 40
	s_mul_i32 s78, s16, 41
	s_mul_i32 s79, s16, 42
	s_mul_i32 s80, s16, 43
	v_mov_b32_e32 v12, 0
	v_mov_b32_e32 v13, v19
	;; [unrolled: 1-line block ×15, first 2 shown]
	s_mul_i32 s81, s16, 44
	s_mul_i32 s82, s16, 45
	;; [unrolled: 1-line block ×19, first 2 shown]
	s_mov_b32 s6, 0x7f800000
	s_movk_i32 s7, 0x7fff
	s_mov_b32 s2, 0x7060302
	s_mov_b64 s[16:17], 0
	s_mov_b64 s[20:21], 0x600
	;; [unrolled: 1-line block ×3, first 2 shown]
	v_writelane_b32 v106, s27, 2
	s_branch .LBB140_5
.LBB140_4:                              ;   in Loop: Header=BB140_5 Depth=1
	s_or_b64 exec, exec, s[26:27]
	v_perm_b32 v18, v97, v18, s2
	v_add_u32_e32 v88, 0xc00, v95
	ds_write2_b32 v88, v18, v19 offset0:90 offset1:156
	ds_write_b32 v95, v19 offset:3960
	ds_read2_b64 v[98:101], v96 offset1:4
	v_add_u32_e32 v94, 0x180, v94
	v_cmp_le_i32_e32 vcc, s5, v94
	v_lshl_add_u64 v[20:21], v[20:21], 0, s[20:21]
	s_waitcnt lgkmcnt(0)
	v_mfma_f32_16x16x16_bf16 v[0:3], v[72:73], v[98:99], v[0:3]
	v_lshl_add_u64 v[22:23], v[22:23], 0, s[22:23]
	s_or_b64 s[16:17], vcc, s[16:17]
	v_mfma_f32_16x16x16_bf16 v[8:11], v[40:41], v[98:99], v[8:11]
	v_mfma_f32_16x16x16_bf16 v[4:7], v[58:59], v[98:99], v[4:7]
	v_mfma_f32_16x16x16_bf16 v[12:15], v[86:87], v[98:99], v[12:15]
	v_mfma_f32_16x16x16_bf16 v[0:3], v[70:71], v[100:101], v[0:3]
	ds_read2_b64 v[70:73], v96 offset0:8 offset1:12
	v_mfma_f32_16x16x16_bf16 v[8:11], v[36:37], v[100:101], v[8:11]
	v_mfma_f32_16x16x16_bf16 v[4:7], v[54:55], v[100:101], v[4:7]
	v_mfma_f32_16x16x16_bf16 v[12:15], v[84:85], v[100:101], v[12:15]
	s_waitcnt lgkmcnt(0)
	v_mfma_f32_16x16x16_bf16 v[8:11], v[34:35], v[70:71], v[8:11]
	v_mfma_f32_16x16x16_bf16 v[4:7], v[50:51], v[70:71], v[4:7]
	v_mfma_f32_16x16x16_bf16 v[0:3], v[68:69], v[70:71], v[0:3]
	v_mfma_f32_16x16x16_bf16 v[12:15], v[82:83], v[70:71], v[12:15]
	v_mfma_f32_16x16x16_bf16 v[8:11], v[32:33], v[72:73], v[8:11]
	ds_read2_b64 v[32:35], v96 offset0:16 offset1:20
	v_mfma_f32_16x16x16_bf16 v[4:7], v[48:49], v[72:73], v[4:7]
	v_mfma_f32_16x16x16_bf16 v[0:3], v[66:67], v[72:73], v[0:3]
	v_mfma_f32_16x16x16_bf16 v[12:15], v[80:81], v[72:73], v[12:15]
	s_waitcnt lgkmcnt(0)
	v_mfma_f32_16x16x16_bf16 v[8:11], v[30:31], v[32:33], v[8:11]
	;; [unrolled: 10-line block ×3, first 2 shown]
	v_mfma_f32_16x16x16_bf16 v[4:7], v[42:43], v[28:29], v[4:7]
	v_mfma_f32_16x16x16_bf16 v[0:3], v[60:61], v[28:29], v[0:3]
	;; [unrolled: 1-line block ×7, first 2 shown]
	s_andn2_b64 exec, exec, s[16:17]
	s_cbranch_execz .LBB140_117
.LBB140_5:                              ; =>This Inner Loop Header: Depth=1
	v_lshl_add_u64 v[24:25], v[20:21], 0, s[8:9]
	global_load_dword v18, v[20:21], off
	global_load_dword v48, v[24:25], off
	v_add_u32_e32 v24, s39, v94
	v_ashrrev_i32_e32 v25, 31, v24
	v_add_u32_e32 v26, s40, v94
	v_add_u32_e32 v28, s41, v94
	;; [unrolled: 1-line block ×6, first 2 shown]
	v_lshl_add_u64 v[24:25], v[24:25], 2, v[16:17]
	v_ashrrev_i32_e32 v27, 31, v26
	v_ashrrev_i32_e32 v29, 31, v28
	;; [unrolled: 1-line block ×6, first 2 shown]
	v_lshl_add_u64 v[26:27], v[26:27], 2, v[16:17]
	v_lshl_add_u64 v[28:29], v[28:29], 2, v[16:17]
	v_lshl_add_u64 v[30:31], v[30:31], 2, v[16:17]
	v_lshl_add_u64 v[32:33], v[32:33], 2, v[16:17]
	v_lshl_add_u64 v[34:35], v[34:35], 2, v[16:17]
	v_lshl_add_u64 v[36:37], v[36:37], 2, v[16:17]
	global_load_dword v49, v[24:25], off
	global_load_dword v50, v[26:27], off
	;; [unrolled: 1-line block ×7, first 2 shown]
	v_add_u32_e32 v24, s46, v94
	v_add_u32_e32 v26, s47, v94
	;; [unrolled: 1-line block ×9, first 2 shown]
	v_ashrrev_i32_e32 v25, 31, v24
	v_ashrrev_i32_e32 v27, 31, v26
	v_ashrrev_i32_e32 v29, 31, v28
	v_ashrrev_i32_e32 v31, 31, v30
	v_ashrrev_i32_e32 v33, 31, v32
	v_ashrrev_i32_e32 v35, 31, v34
	v_ashrrev_i32_e32 v37, 31, v36
	v_ashrrev_i32_e32 v39, 31, v38
	v_ashrrev_i32_e32 v41, 31, v40
	v_lshl_add_u64 v[24:25], v[24:25], 2, v[16:17]
	v_lshl_add_u64 v[26:27], v[26:27], 2, v[16:17]
	;; [unrolled: 1-line block ×9, first 2 shown]
	global_load_dword v56, v[24:25], off
	global_load_dword v57, v[26:27], off
	;; [unrolled: 1-line block ×9, first 2 shown]
	v_add_u32_e32 v42, s55, v94
	v_add_u32_e32 v44, s56, v94
	;; [unrolled: 1-line block ×3, first 2 shown]
	v_ashrrev_i32_e32 v43, 31, v42
	v_ashrrev_i32_e32 v45, 31, v44
	;; [unrolled: 1-line block ×3, first 2 shown]
	v_add_u32_e32 v26, s58, v94
	v_add_u32_e32 v28, s59, v94
	;; [unrolled: 1-line block ×5, first 2 shown]
	v_lshl_add_u64 v[42:43], v[42:43], 2, v[16:17]
	v_lshl_add_u64 v[44:45], v[44:45], 2, v[16:17]
	v_lshl_add_u64 v[24:25], v[46:47], 2, v[16:17]
	v_ashrrev_i32_e32 v27, 31, v26
	v_ashrrev_i32_e32 v29, 31, v28
	;; [unrolled: 1-line block ×5, first 2 shown]
	v_lshl_add_u64 v[26:27], v[26:27], 2, v[16:17]
	v_lshl_add_u64 v[28:29], v[28:29], 2, v[16:17]
	;; [unrolled: 1-line block ×5, first 2 shown]
	v_add_u32_e32 v36, s69, v94
	v_add_u32_e32 v38, s70, v94
	v_ashrrev_i32_e32 v37, 31, v36
	v_ashrrev_i32_e32 v39, 31, v38
	v_lshl_add_u64 v[36:37], v[36:37], 2, v[16:17]
	v_lshl_add_u64 v[38:39], v[38:39], 2, v[16:17]
	s_waitcnt vmcnt(17)
	ds_write_b32 v95, v18
	s_waitcnt vmcnt(16)
	ds_write_b32 v95, v48 offset:264
	s_waitcnt vmcnt(15)
	ds_write_b32 v95, v49 offset:528
	;; [unrolled: 2-line block ×8, first 2 shown]
	global_load_dword v18, v[42:43], off
	s_nop 0
	global_load_dword v42, v[44:45], off
	global_load_dword v43, v[24:25], off
	s_nop 0
	global_load_dword v44, v[26:27], off
	global_load_dword v45, v[28:29], off
	;; [unrolled: 1-line block ×5, first 2 shown]
	v_add_u32_e32 v24, s63, v94
	v_ashrrev_i32_e32 v25, 31, v24
	v_add_u32_e32 v26, s64, v94
	v_add_u32_e32 v28, s65, v94
	;; [unrolled: 1-line block ×5, first 2 shown]
	v_lshl_add_u64 v[24:25], v[24:25], 2, v[16:17]
	v_ashrrev_i32_e32 v27, 31, v26
	v_ashrrev_i32_e32 v29, 31, v28
	;; [unrolled: 1-line block ×5, first 2 shown]
	v_lshl_add_u64 v[26:27], v[26:27], 2, v[16:17]
	v_lshl_add_u64 v[28:29], v[28:29], 2, v[16:17]
	v_lshl_add_u64 v[30:31], v[30:31], 2, v[16:17]
	v_lshl_add_u64 v[32:33], v[32:33], 2, v[16:17]
	v_lshl_add_u64 v[34:35], v[34:35], 2, v[16:17]
	global_load_dword v49, v[24:25], off
	global_load_dword v50, v[26:27], off
	global_load_dword v51, v[28:29], off
	global_load_dword v52, v[30:31], off
	global_load_dword v53, v[32:33], off
	global_load_dword v54, v[34:35], off
	global_load_dword v65, v[36:37], off
	global_load_dword v66, v[38:39], off
	v_add_u32_e32 v24, s71, v94
	v_ashrrev_i32_e32 v25, 31, v24
	v_add_u32_e32 v26, s72, v94
	v_add_u32_e32 v28, s73, v94
	v_add_u32_e32 v30, s74, v94
	v_add_u32_e32 v32, s75, v94
	v_add_u32_e32 v34, s76, v94
	v_add_u32_e32 v36, s77, v94
	v_add_u32_e32 v38, s78, v94
	v_lshl_add_u64 v[24:25], v[24:25], 2, v[16:17]
	v_ashrrev_i32_e32 v27, 31, v26
	v_ashrrev_i32_e32 v29, 31, v28
	v_ashrrev_i32_e32 v31, 31, v30
	v_ashrrev_i32_e32 v33, 31, v32
	v_ashrrev_i32_e32 v35, 31, v34
	v_ashrrev_i32_e32 v37, 31, v36
	v_ashrrev_i32_e32 v39, 31, v38
	v_lshl_add_u64 v[26:27], v[26:27], 2, v[16:17]
	v_lshl_add_u64 v[28:29], v[28:29], 2, v[16:17]
	v_lshl_add_u64 v[30:31], v[30:31], 2, v[16:17]
	v_lshl_add_u64 v[32:33], v[32:33], 2, v[16:17]
	v_lshl_add_u64 v[34:35], v[34:35], 2, v[16:17]
	v_lshl_add_u64 v[36:37], v[36:37], 2, v[16:17]
	v_lshl_add_u64 v[38:39], v[38:39], 2, v[16:17]
	global_load_dword v67, v[24:25], off
	global_load_dword v68, v[26:27], off
	global_load_dword v69, v[28:29], off
	global_load_dword v70, v[30:31], off
	global_load_dword v71, v[32:33], off
	global_load_dword v72, v[34:35], off
	global_load_dword v73, v[36:37], off
	global_load_dword v74, v[38:39], off
	v_add_u32_e32 v24, s79, v94
	v_ashrrev_i32_e32 v25, 31, v24
	v_add_u32_e32 v26, s80, v94
	v_add_u32_e32 v28, s81, v94
	v_add_u32_e32 v30, s82, v94
	v_add_u32_e32 v32, s83, v94
	v_add_u32_e32 v34, s84, v94
	v_add_u32_e32 v36, s85, v94
	v_add_u32_e32 v38, s86, v94
	v_lshl_add_u64 v[24:25], v[24:25], 2, v[16:17]
	v_ashrrev_i32_e32 v27, 31, v26
	v_ashrrev_i32_e32 v29, 31, v28
	v_ashrrev_i32_e32 v31, 31, v30
	v_ashrrev_i32_e32 v33, 31, v32
	v_ashrrev_i32_e32 v35, 31, v34
	v_ashrrev_i32_e32 v37, 31, v36
	v_ashrrev_i32_e32 v39, 31, v38
	v_lshl_add_u64 v[26:27], v[26:27], 2, v[16:17]
	v_lshl_add_u64 v[28:29], v[28:29], 2, v[16:17]
	;; [unrolled: 32-line block ×3, first 2 shown]
	v_lshl_add_u64 v[30:31], v[30:31], 2, v[16:17]
	v_lshl_add_u64 v[32:33], v[32:33], 2, v[16:17]
	;; [unrolled: 1-line block ×5, first 2 shown]
	global_load_dword v83, v[24:25], off
	global_load_dword v84, v[26:27], off
	;; [unrolled: 1-line block ×8, first 2 shown]
	v_add_u32_e32 v24, s95, v94
	v_ashrrev_i32_e32 v25, 31, v24
	v_add_u32_e32 v26, s96, v94
	v_add_u32_e32 v28, s97, v94
	;; [unrolled: 1-line block ×5, first 2 shown]
	v_lshl_add_u64 v[24:25], v[24:25], 2, v[16:17]
	v_ashrrev_i32_e32 v27, 31, v26
	v_ashrrev_i32_e32 v29, 31, v28
	;; [unrolled: 1-line block ×5, first 2 shown]
	v_lshl_add_u64 v[26:27], v[26:27], 2, v[16:17]
	v_lshl_add_u64 v[28:29], v[28:29], 2, v[16:17]
	;; [unrolled: 1-line block ×5, first 2 shown]
	global_load_dword v100, v[24:25], off
	global_load_dword v101, v[26:27], off
	;; [unrolled: 1-line block ×6, first 2 shown]
	s_waitcnt vmcnt(54)
	ds_write_b32 v95, v56 offset:2376
	s_waitcnt vmcnt(53)
	ds_write_b32 v95, v57 offset:2640
	;; [unrolled: 2-line block ×7, first 2 shown]
	global_load_dwordx2 v[88:89], v[22:23], off
	ds_read_b64 v[40:41], v96
	ds_read_b64 v[36:37], v96 offset:32
	ds_read_b64 v[34:35], v96 offset:64
	ds_read_b64 v[32:33], v96 offset:96
	ds_read_b64 v[30:31], v96 offset:128
	ds_read_b64 v[28:29], v96 offset:160
	ds_read_b64 v[26:27], v96 offset:192
	ds_read_b64 v[24:25], v96 offset:224
	s_waitcnt vmcnt(48)
	ds_write_b32 v95, v63
	s_waitcnt vmcnt(47)
	ds_write_b32 v95, v64 offset:264
	s_waitcnt vmcnt(46)
	ds_write_b32 v95, v18 offset:528
	s_waitcnt vmcnt(45)
	ds_write_b32 v95, v42 offset:792
	s_waitcnt vmcnt(44)
	ds_write_b32 v95, v43 offset:1056
	s_waitcnt vmcnt(43)
	ds_write_b32 v95, v44 offset:1320
	s_waitcnt vmcnt(42)
	ds_write_b32 v95, v45 offset:1584
	s_waitcnt vmcnt(41)
	ds_write_b32 v95, v46 offset:1848
	s_waitcnt vmcnt(40)
	ds_write_b32 v95, v47 offset:2112
	s_waitcnt vmcnt(39)
	ds_write_b32 v95, v48 offset:2376
	s_waitcnt vmcnt(38)
	ds_write_b32 v95, v49 offset:2640
	s_waitcnt vmcnt(37)
	ds_write_b32 v95, v50 offset:2904
	s_waitcnt vmcnt(36)
	ds_write_b32 v95, v51 offset:3168
	s_waitcnt vmcnt(35)
	ds_write_b32 v95, v52 offset:3432
	s_waitcnt vmcnt(34)
	ds_write_b32 v95, v53 offset:3696
	s_waitcnt vmcnt(33)
	ds_write_b32 v95, v54 offset:3960
	ds_read_b64 v[58:59], v96
	ds_read_b64 v[54:55], v96 offset:32
	ds_read_b64 v[50:51], v96 offset:64
	ds_read_b64 v[48:49], v96 offset:96
	ds_read_b64 v[46:47], v96 offset:128
	ds_read_b64 v[44:45], v96 offset:160
	ds_read_b64 v[42:43], v96 offset:192
	ds_read_b64 v[38:39], v96 offset:224
	s_waitcnt vmcnt(32)
	ds_write_b32 v95, v65
	s_waitcnt vmcnt(31)
	ds_write_b32 v95, v66 offset:264
	s_waitcnt vmcnt(30)
	ds_write_b32 v95, v67 offset:528
	s_waitcnt vmcnt(29)
	ds_write_b32 v95, v68 offset:792
	s_waitcnt vmcnt(28)
	ds_write_b32 v95, v69 offset:1056
	s_waitcnt vmcnt(27)
	ds_write_b32 v95, v70 offset:1320
	s_waitcnt vmcnt(26)
	ds_write_b32 v95, v71 offset:1584
	s_waitcnt vmcnt(25)
	ds_write_b32 v95, v72 offset:1848
	s_waitcnt vmcnt(24)
	ds_write_b32 v95, v73 offset:2112
	s_waitcnt vmcnt(23)
	ds_write_b32 v95, v74 offset:2376
	s_waitcnt vmcnt(22)
	ds_write_b32 v95, v75 offset:2640
	s_waitcnt vmcnt(21)
	ds_write_b32 v95, v76 offset:2904
	s_waitcnt vmcnt(20)
	ds_write_b32 v95, v77 offset:3168
	s_waitcnt vmcnt(19)
	ds_write_b32 v95, v78 offset:3432
	s_waitcnt vmcnt(18)
	ds_write_b32 v95, v79 offset:3696
	s_waitcnt vmcnt(17)
	ds_write_b32 v95, v80 offset:3960
	;; [unrolled: 40-line block ×3, first 2 shown]
	ds_read_b64 v[86:87], v96
	ds_read_b64 v[84:85], v96 offset:32
	ds_read_b64 v[82:83], v96 offset:64
	;; [unrolled: 1-line block ×7, first 2 shown]
	s_waitcnt vmcnt(0)
	v_and_b32_e32 v18, 0x7f800000, v88
	v_cmp_ne_u32_e32 vcc, s6, v18
                                        ; implicit-def: $vgpr18
	s_and_saveexec_b64 s[26:27], vcc
	s_xor_b64 s[26:27], exec, s[26:27]
; %bb.6:                                ;   in Loop: Header=BB140_5 Depth=1
	v_bfe_u32 v18, v88, 16, 1
	v_add3_u32 v18, v88, v18, s7
; %bb.7:                                ;   in Loop: Header=BB140_5 Depth=1
	s_andn2_saveexec_b64 s[26:27], s[26:27]
; %bb.8:                                ;   in Loop: Header=BB140_5 Depth=1
	v_or_b32_e32 v18, 0x10000, v88
	v_cmp_eq_u32_sdwa vcc, v88, v19 src0_sel:WORD_0 src1_sel:DWORD
	s_nop 1
	v_cndmask_b32_e32 v18, v18, v88, vcc
; %bb.9:                                ;   in Loop: Header=BB140_5 Depth=1
	s_or_b64 exec, exec, s[26:27]
	v_and_b32_e32 v88, 0x7f800000, v89
	v_cmp_ne_u32_e32 vcc, s6, v88
                                        ; implicit-def: $vgpr97
	s_and_saveexec_b64 s[26:27], vcc
	s_xor_b64 s[26:27], exec, s[26:27]
; %bb.10:                               ;   in Loop: Header=BB140_5 Depth=1
	v_bfe_u32 v88, v89, 16, 1
	v_add3_u32 v97, v89, v88, s7
                                        ; implicit-def: $vgpr88_vgpr89
; %bb.11:                               ;   in Loop: Header=BB140_5 Depth=1
	s_andn2_saveexec_b64 s[26:27], s[26:27]
; %bb.12:                               ;   in Loop: Header=BB140_5 Depth=1
	v_or_b32_e32 v88, 0x10000, v89
	v_cmp_eq_u32_sdwa vcc, v89, v19 src0_sel:WORD_0 src1_sel:DWORD
	s_nop 1
	v_cndmask_b32_e32 v97, v88, v89, vcc
; %bb.13:                               ;   in Loop: Header=BB140_5 Depth=1
	s_or_b64 exec, exec, s[26:27]
	v_lshl_add_u64 v[88:89], v[22:23], 0, s[12:13]
	global_load_dwordx2 v[88:89], v[88:89], off
	v_perm_b32 v18, v97, v18, s2
	ds_write_b32 v95, v18
	s_waitcnt vmcnt(0)
	v_and_b32_e32 v18, 0x7f800000, v88
	v_cmp_ne_u32_e32 vcc, s6, v18
                                        ; implicit-def: $vgpr18
	s_and_saveexec_b64 s[26:27], vcc
	s_xor_b64 s[26:27], exec, s[26:27]
; %bb.14:                               ;   in Loop: Header=BB140_5 Depth=1
	v_bfe_u32 v18, v88, 16, 1
	v_add3_u32 v18, v88, v18, s7
; %bb.15:                               ;   in Loop: Header=BB140_5 Depth=1
	s_andn2_saveexec_b64 s[26:27], s[26:27]
; %bb.16:                               ;   in Loop: Header=BB140_5 Depth=1
	v_or_b32_e32 v18, 0x10000, v88
	v_cmp_eq_u32_sdwa vcc, v88, v19 src0_sel:WORD_0 src1_sel:DWORD
	s_nop 1
	v_cndmask_b32_e32 v18, v18, v88, vcc
; %bb.17:                               ;   in Loop: Header=BB140_5 Depth=1
	s_or_b64 exec, exec, s[26:27]
	v_and_b32_e32 v88, 0x7f800000, v89
	v_cmp_ne_u32_e32 vcc, s6, v88
                                        ; implicit-def: $vgpr97
	s_and_saveexec_b64 s[26:27], vcc
	s_xor_b64 s[26:27], exec, s[26:27]
; %bb.18:                               ;   in Loop: Header=BB140_5 Depth=1
	v_bfe_u32 v88, v89, 16, 1
	v_add3_u32 v97, v89, v88, s7
                                        ; implicit-def: $vgpr88_vgpr89
; %bb.19:                               ;   in Loop: Header=BB140_5 Depth=1
	s_andn2_saveexec_b64 s[26:27], s[26:27]
; %bb.20:                               ;   in Loop: Header=BB140_5 Depth=1
	v_or_b32_e32 v88, 0x10000, v89
	v_cmp_eq_u32_sdwa vcc, v89, v19 src0_sel:WORD_0 src1_sel:DWORD
	s_nop 1
	v_cndmask_b32_e32 v97, v88, v89, vcc
; %bb.21:                               ;   in Loop: Header=BB140_5 Depth=1
	s_or_b64 exec, exec, s[26:27]
	v_add_u32_e32 v88, s14, v94
	v_ashrrev_i32_e32 v89, 31, v88
	v_lshl_add_u64 v[88:89], v[88:89], 3, s[0:1]
	global_load_dwordx2 v[88:89], v[88:89], off
	v_perm_b32 v18, v97, v18, s2
	ds_write_b32 v95, v18 offset:264
	s_waitcnt vmcnt(0)
	v_and_b32_e32 v18, 0x7f800000, v88
	v_cmp_ne_u32_e32 vcc, s6, v18
                                        ; implicit-def: $vgpr18
	s_and_saveexec_b64 s[26:27], vcc
	s_xor_b64 s[26:27], exec, s[26:27]
; %bb.22:                               ;   in Loop: Header=BB140_5 Depth=1
	v_bfe_u32 v18, v88, 16, 1
	v_add3_u32 v18, v88, v18, s7
; %bb.23:                               ;   in Loop: Header=BB140_5 Depth=1
	s_andn2_saveexec_b64 s[26:27], s[26:27]
; %bb.24:                               ;   in Loop: Header=BB140_5 Depth=1
	v_or_b32_e32 v18, 0x10000, v88
	v_cmp_eq_u32_sdwa vcc, v88, v19 src0_sel:WORD_0 src1_sel:DWORD
	s_nop 1
	v_cndmask_b32_e32 v18, v18, v88, vcc
; %bb.25:                               ;   in Loop: Header=BB140_5 Depth=1
	s_or_b64 exec, exec, s[26:27]
	v_and_b32_e32 v88, 0x7f800000, v89
	v_cmp_ne_u32_e32 vcc, s6, v88
                                        ; implicit-def: $vgpr97
	s_and_saveexec_b64 s[26:27], vcc
	s_xor_b64 s[26:27], exec, s[26:27]
; %bb.26:                               ;   in Loop: Header=BB140_5 Depth=1
	v_bfe_u32 v88, v89, 16, 1
	v_add3_u32 v97, v89, v88, s7
                                        ; implicit-def: $vgpr88_vgpr89
; %bb.27:                               ;   in Loop: Header=BB140_5 Depth=1
	s_andn2_saveexec_b64 s[26:27], s[26:27]
; %bb.28:                               ;   in Loop: Header=BB140_5 Depth=1
	v_or_b32_e32 v88, 0x10000, v89
	v_cmp_eq_u32_sdwa vcc, v89, v19 src0_sel:WORD_0 src1_sel:DWORD
	s_nop 1
	v_cndmask_b32_e32 v97, v88, v89, vcc
; %bb.29:                               ;   in Loop: Header=BB140_5 Depth=1
	s_or_b64 exec, exec, s[26:27]
	v_add_u32_e32 v88, s19, v94
	v_ashrrev_i32_e32 v89, 31, v88
	v_lshl_add_u64 v[88:89], v[88:89], 3, s[0:1]
	global_load_dwordx2 v[88:89], v[88:89], off
	v_perm_b32 v18, v97, v18, s2
	ds_write_b32 v95, v18 offset:528
	;; [unrolled: 42-line block ×10, first 2 shown]
	s_waitcnt vmcnt(0)
	v_and_b32_e32 v18, 0x7f800000, v88
	v_cmp_ne_u32_e32 vcc, s6, v18
                                        ; implicit-def: $vgpr18
	s_and_saveexec_b64 s[26:27], vcc
	s_xor_b64 s[26:27], exec, s[26:27]
; %bb.94:                               ;   in Loop: Header=BB140_5 Depth=1
	v_bfe_u32 v18, v88, 16, 1
	v_add3_u32 v18, v88, v18, s7
; %bb.95:                               ;   in Loop: Header=BB140_5 Depth=1
	s_andn2_saveexec_b64 s[26:27], s[26:27]
; %bb.96:                               ;   in Loop: Header=BB140_5 Depth=1
	v_or_b32_e32 v18, 0x10000, v88
	v_cmp_eq_u32_sdwa vcc, v88, v19 src0_sel:WORD_0 src1_sel:DWORD
	s_nop 1
	v_cndmask_b32_e32 v18, v18, v88, vcc
; %bb.97:                               ;   in Loop: Header=BB140_5 Depth=1
	s_or_b64 exec, exec, s[26:27]
	v_and_b32_e32 v88, 0x7f800000, v89
	v_cmp_ne_u32_e32 vcc, s6, v88
                                        ; implicit-def: $vgpr97
	s_and_saveexec_b64 s[26:27], vcc
	s_xor_b64 s[26:27], exec, s[26:27]
; %bb.98:                               ;   in Loop: Header=BB140_5 Depth=1
	v_bfe_u32 v88, v89, 16, 1
	v_add3_u32 v97, v89, v88, s7
                                        ; implicit-def: $vgpr88_vgpr89
; %bb.99:                               ;   in Loop: Header=BB140_5 Depth=1
	s_andn2_saveexec_b64 s[26:27], s[26:27]
; %bb.100:                              ;   in Loop: Header=BB140_5 Depth=1
	v_or_b32_e32 v88, 0x10000, v89
	v_cmp_eq_u32_sdwa vcc, v89, v19 src0_sel:WORD_0 src1_sel:DWORD
	s_nop 1
	v_cndmask_b32_e32 v97, v88, v89, vcc
; %bb.101:                              ;   in Loop: Header=BB140_5 Depth=1
	s_or_b64 exec, exec, s[26:27]
	v_add_u32_e32 v88, s37, v94
	v_ashrrev_i32_e32 v89, 31, v88
	v_lshl_add_u64 v[88:89], v[88:89], 3, s[0:1]
	global_load_dwordx2 v[88:89], v[88:89], off
	v_perm_b32 v18, v97, v18, s2
	ds_write_b32 v95, v18 offset:2904
	s_waitcnt vmcnt(0)
	v_and_b32_e32 v18, 0x7f800000, v88
	v_cmp_ne_u32_e32 vcc, s6, v18
                                        ; implicit-def: $vgpr18
	s_and_saveexec_b64 s[26:27], vcc
	s_xor_b64 s[26:27], exec, s[26:27]
; %bb.102:                              ;   in Loop: Header=BB140_5 Depth=1
	v_bfe_u32 v18, v88, 16, 1
	v_add3_u32 v18, v88, v18, s7
; %bb.103:                              ;   in Loop: Header=BB140_5 Depth=1
	s_andn2_saveexec_b64 s[26:27], s[26:27]
; %bb.104:                              ;   in Loop: Header=BB140_5 Depth=1
	v_or_b32_e32 v18, 0x10000, v88
	v_cmp_eq_u32_sdwa vcc, v88, v19 src0_sel:WORD_0 src1_sel:DWORD
	s_nop 1
	v_cndmask_b32_e32 v18, v18, v88, vcc
; %bb.105:                              ;   in Loop: Header=BB140_5 Depth=1
	s_or_b64 exec, exec, s[26:27]
	v_and_b32_e32 v88, 0x7f800000, v89
	v_cmp_ne_u32_e32 vcc, s6, v88
                                        ; implicit-def: $vgpr97
	s_and_saveexec_b64 s[26:27], vcc
	s_xor_b64 s[26:27], exec, s[26:27]
; %bb.106:                              ;   in Loop: Header=BB140_5 Depth=1
	v_bfe_u32 v88, v89, 16, 1
	v_add3_u32 v97, v89, v88, s7
                                        ; implicit-def: $vgpr88_vgpr89
; %bb.107:                              ;   in Loop: Header=BB140_5 Depth=1
	s_andn2_saveexec_b64 s[26:27], s[26:27]
; %bb.108:                              ;   in Loop: Header=BB140_5 Depth=1
	v_or_b32_e32 v88, 0x10000, v89
	v_cmp_eq_u32_sdwa vcc, v89, v19 src0_sel:WORD_0 src1_sel:DWORD
	s_nop 1
	v_cndmask_b32_e32 v97, v88, v89, vcc
; %bb.109:                              ;   in Loop: Header=BB140_5 Depth=1
	s_or_b64 exec, exec, s[26:27]
	v_add_u32_e32 v88, s38, v94
	v_ashrrev_i32_e32 v89, 31, v88
	v_lshl_add_u64 v[88:89], v[88:89], 3, s[0:1]
	global_load_dwordx2 v[88:89], v[88:89], off
	v_perm_b32 v18, v97, v18, s2
	ds_write_b32 v95, v18 offset:3168
	s_waitcnt vmcnt(0)
	v_and_b32_e32 v18, 0x7f800000, v88
	v_cmp_ne_u32_e32 vcc, s6, v18
                                        ; implicit-def: $vgpr18
	s_and_saveexec_b64 s[26:27], vcc
	s_xor_b64 s[26:27], exec, s[26:27]
; %bb.110:                              ;   in Loop: Header=BB140_5 Depth=1
	v_bfe_u32 v18, v88, 16, 1
	v_add3_u32 v18, v88, v18, s7
; %bb.111:                              ;   in Loop: Header=BB140_5 Depth=1
	s_andn2_saveexec_b64 s[26:27], s[26:27]
; %bb.112:                              ;   in Loop: Header=BB140_5 Depth=1
	v_or_b32_e32 v18, 0x10000, v88
	v_cmp_eq_u32_sdwa vcc, v88, v19 src0_sel:WORD_0 src1_sel:DWORD
	s_nop 1
	v_cndmask_b32_e32 v18, v18, v88, vcc
; %bb.113:                              ;   in Loop: Header=BB140_5 Depth=1
	s_or_b64 exec, exec, s[26:27]
	v_and_b32_e32 v88, 0x7f800000, v89
	v_cmp_ne_u32_e32 vcc, s6, v88
                                        ; implicit-def: $vgpr97
	s_and_saveexec_b64 s[26:27], vcc
	s_xor_b64 s[26:27], exec, s[26:27]
; %bb.114:                              ;   in Loop: Header=BB140_5 Depth=1
	v_bfe_u32 v88, v89, 16, 1
	v_add3_u32 v97, v89, v88, s7
                                        ; implicit-def: $vgpr88_vgpr89
; %bb.115:                              ;   in Loop: Header=BB140_5 Depth=1
	s_andn2_saveexec_b64 s[26:27], s[26:27]
	s_cbranch_execz .LBB140_4
; %bb.116:                              ;   in Loop: Header=BB140_5 Depth=1
	v_or_b32_e32 v88, 0x10000, v89
	v_cmp_eq_u32_sdwa vcc, v89, v19 src0_sel:WORD_0 src1_sel:DWORD
	s_nop 1
	v_cndmask_b32_e32 v97, v88, v89, vcc
	s_branch .LBB140_4
.LBB140_117:
	s_or_b64 exec, exec, s[16:17]
	v_readlane_b32 s6, v106, 0
	v_readlane_b32 s27, v106, 2
	;; [unrolled: 1-line block ×3, first 2 shown]
.LBB140_118:
	s_or_b64 exec, exec, s[24:25]
	v_mul_u32_u24_e32 v16, 0x608, v93
	v_lshlrev_b32_e32 v17, 2, v92
	v_add3_u32 v16, 0, v16, v17
	v_and_b32_e32 v17, 0x3f0, v91
	s_waitcnt lgkmcnt(0)
	s_mul_hi_i32 s1, s15, s4
	s_mul_i32 s0, s15, s4
	v_add_u32_e32 v17, v16, v17
	s_lshl_b64 s[0:1], s[0:1], 2
	s_barrier
	ds_write2_b32 v17, v8, v9 offset1:1
	ds_write_b32 v17, v10 offset:8
	v_or_b32_e32 v8, 12, v91
	s_mul_i32 s2, s3, s11
	s_add_u32 s4, s6, s0
	v_and_b32_e32 v8, 0x3fc, v8
	s_addc_u32 s5, s7, s1
	s_ashr_i32 s3, s2, 31
	v_add_u32_e32 v8, v16, v8
	s_lshl_b64 s[0:1], s[2:3], 2
	s_movk_i32 s2, 0x608
	ds_write_b32 v8, v11
	ds_write2_b32 v17, v4, v5 offset0:16 offset1:17
	ds_write_b32 v17, v6 offset:72
	ds_write_b32 v8, v7 offset:64
	ds_write2_b32 v17, v0, v1 offset0:32 offset1:33
	ds_write_b32 v17, v2 offset:136
	ds_write_b32 v8, v3 offset:128
	;; [unrolled: 3-line block ×3, first 2 shown]
	v_lshl_add_u32 v1, v91, 2, 0
	v_mad_u32_u24 v8, v90, s2, v1
	s_waitcnt lgkmcnt(0)
	s_barrier
	ds_read2st64_b32 v[2:3], v8 offset1:1
	ds_read2st64_b32 v[4:5], v8 offset0:2 offset1:3
	ds_read2st64_b32 v[6:7], v8 offset0:4 offset1:5
	v_add_u32_e32 v11, 48, v8
	s_add_u32 s0, s4, s0
	s_waitcnt lgkmcnt(2)
	v_add_f32_e32 v2, 0, v2
	v_add_f32_e32 v2, v2, v3
	s_waitcnt lgkmcnt(1)
	v_add_f32_e32 v2, v2, v4
	v_add_f32_e32 v2, v2, v5
	v_add_u32_e32 v0, s27, v91
	s_waitcnt lgkmcnt(0)
	v_add_f32_e32 v2, v2, v6
	ds_read2st64_b32 v[4:5], v11 offset0:36 offset1:37
	ds_read2st64_b32 v[8:9], v11 offset0:38 offset1:39
	s_addc_u32 s1, s5, s1
	v_add_f32_e32 v10, v2, v7
	v_mad_u64_u32 v[2:3], s[4:5], v90, s18, v[0:1]
	v_mov_b32_e32 v3, 0
	v_lshl_add_u64 v[6:7], v[2:3], 2, s[0:1]
	global_store_dword v[6:7], v10, off
	ds_read2st64_b32 v[6:7], v11 offset0:40 offset1:41
	s_waitcnt lgkmcnt(2)
	v_add_f32_e32 v4, 0, v4
	v_add_f32_e32 v4, v4, v5
	s_waitcnt lgkmcnt(1)
	v_add_f32_e32 v4, v4, v8
	v_add_f32_e32 v4, v4, v9
	;; [unrolled: 3-line block ×3, first 2 shown]
	v_mad_u64_u32 v[4:5], s[4:5], s18, 6, v[2:3]
	v_mov_b32_e32 v5, v3
	v_lshl_add_u64 v[4:5], v[4:5], 2, s[0:1]
	v_cmp_gt_u32_e32 vcc, 2, v90
	global_store_dword v[4:5], v6, off
	s_and_saveexec_b64 s[4:5], vcc
	s_cbranch_execz .LBB140_120
; %bb.119:
	v_or_b32_e32 v2, 12, v90
	v_mad_u32_u24 v8, v2, s2, v1
	ds_read2st64_b32 v[4:5], v8 offset1:1
	ds_read2st64_b32 v[6:7], v8 offset0:2 offset1:3
	v_mad_u64_u32 v[0:1], s[2:3], v2, s18, v[0:1]
	ds_read2st64_b32 v[8:9], v8 offset0:4 offset1:5
	s_waitcnt lgkmcnt(2)
	v_add_f32_e32 v1, 0, v4
	v_add_f32_e32 v1, v1, v5
	s_waitcnt lgkmcnt(1)
	v_add_f32_e32 v1, v1, v6
	v_add_f32_e32 v1, v1, v7
	;; [unrolled: 3-line block ×3, first 2 shown]
	v_mov_b32_e32 v1, v3
	v_lshl_add_u64 v[0:1], v[0:1], 2, s[0:1]
	global_store_dword v[0:1], v2, off
.LBB140_120:
	s_endpgm
	.section	.rodata,"a",@progbits
	.p2align	6, 0x0
	.amdhsa_kernel _ZL9mul_mat_fI15__hip_bfloat162Li64ELi14ELi6ELb0EEvPKT_PKfPKiPfiiiiiiiiiiiiiiii
		.amdhsa_group_segment_fixed_size 0
		.amdhsa_private_segment_fixed_size 0
		.amdhsa_kernarg_size 96
		.amdhsa_user_sgpr_count 2
		.amdhsa_user_sgpr_dispatch_ptr 0
		.amdhsa_user_sgpr_queue_ptr 0
		.amdhsa_user_sgpr_kernarg_segment_ptr 1
		.amdhsa_user_sgpr_dispatch_id 0
		.amdhsa_user_sgpr_kernarg_preload_length 0
		.amdhsa_user_sgpr_kernarg_preload_offset 0
		.amdhsa_user_sgpr_private_segment_size 0
		.amdhsa_uses_dynamic_stack 0
		.amdhsa_enable_private_segment 0
		.amdhsa_system_sgpr_workgroup_id_x 1
		.amdhsa_system_sgpr_workgroup_id_y 1
		.amdhsa_system_sgpr_workgroup_id_z 1
		.amdhsa_system_sgpr_workgroup_info 0
		.amdhsa_system_vgpr_workitem_id 1
		.amdhsa_next_free_vgpr 107
		.amdhsa_next_free_sgpr 100
		.amdhsa_accum_offset 108
		.amdhsa_reserve_vcc 1
		.amdhsa_float_round_mode_32 0
		.amdhsa_float_round_mode_16_64 0
		.amdhsa_float_denorm_mode_32 3
		.amdhsa_float_denorm_mode_16_64 3
		.amdhsa_dx10_clamp 1
		.amdhsa_ieee_mode 1
		.amdhsa_fp16_overflow 0
		.amdhsa_tg_split 0
		.amdhsa_exception_fp_ieee_invalid_op 0
		.amdhsa_exception_fp_denorm_src 0
		.amdhsa_exception_fp_ieee_div_zero 0
		.amdhsa_exception_fp_ieee_overflow 0
		.amdhsa_exception_fp_ieee_underflow 0
		.amdhsa_exception_fp_ieee_inexact 0
		.amdhsa_exception_int_div_zero 0
	.end_amdhsa_kernel
	.section	.text._ZL9mul_mat_fI15__hip_bfloat162Li64ELi14ELi6ELb0EEvPKT_PKfPKiPfiiiiiiiiiiiiiiii,"axG",@progbits,_ZL9mul_mat_fI15__hip_bfloat162Li64ELi14ELi6ELb0EEvPKT_PKfPKiPfiiiiiiiiiiiiiiii,comdat
.Lfunc_end140:
	.size	_ZL9mul_mat_fI15__hip_bfloat162Li64ELi14ELi6ELb0EEvPKT_PKfPKiPfiiiiiiiiiiiiiiii, .Lfunc_end140-_ZL9mul_mat_fI15__hip_bfloat162Li64ELi14ELi6ELb0EEvPKT_PKfPKiPfiiiiiiiiiiiiiiii
                                        ; -- End function
	.section	.AMDGPU.csdata,"",@progbits
; Kernel info:
; codeLenInByte = 7080
; NumSgprs: 106
; NumVgprs: 107
; NumAgprs: 0
; TotalNumVgprs: 107
; ScratchSize: 0
; MemoryBound: 0
; FloatMode: 240
; IeeeMode: 1
; LDSByteSize: 0 bytes/workgroup (compile time only)
; SGPRBlocks: 13
; VGPRBlocks: 13
; NumSGPRsForWavesPerEU: 106
; NumVGPRsForWavesPerEU: 107
; AccumOffset: 108
; Occupancy: 4
; WaveLimiterHint : 0
; COMPUTE_PGM_RSRC2:SCRATCH_EN: 0
; COMPUTE_PGM_RSRC2:USER_SGPR: 2
; COMPUTE_PGM_RSRC2:TRAP_HANDLER: 0
; COMPUTE_PGM_RSRC2:TGID_X_EN: 1
; COMPUTE_PGM_RSRC2:TGID_Y_EN: 1
; COMPUTE_PGM_RSRC2:TGID_Z_EN: 1
; COMPUTE_PGM_RSRC2:TIDIG_COMP_CNT: 1
; COMPUTE_PGM_RSRC3_GFX90A:ACCUM_OFFSET: 26
; COMPUTE_PGM_RSRC3_GFX90A:TG_SPLIT: 0
	.section	.text._ZL13mul_mat_f_idsI15__hip_bfloat162Li64ELi14ELi7EEvPKT_PKfPKiS7_S7_Pfiiiiiiiiiiiiii15HIP_vector_typeIjLj3EESA_,"axG",@progbits,_ZL13mul_mat_f_idsI15__hip_bfloat162Li64ELi14ELi7EEvPKT_PKfPKiS7_S7_Pfiiiiiiiiiiiiii15HIP_vector_typeIjLj3EESA_,comdat
	.globl	_ZL13mul_mat_f_idsI15__hip_bfloat162Li64ELi14ELi7EEvPKT_PKfPKiS7_S7_Pfiiiiiiiiiiiiii15HIP_vector_typeIjLj3EESA_ ; -- Begin function _ZL13mul_mat_f_idsI15__hip_bfloat162Li64ELi14ELi7EEvPKT_PKfPKiS7_S7_Pfiiiiiiiiiiiiii15HIP_vector_typeIjLj3EESA_
	.p2align	8
	.type	_ZL13mul_mat_f_idsI15__hip_bfloat162Li64ELi14ELi7EEvPKT_PKfPKiS7_S7_Pfiiiiiiiiiiiiii15HIP_vector_typeIjLj3EESA_,@function
_ZL13mul_mat_f_idsI15__hip_bfloat162Li64ELi14ELi7EEvPKT_PKfPKiS7_S7_Pfiiiiiiiiiiiiii15HIP_vector_typeIjLj3EESA_: ; @_ZL13mul_mat_f_idsI15__hip_bfloat162Li64ELi14ELi7EEvPKT_PKfPKiS7_S7_Pfiiiiiiiiiiiiii15HIP_vector_typeIjLj3EESA_
; %bb.0:
	s_load_dwordx2 s[6:7], s[0:1], 0x20
	s_mov_b32 s34, s3
	s_ashr_i32 s35, s3, 31
	s_lshl_b64 s[8:9], s[34:35], 2
	s_waitcnt lgkmcnt(0)
	s_add_u32 s6, s6, s8
	s_addc_u32 s7, s7, s9
	s_load_dwordx2 s[26:27], s[6:7], 0x0
	s_waitcnt lgkmcnt(0)
	s_sub_i32 s33, s27, s26
	s_add_i32 s3, s33, 13
	s_mul_hi_i32 s5, s3, 0x92492493
	s_add_i32 s5, s5, s3
	s_lshr_b32 s3, s5, 31
	s_ashr_i32 s5, s5, 3
	s_add_i32 s5, s5, s3
	s_cmp_ge_i32 s4, s5
	s_cbranch_scc1 .LBB141_167
; %bb.1:
	v_bfe_u32 v16, v0, 10, 10
	v_lshlrev_b32_e32 v114, 6, v16
	v_and_b32_e32 v17, 0x3ff, v0
	s_load_dwordx4 s[12:15], s[0:1], 0x30
	s_load_dwordx2 s[20:21], s[0:1], 0x40
	s_load_dwordx4 s[8:11], s[0:1], 0x4c
	s_load_dwordx4 s[16:19], s[0:1], 0x68
	s_load_dwordx2 s[24:25], s[0:1], 0x78
	v_add_u32_e32 v116, v114, v17
	s_ashr_i32 s27, s26, 31
	s_waitcnt lgkmcnt(0)
	v_cmp_le_i32_e32 vcc, s12, v116
	v_and_b32_e32 v115, 15, v17
                                        ; implicit-def: $sgpr3
	s_and_saveexec_b64 s[6:7], vcc
	s_xor_b64 s[6:7], exec, s[6:7]
; %bb.2:
	v_and_b32_e32 v115, 15, v17
	s_mov_b32 s3, 0
                                        ; implicit-def: $vgpr116
; %bb.3:
	s_or_saveexec_b64 s[22:23], s[6:7]
	s_load_dwordx2 s[6:7], s[0:1], 0x18
                                        ; implicit-def: $vgpr119 : SGPR spill to VGPR lane
	s_lshl_b32 s11, s2, 6
	s_mul_i32 s2, s4, 14
	v_mov_b32_e32 v15, s3
	v_mov_b32_e32 v14, s3
	s_waitcnt lgkmcnt(0)
	v_writelane_b32 v119, s6, 0
	v_mov_b32_e32 v13, s3
	v_mov_b32_e32 v12, s3
	v_writelane_b32 v119, s7, 1
	s_load_dwordx2 s[6:7], s[0:1], 0x28
	v_mov_b32_e32 v3, s3
	v_mov_b32_e32 v2, s3
	;; [unrolled: 1-line block ×4, first 2 shown]
	s_waitcnt lgkmcnt(0)
	v_writelane_b32 v119, s6, 2
	v_mov_b32_e32 v7, s3
	v_mov_b32_e32 v6, s3
	v_writelane_b32 v119, s7, 3
	v_mov_b32_e32 v5, s3
	v_mov_b32_e32 v4, s3
	;; [unrolled: 1-line block ×6, first 2 shown]
	v_writelane_b32 v119, s22, 4
	s_nop 1
	v_writelane_b32 v119, s23, 5
	s_xor_b64 exec, exec, s[22:23]
	s_cbranch_execz .LBB141_161
; %bb.4:
	v_writelane_b32 v119, s24, 6
	s_load_dwordx4 s[4:7], s[0:1], 0x0
	s_load_dwordx2 s[22:23], s[0:1], 0x10
	v_writelane_b32 v119, s25, 7
	s_mul_i32 s0, s34, s8
	s_mul_i32 s24, s11, s15
	s_ashr_i32 s1, s0, 31
	s_ashr_i32 s25, s24, 31
	s_lshl_b64 s[24:25], s[24:25], 2
	s_lshl_b64 s[0:1], s[0:1], 2
	s_add_u32 s24, s0, s24
	v_writelane_b32 v119, s11, 8
	s_addc_u32 s25, s1, s25
	s_waitcnt lgkmcnt(0)
	s_add_u32 s0, s24, s4
	v_writelane_b32 v119, s26, 9
	s_addc_u32 s1, s25, s5
	s_movk_i32 s3, 0x1080
	v_writelane_b32 v119, s27, 10
	s_lshl_b64 s[26:27], s[26:27], 2
	s_add_u32 s8, s22, s26
	s_addc_u32 s11, s23, s27
	s_cmp_lt_i32 s2, s33
	v_mad_u32_u24 v1, v16, s3, 0
	s_cselect_b64 s[34:35], -1, 0
	s_ashr_i32 s3, s2, 31
	s_lshl_b64 s[22:23], s[2:3], 2
	s_add_u32 s36, s8, s22
	s_addc_u32 s37, s11, s23
	s_or_b32 s3, s2, 1
	s_cmp_lt_i32 s3, s33
	v_lshrrev_b32_e32 v3, 1, v17
	s_cselect_b64 s[38:39], -1, 0
	s_add_i32 s3, s2, 2
	v_mov_b32_e32 v19, 0
	v_lshlrev_b32_e32 v0, 2, v17
	v_mul_u32_u24_e32 v2, 0x108, v115
	v_and_b32_e32 v3, 0x1f8, v3
	s_cmp_lt_i32 s3, s33
	v_lshlrev_b32_e32 v18, 8, v16
	v_add_u32_e32 v117, v1, v0
	v_add3_u32 v118, v1, v2, v3
	s_cselect_b64 s[40:41], -1, 0
	s_add_i32 s3, s2, 3
	v_lshl_add_u64 v[2:3], s[24:25], 0, v[18:19]
	v_mov_b32_e32 v1, v19
	s_cmp_lt_i32 s3, s33
	v_lshl_add_u64 v[0:1], v[2:3], 0, v[0:1]
	s_cselect_b64 s[42:43], -1, 0
	s_add_i32 s3, s2, 4
	v_lshl_add_u64 v[20:21], s[4:5], 0, v[0:1]
	s_mul_i32 s4, s15, 3
	s_cmp_lt_i32 s3, s33
	v_writelane_b32 v119, s4, 11
	s_mul_i32 s4, s15, 5
	s_cselect_b64 s[44:45], -1, 0
	s_add_i32 s3, s2, 5
	v_writelane_b32 v119, s4, 12
	s_mul_i32 s4, s15, 6
	s_cmp_lt_i32 s3, s33
	v_writelane_b32 v119, s4, 13
	s_mul_i32 s4, s15, 7
	s_cselect_b64 s[46:47], -1, 0
	s_add_i32 s3, s2, 6
	v_writelane_b32 v119, s4, 14
	;; [unrolled: 7-line block ×9, first 2 shown]
	s_mul_i32 s4, s15, 24
	s_cmp_lt_i32 s3, s33
	v_writelane_b32 v119, s4, 29
	s_mul_i32 s4, s15, 25
	s_cselect_b64 s[62:63], -1, 0
	s_ashr_i32 s23, s15, 31
	s_mov_b32 s22, s15
	v_writelane_b32 v119, s4, 30
	s_mul_i32 s4, s15, 26
	s_lshl_b64 s[64:65], s[22:23], 2
	s_lshl_b32 s3, s15, 1
	s_lshl_b32 s70, s15, 2
	;; [unrolled: 1-line block ×4, first 2 shown]
	v_writelane_b32 v119, s4, 31
	s_mul_i32 s93, s15, 27
	s_mul_i32 s94, s15, 28
	;; [unrolled: 1-line block ×5, first 2 shown]
	s_lshl_b32 s98, s15, 5
	s_mul_i32 s99, s15, 33
	s_mul_i32 s24, s15, 34
	;; [unrolled: 1-line block ×7, first 2 shown]
	v_mov_b32_e32 v8, 0
	v_mov_b32_e32 v9, v19
	v_mov_b32_e32 v10, v19
	v_mov_b32_e32 v11, v19
	v_mov_b32_e32 v4, 0
	v_mov_b32_e32 v5, v19
	v_mov_b32_e32 v6, v19
	v_mov_b32_e32 v7, v19
	v_mov_b32_e32 v0, 0
	v_mov_b32_e32 v1, v19
	v_mov_b32_e32 v2, v19
	v_mov_b32_e32 v3, v19
	v_mov_b32_e32 v12, 0
	v_mov_b32_e32 v13, v19
	v_mov_b32_e32 v14, v19
	v_mov_b32_e32 v15, v19
	s_mul_i32 s11, s15, 40
	s_mul_i32 s30, s15, 41
	;; [unrolled: 1-line block ×24, first 2 shown]
	s_mov_b32 s90, 0x7f800000
	s_movk_i32 s91, 0x7fff
	s_mov_b32 s92, 0x7060302
	s_mov_b64 s[4:5], 0
	s_mov_b64 s[66:67], 0x700
	s_branch .LBB141_6
.LBB141_5:                              ;   in Loop: Header=BB141_6 Depth=1
	s_or_b64 exec, exec, s[68:69]
	v_perm_b32 v18, v86, v18, s92
	v_add_u32_e32 v86, 0xc00, v117
	ds_write2_b32 v86, v18, v19 offset0:90 offset1:156
	ds_write_b32 v117, v19 offset:3960
	ds_read2_b64 v[86:89], v118 offset1:4
	v_add_u32_e32 v116, 0x1c0, v116
	v_cmp_le_i32_e32 vcc, s12, v116
	v_lshl_add_u64 v[20:21], v[20:21], 0, s[66:67]
	s_waitcnt lgkmcnt(0)
	v_mfma_f32_16x16x16_bf16 v[0:3], v[70:71], v[86:87], v[0:3]
	s_or_b64 s[4:5], vcc, s[4:5]
	v_mfma_f32_16x16x16_bf16 v[8:11], v[38:39], v[86:87], v[8:11]
	v_mfma_f32_16x16x16_bf16 v[4:7], v[54:55], v[86:87], v[4:7]
	v_mfma_f32_16x16x16_bf16 v[12:15], v[84:85], v[86:87], v[12:15]
	v_mfma_f32_16x16x16_bf16 v[0:3], v[68:69], v[88:89], v[0:3]
	ds_read2_b64 v[68:71], v118 offset0:8 offset1:12
	v_mfma_f32_16x16x16_bf16 v[8:11], v[34:35], v[88:89], v[8:11]
	v_mfma_f32_16x16x16_bf16 v[4:7], v[50:51], v[88:89], v[4:7]
	v_mfma_f32_16x16x16_bf16 v[12:15], v[82:83], v[88:89], v[12:15]
	s_waitcnt lgkmcnt(0)
	v_mfma_f32_16x16x16_bf16 v[8:11], v[32:33], v[68:69], v[8:11]
	v_mfma_f32_16x16x16_bf16 v[4:7], v[48:49], v[68:69], v[4:7]
	v_mfma_f32_16x16x16_bf16 v[0:3], v[66:67], v[68:69], v[0:3]
	v_mfma_f32_16x16x16_bf16 v[12:15], v[78:79], v[68:69], v[12:15]
	v_mfma_f32_16x16x16_bf16 v[8:11], v[30:31], v[70:71], v[8:11]
	ds_read2_b64 v[30:33], v118 offset0:16 offset1:20
	v_mfma_f32_16x16x16_bf16 v[4:7], v[46:47], v[70:71], v[4:7]
	v_mfma_f32_16x16x16_bf16 v[0:3], v[64:65], v[70:71], v[0:3]
	v_mfma_f32_16x16x16_bf16 v[12:15], v[74:75], v[70:71], v[12:15]
	s_waitcnt lgkmcnt(0)
	v_mfma_f32_16x16x16_bf16 v[8:11], v[28:29], v[30:31], v[8:11]
	;; [unrolled: 10-line block ×3, first 2 shown]
	v_mfma_f32_16x16x16_bf16 v[4:7], v[40:41], v[26:27], v[4:7]
	v_mfma_f32_16x16x16_bf16 v[0:3], v[56:57], v[26:27], v[0:3]
	;; [unrolled: 1-line block ×7, first 2 shown]
	s_andn2_b64 exec, exec, s[4:5]
	s_cbranch_execz .LBB141_160
.LBB141_6:                              ; =>This Inner Loop Header: Depth=1
	v_readlane_b32 s68, v119, 11
	v_lshl_add_u64 v[22:23], v[20:21], 0, s[64:65]
	global_load_dword v18, v[20:21], off
	global_load_dword v48, v[22:23], off
	v_add_u32_e32 v24, s68, v116
	v_readlane_b32 s68, v119, 12
	v_add_u32_e32 v22, s3, v116
	v_ashrrev_i32_e32 v23, 31, v22
	v_add_u32_e32 v28, s68, v116
	v_readlane_b32 s68, v119, 13
	v_add_u32_e32 v26, s70, v116
	v_lshl_add_u64 v[22:23], v[22:23], 2, s[0:1]
	v_add_u32_e32 v30, s68, v116
	v_readlane_b32 s68, v119, 14
	v_ashrrev_i32_e32 v25, 31, v24
	v_ashrrev_i32_e32 v27, 31, v26
	v_add_u32_e32 v32, s68, v116
	v_ashrrev_i32_e32 v29, 31, v28
	v_ashrrev_i32_e32 v31, 31, v30
	;; [unrolled: 1-line block ×3, first 2 shown]
	v_lshl_add_u64 v[24:25], v[24:25], 2, s[0:1]
	v_lshl_add_u64 v[26:27], v[26:27], 2, s[0:1]
	;; [unrolled: 1-line block ×5, first 2 shown]
	global_load_dword v49, v[22:23], off
	global_load_dword v50, v[24:25], off
	;; [unrolled: 1-line block ×6, first 2 shown]
	v_readlane_b32 s68, v119, 15
	v_add_u32_e32 v22, s74, v116
	v_add_u32_e32 v38, s82, v116
	v_add_u32_e32 v24, s68, v116
	v_readlane_b32 s68, v119, 16
	v_ashrrev_i32_e32 v23, 31, v22
	v_ashrrev_i32_e32 v25, 31, v24
	v_add_u32_e32 v26, s68, v116
	v_readlane_b32 s68, v119, 17
	v_ashrrev_i32_e32 v27, 31, v26
	v_ashrrev_i32_e32 v39, 31, v38
	v_add_u32_e32 v28, s68, v116
	v_readlane_b32 s68, v119, 18
	v_ashrrev_i32_e32 v29, 31, v28
	v_lshl_add_u64 v[22:23], v[22:23], 2, s[0:1]
	v_add_u32_e32 v30, s68, v116
	v_readlane_b32 s68, v119, 19
	v_ashrrev_i32_e32 v31, 31, v30
	v_lshl_add_u64 v[24:25], v[24:25], 2, s[0:1]
	;; [unrolled: 4-line block ×6, first 2 shown]
	v_add_u32_e32 v42, s68, v116
	v_readlane_b32 s68, v119, 24
	v_lshl_add_u64 v[32:33], v[32:33], 2, s[0:1]
	v_lshl_add_u64 v[34:35], v[34:35], 2, s[0:1]
	v_add_u32_e32 v44, s68, v116
	v_readlane_b32 s68, v119, 25
	v_lshl_add_u64 v[36:37], v[36:37], 2, s[0:1]
	v_lshl_add_u64 v[38:39], v[38:39], 2, s[0:1]
	v_add_u32_e32 v46, s68, v116
	v_readlane_b32 s68, v119, 26
	global_load_dword v55, v[22:23], off
	global_load_dword v56, v[24:25], off
	;; [unrolled: 1-line block ×9, first 2 shown]
	s_nop 0
	global_load_dword v40, v[40:41], off
	v_add_u32_e32 v22, s68, v116
	v_readlane_b32 s68, v119, 27
	v_ashrrev_i32_e32 v43, 31, v42
	v_ashrrev_i32_e32 v45, 31, v44
	v_add_u32_e32 v24, s68, v116
	v_readlane_b32 s68, v119, 28
	v_ashrrev_i32_e32 v47, 31, v46
	v_ashrrev_i32_e32 v23, 31, v22
	v_add_u32_e32 v26, s68, v116
	v_readlane_b32 s68, v119, 29
	v_lshl_add_u64 v[42:43], v[42:43], 2, s[0:1]
	v_lshl_add_u64 v[44:45], v[44:45], 2, s[0:1]
	v_add_u32_e32 v28, s68, v116
	v_readlane_b32 s68, v119, 30
	v_lshl_add_u64 v[46:47], v[46:47], 2, s[0:1]
	s_waitcnt vmcnt(17)
	ds_write_b32 v117, v18
	s_waitcnt vmcnt(16)
	ds_write_b32 v117, v48 offset:264
	s_waitcnt vmcnt(15)
	ds_write_b32 v117, v49 offset:528
	;; [unrolled: 2-line block ×7, first 2 shown]
	v_add_u32_e32 v30, s68, v116
	v_lshl_add_u64 v[22:23], v[22:23], 2, s[0:1]
	v_ashrrev_i32_e32 v25, 31, v24
	v_ashrrev_i32_e32 v27, 31, v26
	;; [unrolled: 1-line block ×4, first 2 shown]
	v_readlane_b32 s68, v119, 31
	v_lshl_add_u64 v[24:25], v[24:25], 2, s[0:1]
	v_lshl_add_u64 v[26:27], v[26:27], 2, s[0:1]
	v_lshl_add_u64 v[28:29], v[28:29], 2, s[0:1]
	v_lshl_add_u64 v[30:31], v[30:31], 2, s[0:1]
	global_load_dword v18, v[42:43], off
	global_load_dword v41, v[44:45], off
	s_nop 0
	global_load_dword v42, v[46:47], off
	global_load_dword v43, v[22:23], off
	;; [unrolled: 1-line block ×4, first 2 shown]
	s_nop 0
	global_load_dword v46, v[28:29], off
	global_load_dword v47, v[30:31], off
	v_add_u32_e32 v22, s68, v116
	v_ashrrev_i32_e32 v23, 31, v22
	v_add_u32_e32 v24, s93, v116
	v_add_u32_e32 v26, s94, v116
	v_add_u32_e32 v28, s95, v116
	v_add_u32_e32 v30, s96, v116
	v_add_u32_e32 v32, s97, v116
	v_add_u32_e32 v34, s98, v116
	v_add_u32_e32 v36, s99, v116
	v_lshl_add_u64 v[22:23], v[22:23], 2, s[0:1]
	v_ashrrev_i32_e32 v25, 31, v24
	v_ashrrev_i32_e32 v27, 31, v26
	v_ashrrev_i32_e32 v29, 31, v28
	v_ashrrev_i32_e32 v31, 31, v30
	v_ashrrev_i32_e32 v33, 31, v32
	v_ashrrev_i32_e32 v35, 31, v34
	v_ashrrev_i32_e32 v37, 31, v36
	v_lshl_add_u64 v[24:25], v[24:25], 2, s[0:1]
	v_lshl_add_u64 v[26:27], v[26:27], 2, s[0:1]
	v_lshl_add_u64 v[28:29], v[28:29], 2, s[0:1]
	v_lshl_add_u64 v[30:31], v[30:31], 2, s[0:1]
	v_lshl_add_u64 v[32:33], v[32:33], 2, s[0:1]
	v_lshl_add_u64 v[34:35], v[34:35], 2, s[0:1]
	v_lshl_add_u64 v[36:37], v[36:37], 2, s[0:1]
	global_load_dword v48, v[22:23], off
	global_load_dword v49, v[24:25], off
	global_load_dword v50, v[26:27], off
	global_load_dword v51, v[28:29], off
	global_load_dword v52, v[30:31], off
	global_load_dword v53, v[32:33], off
	global_load_dword v64, v[34:35], off
	global_load_dword v65, v[36:37], off
	v_add_u32_e32 v22, s24, v116
	v_ashrrev_i32_e32 v23, 31, v22
	v_add_u32_e32 v24, s25, v116
	v_add_u32_e32 v26, s22, v116
	v_add_u32_e32 v28, s23, v116
	v_add_u32_e32 v30, s28, v116
	v_add_u32_e32 v32, s29, v116
	v_add_u32_e32 v34, s11, v116
	v_add_u32_e32 v36, s30, v116
	v_lshl_add_u64 v[22:23], v[22:23], 2, s[0:1]
	v_ashrrev_i32_e32 v25, 31, v24
	v_ashrrev_i32_e32 v27, 31, v26
	v_ashrrev_i32_e32 v29, 31, v28
	v_ashrrev_i32_e32 v31, 31, v30
	v_ashrrev_i32_e32 v33, 31, v32
	v_ashrrev_i32_e32 v35, 31, v34
	v_ashrrev_i32_e32 v37, 31, v36
	v_lshl_add_u64 v[24:25], v[24:25], 2, s[0:1]
	v_lshl_add_u64 v[26:27], v[26:27], 2, s[0:1]
	v_lshl_add_u64 v[28:29], v[28:29], 2, s[0:1]
	v_lshl_add_u64 v[30:31], v[30:31], 2, s[0:1]
	v_lshl_add_u64 v[32:33], v[32:33], 2, s[0:1]
	v_lshl_add_u64 v[34:35], v[34:35], 2, s[0:1]
	v_lshl_add_u64 v[36:37], v[36:37], 2, s[0:1]
	global_load_dword v66, v[22:23], off
	global_load_dword v67, v[24:25], off
	global_load_dword v68, v[26:27], off
	global_load_dword v69, v[28:29], off
	global_load_dword v70, v[30:31], off
	global_load_dword v71, v[32:33], off
	;; [unrolled: 32-line block ×4, first 2 shown]
	global_load_dword v88, v[34:35], off
	global_load_dword v89, v[36:37], off
	v_add_u32_e32 v22, s85, v116
	v_ashrrev_i32_e32 v23, 31, v22
	v_add_u32_e32 v24, s86, v116
	v_add_u32_e32 v26, s87, v116
	;; [unrolled: 1-line block ×5, first 2 shown]
	v_lshl_add_u64 v[22:23], v[22:23], 2, s[0:1]
	v_ashrrev_i32_e32 v25, 31, v24
	v_ashrrev_i32_e32 v27, 31, v26
	;; [unrolled: 1-line block ×5, first 2 shown]
	v_lshl_add_u64 v[24:25], v[24:25], 2, s[0:1]
	v_lshl_add_u64 v[26:27], v[26:27], 2, s[0:1]
	;; [unrolled: 1-line block ×5, first 2 shown]
	global_load_dword v90, v[22:23], off
	global_load_dword v91, v[24:25], off
	;; [unrolled: 1-line block ×6, first 2 shown]
	s_waitcnt vmcnt(55)
	ds_write_b32 v117, v55 offset:2112
	s_waitcnt vmcnt(54)
	ds_write_b32 v117, v56 offset:2376
	s_waitcnt vmcnt(53)
	ds_write_b32 v117, v57 offset:2640
	s_waitcnt vmcnt(52)
	ds_write_b32 v117, v58 offset:2904
	s_waitcnt vmcnt(51)
	ds_write_b32 v117, v59 offset:3168
	s_waitcnt vmcnt(50)
	ds_write_b32 v117, v60 offset:3432
	s_waitcnt vmcnt(49)
	ds_write_b32 v117, v61 offset:3696
	s_waitcnt vmcnt(48)
	ds_write_b32 v117, v62 offset:3960
	ds_read_b64 v[38:39], v118
	ds_read_b64 v[34:35], v118 offset:32
	ds_read_b64 v[32:33], v118 offset:64
	ds_read_b64 v[30:31], v118 offset:96
	ds_read_b64 v[28:29], v118 offset:128
	ds_read_b64 v[26:27], v118 offset:160
	ds_read_b64 v[24:25], v118 offset:192
	ds_read_b64 v[22:23], v118 offset:224
	s_waitcnt vmcnt(47)
	ds_write_b32 v117, v63
	s_waitcnt vmcnt(46)
	ds_write_b32 v117, v40 offset:264
	s_waitcnt vmcnt(45)
	ds_write_b32 v117, v18 offset:528
	s_waitcnt vmcnt(44)
	ds_write_b32 v117, v41 offset:792
	s_waitcnt vmcnt(43)
	ds_write_b32 v117, v42 offset:1056
	s_waitcnt vmcnt(42)
	ds_write_b32 v117, v43 offset:1320
	s_waitcnt vmcnt(41)
	ds_write_b32 v117, v44 offset:1584
	s_waitcnt vmcnt(40)
	ds_write_b32 v117, v45 offset:1848
	s_waitcnt vmcnt(39)
	ds_write_b32 v117, v46 offset:2112
	s_waitcnt vmcnt(38)
	ds_write_b32 v117, v47 offset:2376
	s_waitcnt vmcnt(37)
	ds_write_b32 v117, v48 offset:2640
	s_waitcnt vmcnt(36)
	ds_write_b32 v117, v49 offset:2904
	s_waitcnt vmcnt(35)
	ds_write_b32 v117, v50 offset:3168
	s_waitcnt vmcnt(34)
	ds_write_b32 v117, v51 offset:3432
	s_waitcnt vmcnt(33)
	ds_write_b32 v117, v52 offset:3696
	s_waitcnt vmcnt(32)
	ds_write_b32 v117, v53 offset:3960
	ds_read_b64 v[54:55], v118
	ds_read_b64 v[50:51], v118 offset:32
	ds_read_b64 v[48:49], v118 offset:64
	ds_read_b64 v[46:47], v118 offset:96
	ds_read_b64 v[44:45], v118 offset:128
	ds_read_b64 v[42:43], v118 offset:160
	ds_read_b64 v[40:41], v118 offset:192
	ds_read_b64 v[36:37], v118 offset:224
	s_waitcnt vmcnt(31)
	ds_write_b32 v117, v64
	s_waitcnt vmcnt(30)
	ds_write_b32 v117, v65 offset:264
	s_waitcnt vmcnt(29)
	ds_write_b32 v117, v66 offset:528
	s_waitcnt vmcnt(28)
	ds_write_b32 v117, v67 offset:792
	s_waitcnt vmcnt(27)
	ds_write_b32 v117, v68 offset:1056
	s_waitcnt vmcnt(26)
	ds_write_b32 v117, v69 offset:1320
	s_waitcnt vmcnt(25)
	ds_write_b32 v117, v70 offset:1584
	s_waitcnt vmcnt(24)
	ds_write_b32 v117, v71 offset:1848
	;; [unrolled: 40-line block ×3, first 2 shown]
	s_waitcnt vmcnt(7)
	ds_write_b32 v117, v88 offset:2112
	s_waitcnt vmcnt(6)
	ds_write_b32 v117, v89 offset:2376
	;; [unrolled: 2-line block ×8, first 2 shown]
	ds_read_b64 v[84:85], v118
	ds_read_b64 v[82:83], v118 offset:32
	ds_read_b64 v[78:79], v118 offset:64
	;; [unrolled: 1-line block ×7, first 2 shown]
	s_andn2_b64 vcc, exec, s[34:35]
	v_mov_b32_e32 v112, 0
	v_mov_b32_e32 v113, 0
	s_cbranch_vccnz .LBB141_9
; %bb.7:                                ;   in Loop: Header=BB141_6 Depth=1
	s_load_dword s68, s[36:37], 0x0
	v_mov_b32_e32 v113, 0
	v_mov_b32_e32 v112, 0
	s_waitcnt lgkmcnt(0)
	s_mul_hi_u32 s69, s68, s16
	s_add_i32 s69, s68, s69
	s_lshr_b32 s69, s69, s17
	s_cmp_ge_i32 s69, s13
	s_cbranch_scc1 .LBB141_9
; %bb.8:                                ;   in Loop: Header=BB141_6 Depth=1
	s_mul_i32 vcc_lo, s69, s18
	s_sub_i32 s68, s68, vcc_lo
	s_mul_i32 s69, s69, s20
	s_mul_i32 s68, s68, s9
	v_add_u32_e32 v18, s69, v116
	v_lshl_add_u32 v86, v18, 1, s68
	v_ashrrev_i32_e32 v87, 31, v86
	v_lshl_add_u64 v[86:87], v[86:87], 2, s[6:7]
	global_load_dwordx2 v[112:113], v[86:87], off
.LBB141_9:                              ;   in Loop: Header=BB141_6 Depth=1
	s_andn2_b64 vcc, exec, s[38:39]
	v_mov_b32_e32 v106, 0
	v_mov_b32_e32 v110, 0
	v_mov_b32_e32 v111, 0
	s_cbranch_vccnz .LBB141_12
; %bb.10:                               ;   in Loop: Header=BB141_6 Depth=1
	s_load_dword s68, s[36:37], 0x4
	v_mov_b32_e32 v111, 0
	v_mov_b32_e32 v110, 0
	s_waitcnt lgkmcnt(0)
	s_mul_hi_u32 s69, s68, s16
	s_add_i32 s69, s68, s69
	s_lshr_b32 s69, s69, s17
	s_cmp_ge_i32 s69, s13
	s_cbranch_scc1 .LBB141_12
; %bb.11:                               ;   in Loop: Header=BB141_6 Depth=1
	s_mul_i32 vcc_lo, s69, s18
	s_sub_i32 s68, s68, vcc_lo
	s_mul_i32 s69, s69, s20
	s_mul_i32 s68, s68, s9
	v_add_u32_e32 v18, s69, v116
	v_lshl_add_u32 v86, v18, 1, s68
	v_ashrrev_i32_e32 v87, 31, v86
	v_lshl_add_u64 v[86:87], v[86:87], 2, s[6:7]
	global_load_dwordx2 v[110:111], v[86:87], off
.LBB141_12:                             ;   in Loop: Header=BB141_6 Depth=1
	s_andn2_b64 vcc, exec, s[40:41]
	v_mov_b32_e32 v107, 0
	s_cbranch_vccnz .LBB141_15
; %bb.13:                               ;   in Loop: Header=BB141_6 Depth=1
	s_load_dword s68, s[36:37], 0x8
	v_mov_b32_e32 v107, 0
	v_mov_b32_e32 v106, 0
	s_waitcnt lgkmcnt(0)
	s_mul_hi_u32 s69, s68, s16
	s_add_i32 s69, s68, s69
	s_lshr_b32 s69, s69, s17
	s_cmp_ge_i32 s69, s13
	s_cbranch_scc1 .LBB141_15
; %bb.14:                               ;   in Loop: Header=BB141_6 Depth=1
	s_mul_i32 vcc_lo, s69, s18
	s_sub_i32 s68, s68, vcc_lo
	s_mul_i32 s69, s69, s20
	s_mul_i32 s68, s68, s9
	v_add_u32_e32 v18, s69, v116
	v_lshl_add_u32 v86, v18, 1, s68
	v_ashrrev_i32_e32 v87, 31, v86
	v_lshl_add_u64 v[86:87], v[86:87], 2, s[6:7]
	global_load_dwordx2 v[106:107], v[86:87], off
.LBB141_15:                             ;   in Loop: Header=BB141_6 Depth=1
	s_andn2_b64 vcc, exec, s[42:43]
	v_mov_b32_e32 v102, 0
	v_mov_b32_e32 v108, 0
	v_mov_b32_e32 v109, 0
	s_cbranch_vccnz .LBB141_18
; %bb.16:                               ;   in Loop: Header=BB141_6 Depth=1
	s_load_dword s68, s[36:37], 0xc
	v_mov_b32_e32 v109, 0
	v_mov_b32_e32 v108, 0
	s_waitcnt lgkmcnt(0)
	s_mul_hi_u32 s69, s68, s16
	s_add_i32 s69, s68, s69
	s_lshr_b32 s69, s69, s17
	s_cmp_ge_i32 s69, s13
	s_cbranch_scc1 .LBB141_18
; %bb.17:                               ;   in Loop: Header=BB141_6 Depth=1
	s_mul_i32 vcc_lo, s69, s18
	s_sub_i32 s68, s68, vcc_lo
	s_mul_i32 s69, s69, s20
	s_mul_i32 s68, s68, s9
	v_add_u32_e32 v18, s69, v116
	v_lshl_add_u32 v86, v18, 1, s68
	v_ashrrev_i32_e32 v87, 31, v86
	v_lshl_add_u64 v[86:87], v[86:87], 2, s[6:7]
	global_load_dwordx2 v[108:109], v[86:87], off
.LBB141_18:                             ;   in Loop: Header=BB141_6 Depth=1
	s_andn2_b64 vcc, exec, s[44:45]
	v_mov_b32_e32 v103, 0
	s_cbranch_vccnz .LBB141_21
; %bb.19:                               ;   in Loop: Header=BB141_6 Depth=1
	s_load_dword s68, s[36:37], 0x10
	v_mov_b32_e32 v103, 0
	v_mov_b32_e32 v102, 0
	s_waitcnt lgkmcnt(0)
	s_mul_hi_u32 s69, s68, s16
	s_add_i32 s69, s68, s69
	s_lshr_b32 s69, s69, s17
	s_cmp_ge_i32 s69, s13
	s_cbranch_scc1 .LBB141_21
; %bb.20:                               ;   in Loop: Header=BB141_6 Depth=1
	s_mul_i32 vcc_lo, s69, s18
	s_sub_i32 s68, s68, vcc_lo
	s_mul_i32 s69, s69, s20
	s_mul_i32 s68, s68, s9
	v_add_u32_e32 v18, s69, v116
	v_lshl_add_u32 v86, v18, 1, s68
	v_ashrrev_i32_e32 v87, 31, v86
	v_lshl_add_u64 v[86:87], v[86:87], 2, s[6:7]
	global_load_dwordx2 v[102:103], v[86:87], off
.LBB141_21:                             ;   in Loop: Header=BB141_6 Depth=1
	;; [unrolled: 50-line block ×6, first 2 shown]
	s_andn2_b64 vcc, exec, s[62:63]
	v_mov_b32_e32 v88, 0
	v_mov_b32_e32 v89, 0
	s_cbranch_vccnz .LBB141_48
; %bb.46:                               ;   in Loop: Header=BB141_6 Depth=1
	s_load_dword s68, s[36:37], 0x34
	v_mov_b32_e32 v89, 0
	v_mov_b32_e32 v88, 0
	s_waitcnt lgkmcnt(0)
	s_mul_hi_u32 s69, s68, s16
	s_add_i32 s69, s68, s69
	s_lshr_b32 s69, s69, s17
	s_cmp_ge_i32 s69, s13
	s_cbranch_scc1 .LBB141_48
; %bb.47:                               ;   in Loop: Header=BB141_6 Depth=1
	s_mul_i32 vcc_lo, s69, s18
	s_sub_i32 s68, s68, vcc_lo
	s_mul_i32 s69, s69, s20
	s_mul_i32 s68, s68, s9
	v_add_u32_e32 v18, s69, v116
	v_lshl_add_u32 v88, v18, 1, s68
	v_ashrrev_i32_e32 v89, 31, v88
	v_lshl_add_u64 v[88:89], v[88:89], 2, s[6:7]
	global_load_dwordx2 v[88:89], v[88:89], off
.LBB141_48:                             ;   in Loop: Header=BB141_6 Depth=1
	s_waitcnt vmcnt(0)
	v_and_b32_e32 v18, 0x7f800000, v112
	v_cmp_ne_u32_e32 vcc, s90, v18
                                        ; implicit-def: $vgpr18
	s_and_saveexec_b64 s[68:69], vcc
	s_xor_b64 s[68:69], exec, s[68:69]
; %bb.49:                               ;   in Loop: Header=BB141_6 Depth=1
	v_bfe_u32 v18, v112, 16, 1
	v_add3_u32 v18, v112, v18, s91
; %bb.50:                               ;   in Loop: Header=BB141_6 Depth=1
	s_andn2_saveexec_b64 s[68:69], s[68:69]
; %bb.51:                               ;   in Loop: Header=BB141_6 Depth=1
	v_or_b32_e32 v18, 0x10000, v112
	v_cmp_eq_u32_sdwa vcc, v112, v19 src0_sel:WORD_0 src1_sel:DWORD
	s_nop 1
	v_cndmask_b32_e32 v18, v18, v112, vcc
; %bb.52:                               ;   in Loop: Header=BB141_6 Depth=1
	s_or_b64 exec, exec, s[68:69]
	v_and_b32_e32 v112, 0x7f800000, v113
	v_cmp_ne_u32_e32 vcc, s90, v112
                                        ; implicit-def: $vgpr112
	s_and_saveexec_b64 s[68:69], vcc
	s_xor_b64 s[68:69], exec, s[68:69]
; %bb.53:                               ;   in Loop: Header=BB141_6 Depth=1
	v_bfe_u32 v112, v113, 16, 1
	v_add3_u32 v112, v113, v112, s91
                                        ; implicit-def: $vgpr113
; %bb.54:                               ;   in Loop: Header=BB141_6 Depth=1
	s_andn2_saveexec_b64 s[68:69], s[68:69]
; %bb.55:                               ;   in Loop: Header=BB141_6 Depth=1
	v_or_b32_e32 v112, 0x10000, v113
	v_cmp_eq_u32_sdwa vcc, v113, v19 src0_sel:WORD_0 src1_sel:DWORD
	s_nop 1
	v_cndmask_b32_e32 v112, v112, v113, vcc
; %bb.56:                               ;   in Loop: Header=BB141_6 Depth=1
	s_or_b64 exec, exec, s[68:69]
	v_perm_b32 v18, v112, v18, s92
	ds_write_b32 v117, v18
	v_and_b32_e32 v18, 0x7f800000, v110
	v_cmp_ne_u32_e32 vcc, s90, v18
                                        ; implicit-def: $vgpr18
	s_and_saveexec_b64 s[68:69], vcc
	s_xor_b64 s[68:69], exec, s[68:69]
; %bb.57:                               ;   in Loop: Header=BB141_6 Depth=1
	v_bfe_u32 v18, v110, 16, 1
	v_add3_u32 v18, v110, v18, s91
; %bb.58:                               ;   in Loop: Header=BB141_6 Depth=1
	s_andn2_saveexec_b64 s[68:69], s[68:69]
; %bb.59:                               ;   in Loop: Header=BB141_6 Depth=1
	v_or_b32_e32 v18, 0x10000, v110
	v_cmp_eq_u32_sdwa vcc, v110, v19 src0_sel:WORD_0 src1_sel:DWORD
	s_nop 1
	v_cndmask_b32_e32 v18, v18, v110, vcc
; %bb.60:                               ;   in Loop: Header=BB141_6 Depth=1
	s_or_b64 exec, exec, s[68:69]
	v_and_b32_e32 v110, 0x7f800000, v111
	v_cmp_ne_u32_e32 vcc, s90, v110
                                        ; implicit-def: $vgpr110
	s_and_saveexec_b64 s[68:69], vcc
	s_xor_b64 s[68:69], exec, s[68:69]
; %bb.61:                               ;   in Loop: Header=BB141_6 Depth=1
	v_bfe_u32 v110, v111, 16, 1
	v_add3_u32 v110, v111, v110, s91
                                        ; implicit-def: $vgpr111
; %bb.62:                               ;   in Loop: Header=BB141_6 Depth=1
	s_andn2_saveexec_b64 s[68:69], s[68:69]
; %bb.63:                               ;   in Loop: Header=BB141_6 Depth=1
	v_or_b32_e32 v110, 0x10000, v111
	v_cmp_eq_u32_sdwa vcc, v111, v19 src0_sel:WORD_0 src1_sel:DWORD
	s_nop 1
	v_cndmask_b32_e32 v110, v110, v111, vcc
; %bb.64:                               ;   in Loop: Header=BB141_6 Depth=1
	s_or_b64 exec, exec, s[68:69]
	v_perm_b32 v18, v110, v18, s92
	ds_write_b32 v117, v18 offset:264
	v_and_b32_e32 v18, 0x7f800000, v106
	v_cmp_ne_u32_e32 vcc, s90, v18
                                        ; implicit-def: $vgpr18
	s_and_saveexec_b64 s[68:69], vcc
	s_xor_b64 s[68:69], exec, s[68:69]
; %bb.65:                               ;   in Loop: Header=BB141_6 Depth=1
	v_bfe_u32 v18, v106, 16, 1
	v_add3_u32 v18, v106, v18, s91
; %bb.66:                               ;   in Loop: Header=BB141_6 Depth=1
	s_andn2_saveexec_b64 s[68:69], s[68:69]
; %bb.67:                               ;   in Loop: Header=BB141_6 Depth=1
	v_or_b32_e32 v18, 0x10000, v106
	v_cmp_eq_u32_sdwa vcc, v106, v19 src0_sel:WORD_0 src1_sel:DWORD
	s_nop 1
	v_cndmask_b32_e32 v18, v18, v106, vcc
; %bb.68:                               ;   in Loop: Header=BB141_6 Depth=1
	s_or_b64 exec, exec, s[68:69]
	v_and_b32_e32 v106, 0x7f800000, v107
	v_cmp_ne_u32_e32 vcc, s90, v106
                                        ; implicit-def: $vgpr106
	s_and_saveexec_b64 s[68:69], vcc
	s_xor_b64 s[68:69], exec, s[68:69]
; %bb.69:                               ;   in Loop: Header=BB141_6 Depth=1
	v_bfe_u32 v106, v107, 16, 1
	v_add3_u32 v106, v107, v106, s91
                                        ; implicit-def: $vgpr107
; %bb.70:                               ;   in Loop: Header=BB141_6 Depth=1
	s_andn2_saveexec_b64 s[68:69], s[68:69]
; %bb.71:                               ;   in Loop: Header=BB141_6 Depth=1
	v_or_b32_e32 v106, 0x10000, v107
	v_cmp_eq_u32_sdwa vcc, v107, v19 src0_sel:WORD_0 src1_sel:DWORD
	s_nop 1
	v_cndmask_b32_e32 v106, v106, v107, vcc
; %bb.72:                               ;   in Loop: Header=BB141_6 Depth=1
	s_or_b64 exec, exec, s[68:69]
	v_perm_b32 v18, v106, v18, s92
	ds_write_b32 v117, v18 offset:528
	v_and_b32_e32 v18, 0x7f800000, v108
	v_cmp_ne_u32_e32 vcc, s90, v18
                                        ; implicit-def: $vgpr18
	s_and_saveexec_b64 s[68:69], vcc
	s_xor_b64 s[68:69], exec, s[68:69]
; %bb.73:                               ;   in Loop: Header=BB141_6 Depth=1
	v_bfe_u32 v18, v108, 16, 1
	v_add3_u32 v18, v108, v18, s91
; %bb.74:                               ;   in Loop: Header=BB141_6 Depth=1
	s_andn2_saveexec_b64 s[68:69], s[68:69]
; %bb.75:                               ;   in Loop: Header=BB141_6 Depth=1
	v_or_b32_e32 v18, 0x10000, v108
	v_cmp_eq_u32_sdwa vcc, v108, v19 src0_sel:WORD_0 src1_sel:DWORD
	s_nop 1
	v_cndmask_b32_e32 v18, v18, v108, vcc
; %bb.76:                               ;   in Loop: Header=BB141_6 Depth=1
	s_or_b64 exec, exec, s[68:69]
	v_and_b32_e32 v106, 0x7f800000, v109
	v_cmp_ne_u32_e32 vcc, s90, v106
                                        ; implicit-def: $vgpr106
	s_and_saveexec_b64 s[68:69], vcc
	s_xor_b64 s[68:69], exec, s[68:69]
; %bb.77:                               ;   in Loop: Header=BB141_6 Depth=1
	v_bfe_u32 v106, v109, 16, 1
	v_add3_u32 v106, v109, v106, s91
                                        ; implicit-def: $vgpr109
; %bb.78:                               ;   in Loop: Header=BB141_6 Depth=1
	s_andn2_saveexec_b64 s[68:69], s[68:69]
; %bb.79:                               ;   in Loop: Header=BB141_6 Depth=1
	v_or_b32_e32 v106, 0x10000, v109
	v_cmp_eq_u32_sdwa vcc, v109, v19 src0_sel:WORD_0 src1_sel:DWORD
	s_nop 1
	v_cndmask_b32_e32 v106, v106, v109, vcc
; %bb.80:                               ;   in Loop: Header=BB141_6 Depth=1
	s_or_b64 exec, exec, s[68:69]
	v_perm_b32 v18, v106, v18, s92
	ds_write_b32 v117, v18 offset:792
	v_and_b32_e32 v18, 0x7f800000, v102
	v_cmp_ne_u32_e32 vcc, s90, v18
                                        ; implicit-def: $vgpr18
	s_and_saveexec_b64 s[68:69], vcc
	s_xor_b64 s[68:69], exec, s[68:69]
; %bb.81:                               ;   in Loop: Header=BB141_6 Depth=1
	v_bfe_u32 v18, v102, 16, 1
	v_add3_u32 v18, v102, v18, s91
; %bb.82:                               ;   in Loop: Header=BB141_6 Depth=1
	s_andn2_saveexec_b64 s[68:69], s[68:69]
; %bb.83:                               ;   in Loop: Header=BB141_6 Depth=1
	v_or_b32_e32 v18, 0x10000, v102
	v_cmp_eq_u32_sdwa vcc, v102, v19 src0_sel:WORD_0 src1_sel:DWORD
	s_nop 1
	v_cndmask_b32_e32 v18, v18, v102, vcc
; %bb.84:                               ;   in Loop: Header=BB141_6 Depth=1
	s_or_b64 exec, exec, s[68:69]
	v_and_b32_e32 v102, 0x7f800000, v103
	v_cmp_ne_u32_e32 vcc, s90, v102
                                        ; implicit-def: $vgpr102
	s_and_saveexec_b64 s[68:69], vcc
	s_xor_b64 s[68:69], exec, s[68:69]
; %bb.85:                               ;   in Loop: Header=BB141_6 Depth=1
	v_bfe_u32 v102, v103, 16, 1
	v_add3_u32 v102, v103, v102, s91
                                        ; implicit-def: $vgpr103
; %bb.86:                               ;   in Loop: Header=BB141_6 Depth=1
	s_andn2_saveexec_b64 s[68:69], s[68:69]
; %bb.87:                               ;   in Loop: Header=BB141_6 Depth=1
	v_or_b32_e32 v102, 0x10000, v103
	v_cmp_eq_u32_sdwa vcc, v103, v19 src0_sel:WORD_0 src1_sel:DWORD
	s_nop 1
	v_cndmask_b32_e32 v102, v102, v103, vcc
; %bb.88:                               ;   in Loop: Header=BB141_6 Depth=1
	s_or_b64 exec, exec, s[68:69]
	v_perm_b32 v18, v102, v18, s92
	ds_write_b32 v117, v18 offset:1056
	v_and_b32_e32 v18, 0x7f800000, v104
	v_cmp_ne_u32_e32 vcc, s90, v18
                                        ; implicit-def: $vgpr18
	s_and_saveexec_b64 s[68:69], vcc
	s_xor_b64 s[68:69], exec, s[68:69]
; %bb.89:                               ;   in Loop: Header=BB141_6 Depth=1
	v_bfe_u32 v18, v104, 16, 1
	v_add3_u32 v18, v104, v18, s91
; %bb.90:                               ;   in Loop: Header=BB141_6 Depth=1
	s_andn2_saveexec_b64 s[68:69], s[68:69]
; %bb.91:                               ;   in Loop: Header=BB141_6 Depth=1
	v_or_b32_e32 v18, 0x10000, v104
	v_cmp_eq_u32_sdwa vcc, v104, v19 src0_sel:WORD_0 src1_sel:DWORD
	s_nop 1
	v_cndmask_b32_e32 v18, v18, v104, vcc
; %bb.92:                               ;   in Loop: Header=BB141_6 Depth=1
	s_or_b64 exec, exec, s[68:69]
	v_and_b32_e32 v102, 0x7f800000, v105
	v_cmp_ne_u32_e32 vcc, s90, v102
                                        ; implicit-def: $vgpr102
	s_and_saveexec_b64 s[68:69], vcc
	s_xor_b64 s[68:69], exec, s[68:69]
; %bb.93:                               ;   in Loop: Header=BB141_6 Depth=1
	v_bfe_u32 v102, v105, 16, 1
	v_add3_u32 v102, v105, v102, s91
                                        ; implicit-def: $vgpr105
; %bb.94:                               ;   in Loop: Header=BB141_6 Depth=1
	s_andn2_saveexec_b64 s[68:69], s[68:69]
; %bb.95:                               ;   in Loop: Header=BB141_6 Depth=1
	v_or_b32_e32 v102, 0x10000, v105
	v_cmp_eq_u32_sdwa vcc, v105, v19 src0_sel:WORD_0 src1_sel:DWORD
	s_nop 1
	v_cndmask_b32_e32 v102, v102, v105, vcc
; %bb.96:                               ;   in Loop: Header=BB141_6 Depth=1
	s_or_b64 exec, exec, s[68:69]
	v_perm_b32 v18, v102, v18, s92
	ds_write_b32 v117, v18 offset:1320
	v_and_b32_e32 v18, 0x7f800000, v98
	v_cmp_ne_u32_e32 vcc, s90, v18
                                        ; implicit-def: $vgpr18
	s_and_saveexec_b64 s[68:69], vcc
	s_xor_b64 s[68:69], exec, s[68:69]
; %bb.97:                               ;   in Loop: Header=BB141_6 Depth=1
	v_bfe_u32 v18, v98, 16, 1
	v_add3_u32 v18, v98, v18, s91
; %bb.98:                               ;   in Loop: Header=BB141_6 Depth=1
	s_andn2_saveexec_b64 s[68:69], s[68:69]
; %bb.99:                               ;   in Loop: Header=BB141_6 Depth=1
	v_or_b32_e32 v18, 0x10000, v98
	v_cmp_eq_u32_sdwa vcc, v98, v19 src0_sel:WORD_0 src1_sel:DWORD
	s_nop 1
	v_cndmask_b32_e32 v18, v18, v98, vcc
; %bb.100:                              ;   in Loop: Header=BB141_6 Depth=1
	s_or_b64 exec, exec, s[68:69]
	v_and_b32_e32 v98, 0x7f800000, v99
	v_cmp_ne_u32_e32 vcc, s90, v98
                                        ; implicit-def: $vgpr98
	s_and_saveexec_b64 s[68:69], vcc
	s_xor_b64 s[68:69], exec, s[68:69]
; %bb.101:                              ;   in Loop: Header=BB141_6 Depth=1
	v_bfe_u32 v98, v99, 16, 1
	v_add3_u32 v98, v99, v98, s91
                                        ; implicit-def: $vgpr99
; %bb.102:                              ;   in Loop: Header=BB141_6 Depth=1
	s_andn2_saveexec_b64 s[68:69], s[68:69]
; %bb.103:                              ;   in Loop: Header=BB141_6 Depth=1
	v_or_b32_e32 v98, 0x10000, v99
	v_cmp_eq_u32_sdwa vcc, v99, v19 src0_sel:WORD_0 src1_sel:DWORD
	s_nop 1
	v_cndmask_b32_e32 v98, v98, v99, vcc
; %bb.104:                              ;   in Loop: Header=BB141_6 Depth=1
	s_or_b64 exec, exec, s[68:69]
	v_perm_b32 v18, v98, v18, s92
	ds_write_b32 v117, v18 offset:1584
	v_and_b32_e32 v18, 0x7f800000, v100
	v_cmp_ne_u32_e32 vcc, s90, v18
                                        ; implicit-def: $vgpr18
	s_and_saveexec_b64 s[68:69], vcc
	s_xor_b64 s[68:69], exec, s[68:69]
; %bb.105:                              ;   in Loop: Header=BB141_6 Depth=1
	v_bfe_u32 v18, v100, 16, 1
	v_add3_u32 v18, v100, v18, s91
; %bb.106:                              ;   in Loop: Header=BB141_6 Depth=1
	s_andn2_saveexec_b64 s[68:69], s[68:69]
; %bb.107:                              ;   in Loop: Header=BB141_6 Depth=1
	v_or_b32_e32 v18, 0x10000, v100
	v_cmp_eq_u32_sdwa vcc, v100, v19 src0_sel:WORD_0 src1_sel:DWORD
	s_nop 1
	v_cndmask_b32_e32 v18, v18, v100, vcc
; %bb.108:                              ;   in Loop: Header=BB141_6 Depth=1
	s_or_b64 exec, exec, s[68:69]
	v_and_b32_e32 v98, 0x7f800000, v101
	v_cmp_ne_u32_e32 vcc, s90, v98
                                        ; implicit-def: $vgpr98
	s_and_saveexec_b64 s[68:69], vcc
	s_xor_b64 s[68:69], exec, s[68:69]
; %bb.109:                              ;   in Loop: Header=BB141_6 Depth=1
	v_bfe_u32 v98, v101, 16, 1
	v_add3_u32 v98, v101, v98, s91
                                        ; implicit-def: $vgpr101
; %bb.110:                              ;   in Loop: Header=BB141_6 Depth=1
	s_andn2_saveexec_b64 s[68:69], s[68:69]
; %bb.111:                              ;   in Loop: Header=BB141_6 Depth=1
	v_or_b32_e32 v98, 0x10000, v101
	v_cmp_eq_u32_sdwa vcc, v101, v19 src0_sel:WORD_0 src1_sel:DWORD
	s_nop 1
	v_cndmask_b32_e32 v98, v98, v101, vcc
; %bb.112:                              ;   in Loop: Header=BB141_6 Depth=1
	s_or_b64 exec, exec, s[68:69]
	v_perm_b32 v18, v98, v18, s92
	ds_write_b32 v117, v18 offset:1848
	v_and_b32_e32 v18, 0x7f800000, v94
	v_cmp_ne_u32_e32 vcc, s90, v18
                                        ; implicit-def: $vgpr18
	s_and_saveexec_b64 s[68:69], vcc
	s_xor_b64 s[68:69], exec, s[68:69]
; %bb.113:                              ;   in Loop: Header=BB141_6 Depth=1
	v_bfe_u32 v18, v94, 16, 1
	v_add3_u32 v18, v94, v18, s91
; %bb.114:                              ;   in Loop: Header=BB141_6 Depth=1
	s_andn2_saveexec_b64 s[68:69], s[68:69]
; %bb.115:                              ;   in Loop: Header=BB141_6 Depth=1
	v_or_b32_e32 v18, 0x10000, v94
	v_cmp_eq_u32_sdwa vcc, v94, v19 src0_sel:WORD_0 src1_sel:DWORD
	s_nop 1
	v_cndmask_b32_e32 v18, v18, v94, vcc
; %bb.116:                              ;   in Loop: Header=BB141_6 Depth=1
	s_or_b64 exec, exec, s[68:69]
	v_and_b32_e32 v94, 0x7f800000, v95
	v_cmp_ne_u32_e32 vcc, s90, v94
                                        ; implicit-def: $vgpr94
	s_and_saveexec_b64 s[68:69], vcc
	s_xor_b64 s[68:69], exec, s[68:69]
; %bb.117:                              ;   in Loop: Header=BB141_6 Depth=1
	v_bfe_u32 v94, v95, 16, 1
	v_add3_u32 v94, v95, v94, s91
                                        ; implicit-def: $vgpr95
; %bb.118:                              ;   in Loop: Header=BB141_6 Depth=1
	s_andn2_saveexec_b64 s[68:69], s[68:69]
; %bb.119:                              ;   in Loop: Header=BB141_6 Depth=1
	v_or_b32_e32 v94, 0x10000, v95
	v_cmp_eq_u32_sdwa vcc, v95, v19 src0_sel:WORD_0 src1_sel:DWORD
	s_nop 1
	v_cndmask_b32_e32 v94, v94, v95, vcc
; %bb.120:                              ;   in Loop: Header=BB141_6 Depth=1
	s_or_b64 exec, exec, s[68:69]
	v_perm_b32 v18, v94, v18, s92
	ds_write_b32 v117, v18 offset:2112
	v_and_b32_e32 v18, 0x7f800000, v96
	v_cmp_ne_u32_e32 vcc, s90, v18
                                        ; implicit-def: $vgpr18
	s_and_saveexec_b64 s[68:69], vcc
	s_xor_b64 s[68:69], exec, s[68:69]
; %bb.121:                              ;   in Loop: Header=BB141_6 Depth=1
	v_bfe_u32 v18, v96, 16, 1
	v_add3_u32 v18, v96, v18, s91
; %bb.122:                              ;   in Loop: Header=BB141_6 Depth=1
	s_andn2_saveexec_b64 s[68:69], s[68:69]
; %bb.123:                              ;   in Loop: Header=BB141_6 Depth=1
	v_or_b32_e32 v18, 0x10000, v96
	v_cmp_eq_u32_sdwa vcc, v96, v19 src0_sel:WORD_0 src1_sel:DWORD
	s_nop 1
	v_cndmask_b32_e32 v18, v18, v96, vcc
; %bb.124:                              ;   in Loop: Header=BB141_6 Depth=1
	s_or_b64 exec, exec, s[68:69]
	v_and_b32_e32 v94, 0x7f800000, v97
	v_cmp_ne_u32_e32 vcc, s90, v94
                                        ; implicit-def: $vgpr94
	s_and_saveexec_b64 s[68:69], vcc
	s_xor_b64 s[68:69], exec, s[68:69]
; %bb.125:                              ;   in Loop: Header=BB141_6 Depth=1
	v_bfe_u32 v94, v97, 16, 1
	v_add3_u32 v94, v97, v94, s91
                                        ; implicit-def: $vgpr97
; %bb.126:                              ;   in Loop: Header=BB141_6 Depth=1
	s_andn2_saveexec_b64 s[68:69], s[68:69]
; %bb.127:                              ;   in Loop: Header=BB141_6 Depth=1
	v_or_b32_e32 v94, 0x10000, v97
	v_cmp_eq_u32_sdwa vcc, v97, v19 src0_sel:WORD_0 src1_sel:DWORD
	s_nop 1
	v_cndmask_b32_e32 v94, v94, v97, vcc
; %bb.128:                              ;   in Loop: Header=BB141_6 Depth=1
	s_or_b64 exec, exec, s[68:69]
	v_perm_b32 v18, v94, v18, s92
	ds_write_b32 v117, v18 offset:2376
	v_and_b32_e32 v18, 0x7f800000, v90
	v_cmp_ne_u32_e32 vcc, s90, v18
                                        ; implicit-def: $vgpr18
	s_and_saveexec_b64 s[68:69], vcc
	s_xor_b64 s[68:69], exec, s[68:69]
; %bb.129:                              ;   in Loop: Header=BB141_6 Depth=1
	v_bfe_u32 v18, v90, 16, 1
	v_add3_u32 v18, v90, v18, s91
; %bb.130:                              ;   in Loop: Header=BB141_6 Depth=1
	s_andn2_saveexec_b64 s[68:69], s[68:69]
; %bb.131:                              ;   in Loop: Header=BB141_6 Depth=1
	v_or_b32_e32 v18, 0x10000, v90
	v_cmp_eq_u32_sdwa vcc, v90, v19 src0_sel:WORD_0 src1_sel:DWORD
	s_nop 1
	v_cndmask_b32_e32 v18, v18, v90, vcc
; %bb.132:                              ;   in Loop: Header=BB141_6 Depth=1
	s_or_b64 exec, exec, s[68:69]
	v_and_b32_e32 v90, 0x7f800000, v91
	v_cmp_ne_u32_e32 vcc, s90, v90
                                        ; implicit-def: $vgpr90
	s_and_saveexec_b64 s[68:69], vcc
	s_xor_b64 s[68:69], exec, s[68:69]
; %bb.133:                              ;   in Loop: Header=BB141_6 Depth=1
	v_bfe_u32 v90, v91, 16, 1
	v_add3_u32 v90, v91, v90, s91
                                        ; implicit-def: $vgpr91
; %bb.134:                              ;   in Loop: Header=BB141_6 Depth=1
	s_andn2_saveexec_b64 s[68:69], s[68:69]
; %bb.135:                              ;   in Loop: Header=BB141_6 Depth=1
	v_or_b32_e32 v90, 0x10000, v91
	v_cmp_eq_u32_sdwa vcc, v91, v19 src0_sel:WORD_0 src1_sel:DWORD
	s_nop 1
	v_cndmask_b32_e32 v90, v90, v91, vcc
; %bb.136:                              ;   in Loop: Header=BB141_6 Depth=1
	s_or_b64 exec, exec, s[68:69]
	v_perm_b32 v18, v90, v18, s92
	ds_write_b32 v117, v18 offset:2640
	v_and_b32_e32 v18, 0x7f800000, v92
	v_cmp_ne_u32_e32 vcc, s90, v18
                                        ; implicit-def: $vgpr18
	s_and_saveexec_b64 s[68:69], vcc
	s_xor_b64 s[68:69], exec, s[68:69]
; %bb.137:                              ;   in Loop: Header=BB141_6 Depth=1
	v_bfe_u32 v18, v92, 16, 1
	v_add3_u32 v18, v92, v18, s91
; %bb.138:                              ;   in Loop: Header=BB141_6 Depth=1
	s_andn2_saveexec_b64 s[68:69], s[68:69]
; %bb.139:                              ;   in Loop: Header=BB141_6 Depth=1
	v_or_b32_e32 v18, 0x10000, v92
	v_cmp_eq_u32_sdwa vcc, v92, v19 src0_sel:WORD_0 src1_sel:DWORD
	s_nop 1
	v_cndmask_b32_e32 v18, v18, v92, vcc
; %bb.140:                              ;   in Loop: Header=BB141_6 Depth=1
	s_or_b64 exec, exec, s[68:69]
	v_and_b32_e32 v90, 0x7f800000, v93
	v_cmp_ne_u32_e32 vcc, s90, v90
                                        ; implicit-def: $vgpr90
	s_and_saveexec_b64 s[68:69], vcc
	s_xor_b64 s[68:69], exec, s[68:69]
; %bb.141:                              ;   in Loop: Header=BB141_6 Depth=1
	v_bfe_u32 v90, v93, 16, 1
	v_add3_u32 v90, v93, v90, s91
                                        ; implicit-def: $vgpr93
; %bb.142:                              ;   in Loop: Header=BB141_6 Depth=1
	s_andn2_saveexec_b64 s[68:69], s[68:69]
; %bb.143:                              ;   in Loop: Header=BB141_6 Depth=1
	v_or_b32_e32 v90, 0x10000, v93
	v_cmp_eq_u32_sdwa vcc, v93, v19 src0_sel:WORD_0 src1_sel:DWORD
	s_nop 1
	v_cndmask_b32_e32 v90, v90, v93, vcc
; %bb.144:                              ;   in Loop: Header=BB141_6 Depth=1
	s_or_b64 exec, exec, s[68:69]
	v_perm_b32 v18, v90, v18, s92
	ds_write_b32 v117, v18 offset:2904
	v_and_b32_e32 v18, 0x7f800000, v86
	v_cmp_ne_u32_e32 vcc, s90, v18
                                        ; implicit-def: $vgpr18
	s_and_saveexec_b64 s[68:69], vcc
	s_xor_b64 s[68:69], exec, s[68:69]
; %bb.145:                              ;   in Loop: Header=BB141_6 Depth=1
	v_bfe_u32 v18, v86, 16, 1
	v_add3_u32 v18, v86, v18, s91
; %bb.146:                              ;   in Loop: Header=BB141_6 Depth=1
	s_andn2_saveexec_b64 s[68:69], s[68:69]
; %bb.147:                              ;   in Loop: Header=BB141_6 Depth=1
	v_or_b32_e32 v18, 0x10000, v86
	v_cmp_eq_u32_sdwa vcc, v86, v19 src0_sel:WORD_0 src1_sel:DWORD
	s_nop 1
	v_cndmask_b32_e32 v18, v18, v86, vcc
; %bb.148:                              ;   in Loop: Header=BB141_6 Depth=1
	s_or_b64 exec, exec, s[68:69]
	v_and_b32_e32 v86, 0x7f800000, v87
	v_cmp_ne_u32_e32 vcc, s90, v86
                                        ; implicit-def: $vgpr86
	s_and_saveexec_b64 s[68:69], vcc
	s_xor_b64 s[68:69], exec, s[68:69]
; %bb.149:                              ;   in Loop: Header=BB141_6 Depth=1
	v_bfe_u32 v86, v87, 16, 1
	v_add3_u32 v86, v87, v86, s91
                                        ; implicit-def: $vgpr87
; %bb.150:                              ;   in Loop: Header=BB141_6 Depth=1
	s_andn2_saveexec_b64 s[68:69], s[68:69]
; %bb.151:                              ;   in Loop: Header=BB141_6 Depth=1
	v_or_b32_e32 v86, 0x10000, v87
	v_cmp_eq_u32_sdwa vcc, v87, v19 src0_sel:WORD_0 src1_sel:DWORD
	s_nop 1
	v_cndmask_b32_e32 v86, v86, v87, vcc
; %bb.152:                              ;   in Loop: Header=BB141_6 Depth=1
	s_or_b64 exec, exec, s[68:69]
	v_perm_b32 v18, v86, v18, s92
	ds_write_b32 v117, v18 offset:3168
	v_and_b32_e32 v18, 0x7f800000, v88
	v_cmp_ne_u32_e32 vcc, s90, v18
                                        ; implicit-def: $vgpr18
	s_and_saveexec_b64 s[68:69], vcc
	s_xor_b64 s[68:69], exec, s[68:69]
; %bb.153:                              ;   in Loop: Header=BB141_6 Depth=1
	v_bfe_u32 v18, v88, 16, 1
	v_add3_u32 v18, v88, v18, s91
; %bb.154:                              ;   in Loop: Header=BB141_6 Depth=1
	s_andn2_saveexec_b64 s[68:69], s[68:69]
; %bb.155:                              ;   in Loop: Header=BB141_6 Depth=1
	v_or_b32_e32 v18, 0x10000, v88
	v_cmp_eq_u32_sdwa vcc, v88, v19 src0_sel:WORD_0 src1_sel:DWORD
	s_nop 1
	v_cndmask_b32_e32 v18, v18, v88, vcc
; %bb.156:                              ;   in Loop: Header=BB141_6 Depth=1
	s_or_b64 exec, exec, s[68:69]
	v_and_b32_e32 v86, 0x7f800000, v89
	v_cmp_ne_u32_e32 vcc, s90, v86
                                        ; implicit-def: $vgpr86
	s_and_saveexec_b64 s[68:69], vcc
	s_xor_b64 s[68:69], exec, s[68:69]
; %bb.157:                              ;   in Loop: Header=BB141_6 Depth=1
	v_bfe_u32 v86, v89, 16, 1
	v_add3_u32 v86, v89, v86, s91
                                        ; implicit-def: $vgpr89
; %bb.158:                              ;   in Loop: Header=BB141_6 Depth=1
	s_andn2_saveexec_b64 s[68:69], s[68:69]
	s_cbranch_execz .LBB141_5
; %bb.159:                              ;   in Loop: Header=BB141_6 Depth=1
	v_or_b32_e32 v86, 0x10000, v89
	v_cmp_eq_u32_sdwa vcc, v89, v19 src0_sel:WORD_0 src1_sel:DWORD
	s_nop 1
	v_cndmask_b32_e32 v86, v86, v89, vcc
	s_branch .LBB141_5
.LBB141_160:
	s_or_b64 exec, exec, s[4:5]
	v_readlane_b32 s24, v119, 6
	v_readlane_b32 s26, v119, 9
	v_readlane_b32 s25, v119, 7
	v_readlane_b32 s27, v119, 10
	v_readlane_b32 s11, v119, 8
.LBB141_161:
	v_readlane_b32 s0, v119, 4
	v_readlane_b32 s1, v119, 5
	s_or_b64 exec, exec, s[0:1]
	v_mul_u32_u24_e32 v18, 0x708, v115
	v_lshlrev_b32_e32 v19, 2, v114
	v_add3_u32 v18, 0, v18, v19
	v_and_b32_e32 v19, 0x3f0, v17
	v_add_u32_e32 v19, v18, v19
	s_lshl_b64 s[0:1], s[26:27], 2
	v_readlane_b32 s4, v119, 0
	s_barrier
	ds_write2_b32 v19, v8, v9 offset1:1
	ds_write_b32 v19, v10 offset:8
	v_or_b32_e32 v8, 12, v17
	v_readlane_b32 s5, v119, 1
	s_add_u32 s4, s4, s0
	v_and_b32_e32 v8, 0x3fc, v8
	s_addc_u32 s5, s5, s1
	v_add_u32_e32 v8, v18, v8
	ds_write_b32 v8, v11
	ds_write2_b32 v19, v4, v5 offset0:16 offset1:17
	ds_write_b32 v19, v6 offset:72
	ds_write_b32 v8, v7 offset:64
	ds_write2_b32 v19, v0, v1 offset0:32 offset1:33
	ds_write_b32 v19, v2 offset:136
	ds_write_b32 v8, v3 offset:128
	;; [unrolled: 3-line block ×3, first 2 shown]
	s_cmp_gt_i32 s14, 0
	v_add_u32_e32 v0, s2, v16
	s_cselect_b64 s[6:7], -1, 0
	v_cmp_gt_i32_e64 s[0:1], s33, v0
	v_cmp_gt_u32_e32 vcc, 14, v16
	s_and_b64 s[0:1], s[6:7], s[0:1]
	v_lshl_add_u32 v3, v17, 2, 0
	v_add_u32_e32 v2, s11, v17
	v_mul_u32_u24_e32 v4, 0x708, v16
	s_and_b64 s[8:9], vcc, s[0:1]
	s_waitcnt lgkmcnt(0)
	s_barrier
	s_and_saveexec_b64 s[0:1], s[8:9]
	s_cbranch_execz .LBB141_164
; %bb.162:
	v_ashrrev_i32_e32 v1, 31, v0
	v_lshl_add_u64 v[6:7], v[0:1], 2, s[4:5]
	global_load_dword v1, v[6:7], off
	s_waitcnt vmcnt(0)
	v_mul_hi_u32 v5, v1, s19
	v_add_u32_e32 v5, v1, v5
	v_lshrrev_b32_e32 v5, s24, v5
	v_cmp_gt_i32_e32 vcc, s13, v5
	s_and_b64 exec, exec, vcc
	s_cbranch_execz .LBB141_164
; %bb.163:
	v_add_u32_e32 v12, v3, v4
	ds_read2st64_b32 v[6:7], v12 offset1:1
	ds_read2st64_b32 v[8:9], v12 offset0:2 offset1:3
	ds_read2st64_b32 v[10:11], v12 offset0:4 offset1:5
	ds_read_b32 v12, v12 offset:1536
	v_mul_lo_u32 v13, v5, s25
	v_sub_u32_e32 v1, v1, v13
	v_mul_lo_u32 v1, v1, s10
	s_waitcnt lgkmcnt(3)
	v_add_f32_e32 v6, 0, v6
	v_add_f32_e32 v6, v6, v7
	s_waitcnt lgkmcnt(2)
	v_add_f32_e32 v6, v6, v8
	v_add_f32_e32 v6, v6, v9
	;; [unrolled: 3-line block ×3, first 2 shown]
	v_mul_lo_u32 v5, v5, s21
	v_readlane_b32 s8, v119, 2
	s_waitcnt lgkmcnt(0)
	v_add_f32_e32 v8, v6, v12
	v_add3_u32 v6, v2, v5, v1
	v_mov_b32_e32 v7, 0
	v_readlane_b32 s9, v119, 3
	s_nop 1
	v_lshl_add_u64 v[6:7], v[6:7], 2, s[8:9]
	global_store_dword v[6:7], v8, off
.LBB141_164:
	s_or_b64 exec, exec, s[0:1]
	v_add_u32_e32 v0, 7, v0
	v_cmp_gt_i32_e64 s[0:1], s33, v0
	v_cmp_gt_u32_e32 vcc, 7, v16
	s_and_b64 s[0:1], s[6:7], s[0:1]
	s_and_b64 s[0:1], vcc, s[0:1]
	s_and_saveexec_b64 s[6:7], s[0:1]
	s_cbranch_execz .LBB141_167
; %bb.165:
	s_ashr_i32 s3, s2, 31
	v_mov_b32_e32 v17, 0
	v_lshl_add_u64 v[0:1], v[16:17], 0, s[2:3]
	v_lshl_add_u64 v[0:1], v[0:1], 2, s[4:5]
	global_load_dword v0, v[0:1], off offset:28
	s_waitcnt vmcnt(0)
	v_mul_hi_u32 v1, v0, s19
	v_add_u32_e32 v1, v0, v1
	v_lshrrev_b32_e32 v1, s24, v1
	v_cmp_gt_i32_e32 vcc, s13, v1
	s_and_b64 exec, exec, vcc
	s_cbranch_execz .LBB141_167
; %bb.166:
	v_add_u32_e32 v3, v4, v3
	v_add_u32_e32 v8, 56, v3
	ds_read2st64_b32 v[4:5], v8 offset0:49 offset1:50
	ds_read2st64_b32 v[6:7], v8 offset0:51 offset1:52
	ds_read_b32 v3, v3 offset:14136
	ds_read2st64_b32 v[8:9], v8 offset0:53 offset1:54
	v_mul_lo_u32 v10, v1, s25
	v_sub_u32_e32 v0, v0, v10
	v_mul_lo_u32 v0, v0, s10
	s_waitcnt lgkmcnt(3)
	v_add_f32_e32 v4, 0, v4
	v_add_f32_e32 v4, v4, v5
	s_waitcnt lgkmcnt(2)
	v_add_f32_e32 v4, v4, v6
	v_add_f32_e32 v4, v4, v7
	s_waitcnt lgkmcnt(0)
	v_add_f32_e32 v4, v4, v8
	v_mul_lo_u32 v1, v1, s21
	v_readlane_b32 s0, v119, 2
	v_add_f32_e32 v4, v4, v9
	v_add3_u32 v16, v2, v1, v0
	v_readlane_b32 s1, v119, 3
	v_add_f32_e32 v3, v4, v3
	s_nop 0
	v_lshl_add_u64 v[0:1], v[16:17], 2, s[0:1]
	global_store_dword v[0:1], v3, off
.LBB141_167:
	s_endpgm
	.section	.rodata,"a",@progbits
	.p2align	6, 0x0
	.amdhsa_kernel _ZL13mul_mat_f_idsI15__hip_bfloat162Li64ELi14ELi7EEvPKT_PKfPKiS7_S7_Pfiiiiiiiiiiiiii15HIP_vector_typeIjLj3EESA_
		.amdhsa_group_segment_fixed_size 0
		.amdhsa_private_segment_fixed_size 0
		.amdhsa_kernarg_size 128
		.amdhsa_user_sgpr_count 2
		.amdhsa_user_sgpr_dispatch_ptr 0
		.amdhsa_user_sgpr_queue_ptr 0
		.amdhsa_user_sgpr_kernarg_segment_ptr 1
		.amdhsa_user_sgpr_dispatch_id 0
		.amdhsa_user_sgpr_kernarg_preload_length 0
		.amdhsa_user_sgpr_kernarg_preload_offset 0
		.amdhsa_user_sgpr_private_segment_size 0
		.amdhsa_uses_dynamic_stack 0
		.amdhsa_enable_private_segment 0
		.amdhsa_system_sgpr_workgroup_id_x 1
		.amdhsa_system_sgpr_workgroup_id_y 1
		.amdhsa_system_sgpr_workgroup_id_z 1
		.amdhsa_system_sgpr_workgroup_info 0
		.amdhsa_system_vgpr_workitem_id 1
		.amdhsa_next_free_vgpr 120
		.amdhsa_next_free_sgpr 100
		.amdhsa_accum_offset 120
		.amdhsa_reserve_vcc 1
		.amdhsa_float_round_mode_32 0
		.amdhsa_float_round_mode_16_64 0
		.amdhsa_float_denorm_mode_32 3
		.amdhsa_float_denorm_mode_16_64 3
		.amdhsa_dx10_clamp 1
		.amdhsa_ieee_mode 1
		.amdhsa_fp16_overflow 0
		.amdhsa_tg_split 0
		.amdhsa_exception_fp_ieee_invalid_op 0
		.amdhsa_exception_fp_denorm_src 0
		.amdhsa_exception_fp_ieee_div_zero 0
		.amdhsa_exception_fp_ieee_overflow 0
		.amdhsa_exception_fp_ieee_underflow 0
		.amdhsa_exception_fp_ieee_inexact 0
		.amdhsa_exception_int_div_zero 0
	.end_amdhsa_kernel
	.section	.text._ZL13mul_mat_f_idsI15__hip_bfloat162Li64ELi14ELi7EEvPKT_PKfPKiS7_S7_Pfiiiiiiiiiiiiii15HIP_vector_typeIjLj3EESA_,"axG",@progbits,_ZL13mul_mat_f_idsI15__hip_bfloat162Li64ELi14ELi7EEvPKT_PKfPKiS7_S7_Pfiiiiiiiiiiiiii15HIP_vector_typeIjLj3EESA_,comdat
.Lfunc_end141:
	.size	_ZL13mul_mat_f_idsI15__hip_bfloat162Li64ELi14ELi7EEvPKT_PKfPKiS7_S7_Pfiiiiiiiiiiiiii15HIP_vector_typeIjLj3EESA_, .Lfunc_end141-_ZL13mul_mat_f_idsI15__hip_bfloat162Li64ELi14ELi7EEvPKT_PKfPKiS7_S7_Pfiiiiiiiiiiiiii15HIP_vector_typeIjLj3EESA_
                                        ; -- End function
	.section	.AMDGPU.csdata,"",@progbits
; Kernel info:
; codeLenInByte = 8680
; NumSgprs: 106
; NumVgprs: 120
; NumAgprs: 0
; TotalNumVgprs: 120
; ScratchSize: 0
; MemoryBound: 0
; FloatMode: 240
; IeeeMode: 1
; LDSByteSize: 0 bytes/workgroup (compile time only)
; SGPRBlocks: 13
; VGPRBlocks: 14
; NumSGPRsForWavesPerEU: 106
; NumVGPRsForWavesPerEU: 120
; AccumOffset: 120
; Occupancy: 4
; WaveLimiterHint : 1
; COMPUTE_PGM_RSRC2:SCRATCH_EN: 0
; COMPUTE_PGM_RSRC2:USER_SGPR: 2
; COMPUTE_PGM_RSRC2:TRAP_HANDLER: 0
; COMPUTE_PGM_RSRC2:TGID_X_EN: 1
; COMPUTE_PGM_RSRC2:TGID_Y_EN: 1
; COMPUTE_PGM_RSRC2:TGID_Z_EN: 1
; COMPUTE_PGM_RSRC2:TIDIG_COMP_CNT: 1
; COMPUTE_PGM_RSRC3_GFX90A:ACCUM_OFFSET: 29
; COMPUTE_PGM_RSRC3_GFX90A:TG_SPLIT: 0
	.section	.text._ZL9mul_mat_fI15__hip_bfloat162Li64ELi14ELi7ELb1EEvPKT_PKfPKiPfiiiiiiiiiiiiiiii,"axG",@progbits,_ZL9mul_mat_fI15__hip_bfloat162Li64ELi14ELi7ELb1EEvPKT_PKfPKiPfiiiiiiiiiiiiiiii,comdat
	.globl	_ZL9mul_mat_fI15__hip_bfloat162Li64ELi14ELi7ELb1EEvPKT_PKfPKiPfiiiiiiiiiiiiiiii ; -- Begin function _ZL9mul_mat_fI15__hip_bfloat162Li64ELi14ELi7ELb1EEvPKT_PKfPKiPfiiiiiiiiiiiiiiii
	.p2align	8
	.type	_ZL9mul_mat_fI15__hip_bfloat162Li64ELi14ELi7ELb1EEvPKT_PKfPKiPfiiiiiiiiiiiiiiii,@function
_ZL9mul_mat_fI15__hip_bfloat162Li64ELi14ELi7ELb1EEvPKT_PKfPKiPfiiiiiiiiiiiiiiii: ; @_ZL9mul_mat_fI15__hip_bfloat162Li64ELi14ELi7ELb1EEvPKT_PKfPKiPfiiiiiiiiiiiiiiii
; %bb.0:
	s_load_dwordx8 s[40:47], s[0:1], 0x20
	s_load_dwordx4 s[48:51], s[0:1], 0x44
	s_load_dword s7, s[0:1], 0x64
	s_load_dwordx2 s[8:9], s[0:1], 0x10
	v_and_b32_e32 v16, 0x3ff, v0
	v_bfe_u32 v17, v0, 10, 10
	s_waitcnt lgkmcnt(0)
	s_add_i32 s6, s41, 13
	s_mul_hi_i32 s5, s6, 0x92492493
	s_add_i32 s5, s5, s6
	s_lshr_b32 s6, s5, 31
	s_ashr_i32 s5, s5, 3
	s_add_i32 s5, s5, s6
	v_cvt_f32_u32_e32 v1, s5
	s_add_u32 s12, s0, 0x60
	s_addc_u32 s13, s1, 0
	s_sub_i32 s6, 0, s5
	v_rcp_iflag_f32_e32 v1, v1
	s_abs_i32 s22, s51
	v_mul_f32_e32 v1, 0x4f7ffffe, v1
	v_cvt_u32_f32_e32 v1, v1
	v_mul_lo_u32 v2, s6, v1
	v_mul_hi_u32 v2, v1, v2
	v_add_u32_e32 v1, v1, v2
	v_mul_hi_u32 v1, s7, v1
	v_mul_lo_u32 v2, v1, s5
	v_sub_u32_e32 v2, s7, v2
	v_add_u32_e32 v3, 1, v1
	v_subrev_u32_e32 v4, s5, v2
	v_cmp_le_u32_e32 vcc, s5, v2
	s_nop 1
	v_cndmask_b32_e32 v1, v1, v3, vcc
	v_cndmask_b32_e32 v2, v2, v4, vcc
	v_add_u32_e32 v3, 1, v1
	v_cmp_le_u32_e32 vcc, s5, v2
	s_sub_i32 s5, 0, s22
	s_nop 0
	v_cndmask_b32_e32 v1, v1, v3, vcc
	v_cvt_f32_u32_e32 v2, v1
	v_cvt_f32_u32_e32 v3, s22
	v_cmp_eq_u32_e32 vcc, 0, v16
	v_rcp_iflag_f32_e32 v2, v2
	v_rcp_iflag_f32_e32 v3, v3
	v_mul_f32_e32 v2, 0x4f7ffffe, v2
	v_cvt_u32_f32_e32 v2, v2
	v_mul_f32_e32 v3, 0x4f7ffffe, v3
	v_cvt_u32_f32_e32 v8, v3
	v_sub_u32_e32 v3, 0, v1
	v_mul_lo_u32 v3, v3, v2
	v_mul_hi_u32 v3, v2, v3
	v_add_u32_e32 v2, v2, v3
	v_mul_hi_u32 v2, s3, v2
	s_and_saveexec_b64 s[6:7], vcc
	s_cbranch_execz .LBB142_2
; %bb.1:
	v_mov_b32_e32 v3, 0x100
	v_lshl_add_u32 v3, v17, 2, v3
	v_mov_b32_e32 v4, -1
	ds_write_b32 v3, v4
.LBB142_2:
	s_or_b64 exec, exec, s[6:7]
	v_mul_lo_u32 v3, v2, v1
	v_sub_u32_e32 v3, s3, v3
	v_add_u32_e32 v4, 1, v2
	v_sub_u32_e32 v5, v3, v1
	v_cmp_ge_u32_e64 s[6:7], v3, v1
	v_mul_lo_u32 v9, s5, v8
	s_nop 0
	v_cndmask_b32_e64 v2, v2, v4, s[6:7]
	v_cndmask_b32_e64 v3, v3, v5, s[6:7]
	v_add_u32_e32 v4, 1, v2
	v_cmp_ge_u32_e64 s[6:7], v3, v1
	s_nop 1
	v_cndmask_b32_e64 v2, v2, v4, s[6:7]
	v_mul_lo_u32 v92, v2, 14
	v_mul_lo_u32 v1, v2, v1
	v_mul_hi_i32 v3, v92, s47
	v_mul_lo_u32 v2, v92, s47
	v_sub_u32_e32 v18, s3, v1
	v_lshlrev_b64 v[2:3], 2, v[2:3]
	v_add_u32_e32 v1, v17, v92
	v_lshl_add_u64 v[2:3], s[8:9], 0, v[2:3]
	v_cmp_gt_i32_e64 s[6:7], s42, v16
	v_cmp_gt_i32_e64 s[24:25], s41, v1
	v_mov_b32_e32 v1, 0
	s_and_saveexec_b64 s[14:15], s[24:25]
	s_cbranch_execz .LBB142_10
; %bb.3:
	v_mov_b32_e32 v1, 0
	s_and_saveexec_b64 s[16:17], s[6:7]
	s_cbranch_execz .LBB142_9
; %bb.4:
	v_mul_lo_u32 v4, v17, s47
	v_ashrrev_i32_e32 v5, 31, v4
	v_mov_b32_e32 v1, 0x100
	v_lshl_add_u64 v[4:5], v[4:5], 2, v[2:3]
	v_lshl_add_u32 v10, v17, 2, v1
	v_mul_lo_u32 v6, v16, s46
	s_lshl_b32 s3, s46, 6
	s_mov_b64 s[18:19], 0
	v_mov_b32_e32 v1, 0
	v_mov_b32_e32 v11, v16
	s_branch .LBB142_6
.LBB142_5:                              ;   in Loop: Header=BB142_6 Depth=1
	s_or_b64 exec, exec, s[20:21]
	v_add_u32_e32 v11, 64, v11
	v_cmp_le_i32_e64 s[10:11], s42, v11
	s_xor_b64 s[8:9], s[8:9], -1
	s_or_b64 s[8:9], s[8:9], s[10:11]
	s_and_b64 s[8:9], exec, s[8:9]
	s_or_b64 s[18:19], s[8:9], s[18:19]
	v_add_u32_e32 v6, s3, v6
	s_andn2_b64 exec, exec, s[18:19]
	s_cbranch_execz .LBB142_8
.LBB142_6:                              ; =>This Inner Loop Header: Depth=1
	v_ashrrev_i32_e32 v7, 31, v6
	v_lshl_add_u64 v[12:13], v[6:7], 2, v[4:5]
	global_load_dword v7, v[12:13], off
	s_waitcnt vmcnt(0)
	v_cmp_ne_u32_e64 s[8:9], v7, v18
	v_cmp_eq_u32_e64 s[10:11], v7, v18
	s_and_saveexec_b64 s[20:21], s[10:11]
	s_cbranch_execz .LBB142_5
; %bb.7:                                ;   in Loop: Header=BB142_6 Depth=1
	v_mov_b32_e32 v1, 1
	ds_write_b32 v10, v11
	s_branch .LBB142_5
.LBB142_8:
	s_or_b64 exec, exec, s[18:19]
.LBB142_9:
	s_or_b64 exec, exec, s[16:17]
.LBB142_10:
	s_or_b64 exec, exec, s[14:15]
	v_mul_hi_u32 v4, v8, v9
	s_and_saveexec_b64 s[8:9], vcc
	s_cbranch_execz .LBB142_12
; %bb.11:
	v_mov_b32_e32 v5, 0x100
	v_lshl_add_u32 v5, v17, 2, v5
	v_mov_b32_e32 v6, -1
	ds_write_b32 v5, v6 offset:28
.LBB142_12:
	s_or_b64 exec, exec, s[8:9]
	s_load_dwordx4 s[28:31], s[0:1], 0x54
	v_add_u32_e32 v93, 7, v17
	s_abs_i32 s3, s4
	v_add_u32_e32 v6, v8, v4
	v_add_u32_e32 v4, v93, v92
	v_cmp_gt_i32_e64 s[10:11], s41, v4
	s_mov_b64 s[8:9], exec
                                        ; implicit-def: $vgpr109 : SGPR spill to VGPR lane
	s_nop 0
	v_writelane_b32 v109, s10, 0
	s_nop 1
	v_writelane_b32 v109, s11, 1
	s_and_b64 s[10:11], s[8:9], s[10:11]
	s_mov_b64 exec, s[10:11]
	s_cbranch_execz .LBB142_20
; %bb.13:
	s_and_saveexec_b64 s[10:11], s[6:7]
	s_cbranch_execz .LBB142_19
; %bb.14:
	v_mul_lo_u32 v4, v93, s47
	v_ashrrev_i32_e32 v5, 31, v4
	v_lshl_add_u64 v[2:3], v[4:5], 2, v[2:3]
	v_mov_b32_e32 v4, 0x100
	v_lshl_add_u32 v7, v17, 2, v4
	v_mul_lo_u32 v4, v16, s46
	s_lshl_b32 s5, s46, 6
	s_mov_b64 s[14:15], 0
	v_mov_b32_e32 v8, v16
	s_branch .LBB142_16
.LBB142_15:                             ;   in Loop: Header=BB142_16 Depth=1
	s_or_b64 exec, exec, s[16:17]
	v_add_u32_e32 v8, 64, v8
	v_cmp_le_i32_e64 s[6:7], s42, v8
	s_xor_b64 s[16:17], vcc, -1
	s_or_b64 s[6:7], s[16:17], s[6:7]
	s_and_b64 s[6:7], exec, s[6:7]
	s_or_b64 s[14:15], s[6:7], s[14:15]
	v_add_u32_e32 v4, s5, v4
	s_andn2_b64 exec, exec, s[14:15]
	s_cbranch_execz .LBB142_18
.LBB142_16:                             ; =>This Inner Loop Header: Depth=1
	v_ashrrev_i32_e32 v5, 31, v4
	v_lshl_add_u64 v[10:11], v[4:5], 2, v[2:3]
	global_load_dword v5, v[10:11], off
	s_waitcnt vmcnt(0)
	v_cmp_ne_u32_e32 vcc, v5, v18
	v_cmp_eq_u32_e64 s[6:7], v5, v18
	s_and_saveexec_b64 s[16:17], s[6:7]
	s_cbranch_execz .LBB142_15
; %bb.17:                               ;   in Loop: Header=BB142_16 Depth=1
	v_mov_b32_e32 v1, 1
	ds_write_b32 v7, v8 offset:28
	s_branch .LBB142_15
.LBB142_18:
	s_or_b64 exec, exec, s[14:15]
.LBB142_19:
	s_or_b64 exec, exec, s[10:11]
.LBB142_20:
	s_or_b64 exec, exec, s[8:9]
	s_load_dwordx2 s[6:7], s[12:13], 0xc
	s_load_dwordx2 s[8:9], s[0:1], 0x8
	s_load_dwordx2 s[10:11], s[0:1], 0x18
	v_cmp_ne_u32_e32 vcc, 0, v1
	v_mul_hi_u32 v19, s3, v6
	s_waitcnt lgkmcnt(0)
	s_and_b32 s5, s7, 0xffff
	v_cndmask_b32_e64 v1, 0, 1, vcc
	v_writelane_b32 v109, s10, 2
	s_lshr_b32 s7, s6, 16
	v_or_b32_dpp v1, v1, v1 row_shl:1 row_mask:0xf bank_mask:0xf bound_ctrl:1
	s_and_b32 s6, s6, 0xffff
	v_writelane_b32 v109, s11, 3
	v_or_b32_dpp v1, v1, v1 row_shl:2 row_mask:0xf bank_mask:0xf bound_ctrl:1
	s_mul_i32 s10, s7, s6
	s_bfe_i32 s10, s10, 0x180000
	v_or_b32_dpp v1, v1, v1 row_shl:4 row_mask:0xf bank_mask:0xf bound_ctrl:1
	s_mul_i32 s5, s10, s5
	s_add_i32 s10, s5, 63
	v_or_b32_dpp v1, v1, v1 row_shl:8 row_mask:0xf bank_mask:0xf bound_ctrl:1
	s_bitcmp1_b32 exec_hi, 0
                                        ; kill: killed $sgpr12 killed $sgpr13
	s_nop 0
	v_mov_b32_dpp v2, v1 wave_shl:1 row_mask:0xf bank_mask:0xf bound_ctrl:1
	s_nop 1
	v_or_b32_dpp v1, v2, v1 row_mirror row_mask:0xf bank_mask:0xf bound_ctrl:1
	s_nop 0
	v_readlane_b32 s5, v1, 32
	s_cselect_b32 s5, s5, 0
	v_readlane_b32 s11, v1, 0
	s_or_b32 s5, s5, s11
	s_andn2_b32 s10, s10, 63
	s_cmp_lg_u32 s10, 64
	v_mov_b32_e32 v1, s5
	s_cbranch_scc0 .LBB142_27
; %bb.21:
	v_bfe_u32 v0, v0, 20, 10
	v_mbcnt_lo_u32_b32 v1, -1, 0
	v_mad_u32_u24 v0, v0, s7, v17
	v_mbcnt_hi_u32_b32 v2, -1, v1
	v_mad_u64_u32 v[0:1], s[6:7], v0, s6, v[16:17]
	v_lshrrev_b32_e32 v1, 6, v0
	v_or_b32_e32 v1, v2, v1
	v_cmp_eq_u32_e32 vcc, 0, v1
	s_and_saveexec_b64 s[6:7], vcc
	s_cbranch_execz .LBB142_23
; %bb.22:
	v_mov_b32_e32 v1, 0
	v_mov_b32_e32 v3, s5
	ds_write_b32 v1, v3
.LBB142_23:
	s_or_b64 exec, exec, s[6:7]
	v_cmp_eq_u32_e32 vcc, 0, v2
	v_cmp_lt_u32_e64 s[6:7], 63, v0
	s_and_b64 s[10:11], s[6:7], vcc
	s_waitcnt lgkmcnt(0)
	s_barrier
	s_and_saveexec_b64 s[6:7], s[10:11]
	s_cbranch_execz .LBB142_26
; %bb.24:
	v_mbcnt_lo_u32_b32 v0, exec_lo, 0
	v_mbcnt_hi_u32_b32 v0, exec_hi, v0
	v_cmp_eq_u32_e32 vcc, 0, v0
	s_and_b64 exec, exec, vcc
	s_cbranch_execz .LBB142_26
; %bb.25:
	v_mov_b32_e32 v0, 0
	v_mov_b32_e32 v1, s5
	ds_or_b32 v0, v1
.LBB142_26:
	s_or_b64 exec, exec, s[6:7]
	v_mov_b32_e32 v0, 0
	s_waitcnt lgkmcnt(0)
	s_barrier
	ds_read_b32 v1, v0
	s_waitcnt lgkmcnt(0)
	s_barrier
.LBB142_27:
	s_load_dwordx2 s[0:1], s[0:1], 0x0
	v_cmp_ne_u32_e32 vcc, 0, v1
	s_ashr_i32 s5, s4, 31
	s_ashr_i32 s10, s51, 31
	s_cbranch_vccz .LBB142_196
; %bb.28:
	v_lshlrev_b32_e32 v94, 6, v17
	v_add_u32_e32 v96, v94, v16
	v_cmp_le_i32_e32 vcc, s40, v96
	v_and_b32_e32 v95, 15, v16
                                        ; implicit-def: $sgpr11
	s_and_saveexec_b64 s[6:7], vcc
	s_xor_b64 s[6:7], exec, s[6:7]
; %bb.29:
	v_and_b32_e32 v95, 15, v16
	s_mov_b32 s11, 0
                                        ; implicit-def: $vgpr96
                                        ; implicit-def: $vgpr19
                                        ; implicit-def: $vgpr18
; %bb.30:
	s_or_saveexec_b64 s[12:13], s[6:7]
	s_lshl_b32 s6, s2, 6
	v_mov_b32_e32 v11, s11
	v_mov_b32_e32 v10, s11
	;; [unrolled: 1-line block ×16, first 2 shown]
	v_writelane_b32 v109, s12, 4
	s_nop 1
	v_writelane_b32 v109, s13, 5
	s_xor_b64 exec, exec, s[12:13]
	s_cbranch_execz .LBB142_188
; %bb.31:
	v_mul_lo_u32 v0, v19, s22
	v_sub_u32_e32 v0, s3, v0
	v_add_u32_e32 v1, 1, v19
	v_subrev_u32_e32 v2, s22, v0
	v_cmp_le_u32_e32 vcc, s22, v0
	s_xor_b32 s2, s5, s10
	v_writelane_b32 v109, s24, 6
	v_cndmask_b32_e32 v1, v19, v1, vcc
	v_cndmask_b32_e32 v0, v0, v2, vcc
	v_add_u32_e32 v2, 1, v1
	v_cmp_le_u32_e32 vcc, s22, v0
	v_writelane_b32 v109, s25, 7
	v_writelane_b32 v109, s6, 8
	v_cndmask_b32_e32 v0, v1, v2, vcc
	v_xor_b32_e32 v0, s2, v0
	v_subrev_u32_e32 v0, s2, v0
	s_mul_i32 s2, s6, s43
	v_mul_hi_i32 v1, v0, s28
	v_mul_lo_u32 v0, v0, s28
	v_mul_lo_u32 v2, v18, s48
	s_ashr_i32 s3, s2, 31
	v_ashrrev_i32_e32 v3, 31, v2
	v_lshlrev_b64 v[0:1], 2, v[0:1]
	s_lshl_b64 s[6:7], s[2:3], 2
	s_movk_i32 s2, 0x1080
	v_mov_b32_e32 v97, 0x100
	v_writelane_b32 v109, s4, 9
	s_waitcnt lgkmcnt(0)
	v_lshl_add_u64 v[4:5], s[0:1], 0, v[0:1]
	v_lshlrev_b64 v[2:3], 2, v[2:3]
	v_mad_u32_u24 v6, v17, s2, v97
	s_mul_hi_i32 s3, s29, s4
	v_writelane_b32 v109, s28, 10
	s_mul_i32 s2, s29, s4
	v_lshl_add_u64 v[4:5], v[4:5], 0, v[2:3]
	s_lshl_b64 s[2:3], s[2:3], 2
	v_lshl_add_u64 v[18:19], v[4:5], 0, s[6:7]
	v_writelane_b32 v109, s29, 11
	v_mul_hi_i32 v5, s44, v92
	v_mul_lo_u32 v4, s44, v92
	s_add_u32 s2, s8, s2
	v_writelane_b32 v109, s30, 12
	v_lshlrev_b64 v[4:5], 3, v[4:5]
	s_addc_u32 s3, s9, s3
	v_writelane_b32 v109, s31, 13
	v_lshl_add_u64 v[20:21], s[2:3], 0, v[4:5]
	s_lshl_b32 s2, s44, 3
	v_writelane_b32 v109, s2, 14
	s_mul_i32 s2, s44, 6
	v_writelane_b32 v109, s2, 15
	s_lshl_b32 s2, s44, 4
	v_writelane_b32 v109, s2, 16
	s_mul_i32 s2, s44, 10
	v_lshl_add_u64 v[0:1], v[0:1], 0, s[6:7]
	v_writelane_b32 v109, s2, 17
	s_mul_i32 s2, s44, 12
	v_lshl_add_u64 v[0:1], v[0:1], 0, v[2:3]
	v_writelane_b32 v109, s2, 18
	v_lshl_add_u64 v[0:1], s[0:1], 0, v[0:1]
	s_mul_i32 s0, s44, 26
	v_writelane_b32 v109, s0, 19
	s_mul_i32 s0, s44, 24
	v_writelane_b32 v109, s0, 20
	;; [unrolled: 2-line block ×6, first 2 shown]
	s_lshl_b32 s0, s44, 1
	v_writelane_b32 v109, s0, 25
	s_mul_i32 s0, s43, 3
	v_writelane_b32 v109, s0, 26
	s_mul_i32 s0, s43, 5
	;; [unrolled: 2-line block ×4, first 2 shown]
	v_lshrrev_b32_e32 v5, 1, v16
	v_writelane_b32 v109, s0, 29
	s_mul_i32 s0, s43, 9
	v_mul_u32_u24_e32 v4, 0x108, v95
	v_and_b32_e32 v5, 0x1f8, v5
	v_writelane_b32 v109, s0, 30
	s_mul_i32 s0, s43, 10
	v_add3_u32 v99, v6, v4, v5
	v_or_b32_e32 v26, 1, v92
	v_add_u32_e32 v27, 2, v92
	s_lshl_b32 s42, s44, 2
	v_add_u32_e32 v28, 3, v92
	v_add_u32_e32 v29, 4, v92
	;; [unrolled: 1-line block ×11, first 2 shown]
	s_ashr_i32 s3, s43, 31
	s_mov_b32 s2, s43
	v_lshlrev_b32_e32 v4, 1, v16
	v_lshlrev_b32_e32 v22, 2, v96
	v_mov_b32_e32 v23, 0
	v_writelane_b32 v109, s0, 31
	s_mul_i32 s0, s43, 11
	v_lshl_add_u32 v98, v16, 2, v6
	v_lshl_add_u32 v100, v17, 7, v4
	s_lshl_b64 s[2:3], s[2:3], 2
	v_lshl_add_u64 v[24:25], v[0:1], 0, v[22:23]
	s_lshl_b32 s66, s43, 1
	s_lshl_b32 s68, s43, 2
	;; [unrolled: 1-line block ×3, first 2 shown]
	v_writelane_b32 v109, s0, 32
	s_mul_i32 s76, s43, 12
	s_mul_i32 s77, s43, 13
	s_mul_i32 s78, s43, 14
	s_mul_i32 s79, s43, 15
	s_lshl_b32 s80, s43, 4
	s_mul_i32 s81, s43, 17
	s_mul_i32 s82, s43, 18
	;; [unrolled: 1-line block ×15, first 2 shown]
	s_lshl_b32 s96, s43, 5
	s_mul_i32 s97, s43, 33
	s_mul_i32 s98, s43, 34
	;; [unrolled: 1-line block ×22, first 2 shown]
	v_cmp_gt_i32_e64 s[0:1], s41, v92
	s_mul_i32 s33, s43, 55
	s_mul_i32 s48, s43, 56
	v_mov_b32_e32 v12, 0
	v_mov_b32_e32 v13, v23
	;; [unrolled: 1-line block ×16, first 2 shown]
	s_mul_i32 s55, s43, 57
	s_mul_i32 s44, s43, 58
	;; [unrolled: 1-line block ×7, first 2 shown]
	s_mov_b32 s73, 0x7f800000
	s_movk_i32 s74, 0x7fff
	s_mov_b32 s75, 0x7060302
	v_cmp_gt_i32_e64 s[6:7], s41, v26
	v_cmp_gt_i32_e64 s[8:9], s41, v27
	;; [unrolled: 1-line block ×13, first 2 shown]
	s_mov_b32 s41, s42
	s_mov_b64 s[42:43], 0
	s_mov_b64 s[52:53], 0x700
	s_branch .LBB142_33
.LBB142_32:                             ;   in Loop: Header=BB142_33 Depth=1
	s_or_b64 exec, exec, s[56:57]
	v_perm_b32 v22, v90, v22, s75
	v_add_u32_e32 v90, 0xc00, v98
	ds_write2_b32 v90, v22, v23 offset0:106 offset1:172
	ds_write_b32 v98, v23 offset:4024
	ds_read2_b64 v[102:105], v99 offset0:8 offset1:12
	v_add_u32_e32 v96, 0x1c0, v96
	v_cmp_le_i32_e32 vcc, s40, v96
	v_add_u32_e32 v100, 0x380, v100
	s_waitcnt lgkmcnt(0)
	v_mfma_f32_16x16x16_bf16 v[4:7], v[58:59], v[102:103], v[4:7]
	v_lshl_add_u64 v[24:25], v[24:25], 0, s[52:53]
	s_or_b64 s[42:43], vcc, s[42:43]
	v_mfma_f32_16x16x16_bf16 v[8:11], v[42:43], v[102:103], v[8:11]
	v_mfma_f32_16x16x16_bf16 v[0:3], v[74:75], v[102:103], v[0:3]
	v_mfma_f32_16x16x16_bf16 v[12:15], v[88:89], v[102:103], v[12:15]
	v_mfma_f32_16x16x16_bf16 v[4:7], v[56:57], v[104:105], v[4:7]
	ds_read2_b64 v[56:59], v99 offset0:16 offset1:20
	v_mfma_f32_16x16x16_bf16 v[8:11], v[38:39], v[104:105], v[8:11]
	v_mfma_f32_16x16x16_bf16 v[0:3], v[72:73], v[104:105], v[0:3]
	v_mfma_f32_16x16x16_bf16 v[12:15], v[86:87], v[104:105], v[12:15]
	s_waitcnt lgkmcnt(0)
	v_mfma_f32_16x16x16_bf16 v[8:11], v[36:37], v[56:57], v[8:11]
	v_mfma_f32_16x16x16_bf16 v[4:7], v[52:53], v[56:57], v[4:7]
	v_mfma_f32_16x16x16_bf16 v[0:3], v[70:71], v[56:57], v[0:3]
	v_mfma_f32_16x16x16_bf16 v[12:15], v[82:83], v[56:57], v[12:15]
	v_mfma_f32_16x16x16_bf16 v[8:11], v[34:35], v[58:59], v[8:11]
	ds_read2_b64 v[34:37], v99 offset0:24 offset1:28
	v_mfma_f32_16x16x16_bf16 v[4:7], v[50:51], v[58:59], v[4:7]
	v_mfma_f32_16x16x16_bf16 v[0:3], v[68:69], v[58:59], v[0:3]
	v_mfma_f32_16x16x16_bf16 v[12:15], v[78:79], v[58:59], v[12:15]
	s_waitcnt lgkmcnt(0)
	v_mfma_f32_16x16x16_bf16 v[8:11], v[32:33], v[34:35], v[8:11]
	;; [unrolled: 10-line block ×3, first 2 shown]
	v_mfma_f32_16x16x16_bf16 v[4:7], v[44:45], v[30:31], v[4:7]
	v_mfma_f32_16x16x16_bf16 v[0:3], v[60:61], v[30:31], v[0:3]
	v_mfma_f32_16x16x16_bf16 v[12:15], v[76:77], v[30:31], v[12:15]
	v_mfma_f32_16x16x16_bf16 v[8:11], v[26:27], v[32:33], v[8:11]
	v_mfma_f32_16x16x16_bf16 v[4:7], v[40:41], v[32:33], v[4:7]
	v_mfma_f32_16x16x16_bf16 v[0:3], v[54:55], v[32:33], v[0:3]
	v_mfma_f32_16x16x16_bf16 v[12:15], v[64:65], v[32:33], v[12:15]
	s_andn2_b64 exec, exec, s[42:43]
	s_cbranch_execz .LBB142_187
.LBB142_33:                             ; =>This Inner Loop Header: Depth=1
	v_readlane_b32 s56, v109, 26
	v_lshl_add_u64 v[26:27], v[24:25], 0, s[2:3]
	global_load_dword v22, v[24:25], off
	global_load_dword v52, v[26:27], off
	v_add_u32_e32 v28, s56, v96
	v_readlane_b32 s56, v109, 27
	v_add_u32_e32 v26, s66, v96
	v_ashrrev_i32_e32 v27, 31, v26
	v_add_u32_e32 v32, s56, v96
	v_readlane_b32 s56, v109, 28
	v_add_u32_e32 v30, s68, v96
	v_lshl_add_u64 v[26:27], v[26:27], 2, v[18:19]
	v_add_u32_e32 v34, s56, v96
	v_readlane_b32 s56, v109, 29
	v_ashrrev_i32_e32 v29, 31, v28
	v_ashrrev_i32_e32 v31, 31, v30
	v_add_u32_e32 v36, s56, v96
	v_ashrrev_i32_e32 v33, 31, v32
	v_ashrrev_i32_e32 v35, 31, v34
	;; [unrolled: 1-line block ×3, first 2 shown]
	v_lshl_add_u64 v[28:29], v[28:29], 2, v[18:19]
	v_lshl_add_u64 v[30:31], v[30:31], 2, v[18:19]
	;; [unrolled: 1-line block ×5, first 2 shown]
	global_load_dword v53, v[26:27], off
	global_load_dword v54, v[28:29], off
	;; [unrolled: 1-line block ×6, first 2 shown]
	v_readlane_b32 s56, v109, 30
	v_add_u32_e32 v26, s72, v96
	v_add_u32_e32 v44, s81, v96
	v_add_u32_e32 v28, s56, v96
	v_readlane_b32 s56, v109, 31
	v_add_u32_e32 v34, s76, v96
	v_add_u32_e32 v36, s77, v96
	v_add_u32_e32 v30, s56, v96
	;; [unrolled: 4-line block ×3, first 2 shown]
	v_add_u32_e32 v42, s80, v96
	v_ashrrev_i32_e32 v27, 31, v26
	v_ashrrev_i32_e32 v45, 31, v44
	;; [unrolled: 1-line block ×10, first 2 shown]
	v_lshl_add_u64 v[26:27], v[26:27], 2, v[18:19]
	v_lshl_add_u64 v[44:45], v[44:45], 2, v[18:19]
	v_add_u32_e32 v46, s82, v96
	v_add_u32_e32 v48, s83, v96
	;; [unrolled: 1-line block ×3, first 2 shown]
	v_lshl_add_u64 v[28:29], v[28:29], 2, v[18:19]
	v_lshl_add_u64 v[30:31], v[30:31], 2, v[18:19]
	;; [unrolled: 1-line block ×8, first 2 shown]
	global_load_dword v59, v[26:27], off
	global_load_dword v60, v[28:29], off
	;; [unrolled: 1-line block ×9, first 2 shown]
	s_nop 0
	global_load_dword v44, v[44:45], off
	v_add_u32_e32 v26, s85, v96
	v_ashrrev_i32_e32 v47, 31, v46
	v_ashrrev_i32_e32 v49, 31, v48
	;; [unrolled: 1-line block ×4, first 2 shown]
	v_add_u32_e32 v28, s86, v96
	v_add_u32_e32 v30, s87, v96
	v_add_u32_e32 v32, s88, v96
	v_add_u32_e32 v34, s89, v96
	v_lshl_add_u64 v[46:47], v[46:47], 2, v[18:19]
	v_lshl_add_u64 v[48:49], v[48:49], 2, v[18:19]
	;; [unrolled: 1-line block ×4, first 2 shown]
	v_ashrrev_i32_e32 v29, 31, v28
	v_ashrrev_i32_e32 v31, 31, v30
	;; [unrolled: 1-line block ×4, first 2 shown]
	v_lshl_add_u64 v[28:29], v[28:29], 2, v[18:19]
	v_lshl_add_u64 v[30:31], v[30:31], 2, v[18:19]
	;; [unrolled: 1-line block ×4, first 2 shown]
	v_add_u32_e32 v36, s95, v96
	v_add_u32_e32 v38, s96, v96
	s_waitcnt vmcnt(17)
	ds_write_b32 v98, v22 offset:64
	s_waitcnt vmcnt(16)
	ds_write_b32 v98, v52 offset:328
	;; [unrolled: 2-line block ×8, first 2 shown]
	global_load_dword v22, v[46:47], off
	global_load_dword v45, v[48:49], off
	s_nop 0
	global_load_dword v46, v[50:51], off
	global_load_dword v47, v[26:27], off
	;; [unrolled: 1-line block ×4, first 2 shown]
	s_nop 0
	global_load_dword v50, v[32:33], off
	global_load_dword v51, v[34:35], off
	v_add_u32_e32 v26, s90, v96
	v_ashrrev_i32_e32 v27, 31, v26
	v_add_u32_e32 v28, s91, v96
	v_add_u32_e32 v30, s92, v96
	v_add_u32_e32 v32, s93, v96
	v_add_u32_e32 v34, s94, v96
	v_add_u32_e32 v40, s97, v96
	v_lshl_add_u64 v[26:27], v[26:27], 2, v[18:19]
	v_ashrrev_i32_e32 v29, 31, v28
	v_ashrrev_i32_e32 v31, 31, v30
	v_ashrrev_i32_e32 v33, 31, v32
	v_ashrrev_i32_e32 v35, 31, v34
	v_ashrrev_i32_e32 v37, 31, v36
	v_ashrrev_i32_e32 v39, 31, v38
	v_ashrrev_i32_e32 v41, 31, v40
	v_lshl_add_u64 v[28:29], v[28:29], 2, v[18:19]
	v_lshl_add_u64 v[30:31], v[30:31], 2, v[18:19]
	v_lshl_add_u64 v[32:33], v[32:33], 2, v[18:19]
	v_lshl_add_u64 v[34:35], v[34:35], 2, v[18:19]
	v_lshl_add_u64 v[36:37], v[36:37], 2, v[18:19]
	v_lshl_add_u64 v[38:39], v[38:39], 2, v[18:19]
	v_lshl_add_u64 v[40:41], v[40:41], 2, v[18:19]
	global_load_dword v52, v[26:27], off
	global_load_dword v53, v[28:29], off
	global_load_dword v54, v[30:31], off
	global_load_dword v55, v[32:33], off
	global_load_dword v56, v[34:35], off
	global_load_dword v57, v[36:37], off
	global_load_dword v68, v[38:39], off
	global_load_dword v69, v[40:41], off
	v_add_u32_e32 v26, s98, v96
	v_ashrrev_i32_e32 v27, 31, v26
	v_add_u32_e32 v28, s99, v96
	v_add_u32_e32 v30, s38, v96
	v_add_u32_e32 v32, s39, v96
	v_add_u32_e32 v34, s5, v96
	v_add_u32_e32 v36, s54, v96
	v_add_u32_e32 v38, s51, v96
	v_add_u32_e32 v40, s58, v96
	v_lshl_add_u64 v[26:27], v[26:27], 2, v[18:19]
	v_ashrrev_i32_e32 v29, 31, v28
	v_ashrrev_i32_e32 v31, 31, v30
	v_ashrrev_i32_e32 v33, 31, v32
	v_ashrrev_i32_e32 v35, 31, v34
	v_ashrrev_i32_e32 v37, 31, v36
	v_ashrrev_i32_e32 v39, 31, v38
	v_ashrrev_i32_e32 v41, 31, v40
	v_lshl_add_u64 v[28:29], v[28:29], 2, v[18:19]
	v_lshl_add_u64 v[30:31], v[30:31], 2, v[18:19]
	v_lshl_add_u64 v[32:33], v[32:33], 2, v[18:19]
	v_lshl_add_u64 v[34:35], v[34:35], 2, v[18:19]
	v_lshl_add_u64 v[36:37], v[36:37], 2, v[18:19]
	v_lshl_add_u64 v[38:39], v[38:39], 2, v[18:19]
	v_lshl_add_u64 v[40:41], v[40:41], 2, v[18:19]
	global_load_dword v70, v[26:27], off
	global_load_dword v71, v[28:29], off
	global_load_dword v72, v[30:31], off
	global_load_dword v73, v[32:33], off
	global_load_dword v74, v[34:35], off
	global_load_dword v75, v[36:37], off
	global_load_dword v76, v[38:39], off
	global_load_dword v77, v[40:41], off
	v_add_u32_e32 v26, s59, v96
	v_ashrrev_i32_e32 v27, 31, v26
	v_add_u32_e32 v28, s60, v96
	v_add_u32_e32 v30, s61, v96
	v_add_u32_e32 v32, s62, v96
	v_add_u32_e32 v34, s63, v96
	v_add_u32_e32 v36, s64, v96
	v_add_u32_e32 v38, s65, v96
	v_add_u32_e32 v40, s46, v96
	v_lshl_add_u64 v[26:27], v[26:27], 2, v[18:19]
	v_ashrrev_i32_e32 v29, 31, v28
	v_ashrrev_i32_e32 v31, 31, v30
	v_ashrrev_i32_e32 v33, 31, v32
	v_ashrrev_i32_e32 v35, 31, v34
	v_ashrrev_i32_e32 v37, 31, v36
	v_ashrrev_i32_e32 v39, 31, v38
	v_ashrrev_i32_e32 v41, 31, v40
	v_lshl_add_u64 v[28:29], v[28:29], 2, v[18:19]
	v_lshl_add_u64 v[30:31], v[30:31], 2, v[18:19]
	v_lshl_add_u64 v[32:33], v[32:33], 2, v[18:19]
	v_lshl_add_u64 v[34:35], v[34:35], 2, v[18:19]
	v_lshl_add_u64 v[36:37], v[36:37], 2, v[18:19]
	v_lshl_add_u64 v[38:39], v[38:39], 2, v[18:19]
	v_lshl_add_u64 v[40:41], v[40:41], 2, v[18:19]
	global_load_dword v78, v[26:27], off
	global_load_dword v79, v[28:29], off
	global_load_dword v80, v[30:31], off
	global_load_dword v81, v[32:33], off
	global_load_dword v82, v[34:35], off
	global_load_dword v83, v[36:37], off
	global_load_dword v84, v[38:39], off
	global_load_dword v85, v[40:41], off
	v_add_u32_e32 v26, s47, v96
	v_ashrrev_i32_e32 v27, 31, v26
	v_add_u32_e32 v28, s34, v96
	v_add_u32_e32 v30, s35, v96
	v_add_u32_e32 v32, s36, v96
	v_add_u32_e32 v34, s37, v96
	v_add_u32_e32 v36, s33, v96
	v_add_u32_e32 v38, s48, v96
	v_add_u32_e32 v40, s55, v96
	v_lshl_add_u64 v[26:27], v[26:27], 2, v[18:19]
	v_ashrrev_i32_e32 v29, 31, v28
	v_ashrrev_i32_e32 v31, 31, v30
	v_ashrrev_i32_e32 v33, 31, v32
	v_ashrrev_i32_e32 v35, 31, v34
	v_ashrrev_i32_e32 v37, 31, v36
	v_ashrrev_i32_e32 v39, 31, v38
	v_ashrrev_i32_e32 v41, 31, v40
	v_lshl_add_u64 v[28:29], v[28:29], 2, v[18:19]
	v_lshl_add_u64 v[30:31], v[30:31], 2, v[18:19]
	v_lshl_add_u64 v[32:33], v[32:33], 2, v[18:19]
	v_lshl_add_u64 v[34:35], v[34:35], 2, v[18:19]
	v_lshl_add_u64 v[36:37], v[36:37], 2, v[18:19]
	v_lshl_add_u64 v[38:39], v[38:39], 2, v[18:19]
	v_lshl_add_u64 v[40:41], v[40:41], 2, v[18:19]
	global_load_dword v86, v[26:27], off
	global_load_dword v87, v[28:29], off
	global_load_dword v88, v[30:31], off
	global_load_dword v89, v[32:33], off
	global_load_dword v90, v[34:35], off
	global_load_dword v91, v[36:37], off
	global_load_dword v101, v[38:39], off
	global_load_dword v102, v[40:41], off
	v_add_u32_e32 v26, s44, v96
	v_ashrrev_i32_e32 v27, 31, v26
	v_add_u32_e32 v28, s67, v96
	v_add_u32_e32 v30, s4, v96
	v_add_u32_e32 v32, s69, v96
	v_add_u32_e32 v34, s70, v96
	;; [unrolled: 1-line block ×3, first 2 shown]
	v_lshl_add_u64 v[26:27], v[26:27], 2, v[18:19]
	v_ashrrev_i32_e32 v29, 31, v28
	v_ashrrev_i32_e32 v31, 31, v30
	;; [unrolled: 1-line block ×5, first 2 shown]
	v_lshl_add_u64 v[28:29], v[28:29], 2, v[18:19]
	v_lshl_add_u64 v[30:31], v[30:31], 2, v[18:19]
	;; [unrolled: 1-line block ×5, first 2 shown]
	global_load_dword v103, v[26:27], off
	global_load_dword v104, v[28:29], off
	;; [unrolled: 1-line block ×6, first 2 shown]
	s_waitcnt vmcnt(55)
	ds_write_b32 v98, v59 offset:2176
	s_waitcnt vmcnt(54)
	ds_write_b32 v98, v60 offset:2440
	s_waitcnt vmcnt(53)
	ds_write_b32 v98, v61 offset:2704
	s_waitcnt vmcnt(52)
	ds_write_b32 v98, v62 offset:2968
	s_waitcnt vmcnt(51)
	ds_write_b32 v98, v63 offset:3232
	s_waitcnt vmcnt(50)
	ds_write_b32 v98, v64 offset:3496
	s_waitcnt vmcnt(49)
	ds_write_b32 v98, v65 offset:3760
	s_waitcnt vmcnt(48)
	ds_write_b32 v98, v66 offset:4024
	ds_read_b64 v[42:43], v99 offset:64
	ds_read_b64 v[38:39], v99 offset:96
	ds_read_b64 v[36:37], v99 offset:128
	ds_read_b64 v[34:35], v99 offset:160
	ds_read_b64 v[32:33], v99 offset:192
	ds_read_b64 v[30:31], v99 offset:224
	ds_read_b64 v[28:29], v99 offset:256
	ds_read_b64 v[26:27], v99 offset:288
	s_waitcnt vmcnt(47)
	ds_write_b32 v98, v67 offset:64
	s_waitcnt vmcnt(46)
	ds_write_b32 v98, v44 offset:328
	s_waitcnt vmcnt(45)
	ds_write_b32 v98, v22 offset:592
	s_waitcnt vmcnt(44)
	ds_write_b32 v98, v45 offset:856
	s_waitcnt vmcnt(43)
	ds_write_b32 v98, v46 offset:1120
	s_waitcnt vmcnt(42)
	ds_write_b32 v98, v47 offset:1384
	s_waitcnt vmcnt(41)
	ds_write_b32 v98, v48 offset:1648
	s_waitcnt vmcnt(40)
	ds_write_b32 v98, v49 offset:1912
	s_waitcnt vmcnt(39)
	ds_write_b32 v98, v50 offset:2176
	s_waitcnt vmcnt(38)
	ds_write_b32 v98, v51 offset:2440
	s_waitcnt vmcnt(37)
	ds_write_b32 v98, v52 offset:2704
	s_waitcnt vmcnt(36)
	ds_write_b32 v98, v53 offset:2968
	s_waitcnt vmcnt(35)
	ds_write_b32 v98, v54 offset:3232
	s_waitcnt vmcnt(34)
	ds_write_b32 v98, v55 offset:3496
	s_waitcnt vmcnt(33)
	ds_write_b32 v98, v56 offset:3760
	s_waitcnt vmcnt(32)
	ds_write_b32 v98, v57 offset:4024
	ds_read_b64 v[58:59], v99 offset:64
	ds_read_b64 v[56:57], v99 offset:96
	ds_read_b64 v[52:53], v99 offset:128
	ds_read_b64 v[50:51], v99 offset:160
	ds_read_b64 v[48:49], v99 offset:192
	ds_read_b64 v[46:47], v99 offset:224
	ds_read_b64 v[44:45], v99 offset:256
	ds_read_b64 v[40:41], v99 offset:288
	s_waitcnt vmcnt(31)
	ds_write_b32 v98, v68 offset:64
	s_waitcnt vmcnt(30)
	ds_write_b32 v98, v69 offset:328
	s_waitcnt vmcnt(29)
	ds_write_b32 v98, v70 offset:592
	s_waitcnt vmcnt(28)
	ds_write_b32 v98, v71 offset:856
	s_waitcnt vmcnt(27)
	ds_write_b32 v98, v72 offset:1120
	s_waitcnt vmcnt(26)
	ds_write_b32 v98, v73 offset:1384
	s_waitcnt vmcnt(25)
	ds_write_b32 v98, v74 offset:1648
	s_waitcnt vmcnt(24)
	ds_write_b32 v98, v75 offset:1912
	;; [unrolled: 40-line block ×3, first 2 shown]
	s_waitcnt vmcnt(7)
	ds_write_b32 v98, v101 offset:2176
	s_waitcnt vmcnt(6)
	ds_write_b32 v98, v102 offset:2440
	;; [unrolled: 2-line block ×8, first 2 shown]
	ds_read_b64 v[88:89], v99 offset:64
	ds_read_b64 v[86:87], v99 offset:96
	;; [unrolled: 1-line block ×8, first 2 shown]
	s_andn2_b64 vcc, exec, s[0:1]
	v_mov_b32_e32 v90, 0
	v_mov_b32_e32 v91, 0
	s_cbranch_vccnz .LBB142_36
; %bb.34:                               ;   in Loop: Header=BB142_33 Depth=1
	ds_read_b32 v22, v97
	v_mov_b32_e32 v91, 0
	v_mov_b32_e32 v90, 0
	s_waitcnt lgkmcnt(0)
	v_cmp_gt_i32_e32 vcc, 0, v22
	s_cbranch_vccnz .LBB142_36
; %bb.35:                               ;   in Loop: Header=BB142_33 Depth=1
	v_mul_lo_u32 v22, v22, s49
	v_add_u32_e32 v90, v100, v22
	v_ashrrev_i32_e32 v91, 31, v90
	v_lshl_add_u64 v[90:91], v[90:91], 2, v[20:21]
	global_load_dwordx2 v[90:91], v[90:91], off
.LBB142_36:                             ;   in Loop: Header=BB142_33 Depth=1
	s_waitcnt vmcnt(0)
	v_and_b32_e32 v22, 0x7f800000, v90
	v_cmp_ne_u32_e32 vcc, s73, v22
                                        ; implicit-def: $vgpr22
	s_and_saveexec_b64 s[56:57], vcc
	s_xor_b64 s[56:57], exec, s[56:57]
; %bb.37:                               ;   in Loop: Header=BB142_33 Depth=1
	v_bfe_u32 v22, v90, 16, 1
	v_add3_u32 v22, v90, v22, s74
; %bb.38:                               ;   in Loop: Header=BB142_33 Depth=1
	s_andn2_saveexec_b64 s[56:57], s[56:57]
; %bb.39:                               ;   in Loop: Header=BB142_33 Depth=1
	v_or_b32_e32 v22, 0x10000, v90
	v_cmp_eq_u32_sdwa vcc, v90, v23 src0_sel:WORD_0 src1_sel:DWORD
	s_nop 1
	v_cndmask_b32_e32 v22, v22, v90, vcc
; %bb.40:                               ;   in Loop: Header=BB142_33 Depth=1
	s_or_b64 exec, exec, s[56:57]
	v_and_b32_e32 v90, 0x7f800000, v91
	v_cmp_ne_u32_e32 vcc, s73, v90
                                        ; implicit-def: $vgpr90
	s_and_saveexec_b64 s[56:57], vcc
	s_xor_b64 s[56:57], exec, s[56:57]
; %bb.41:                               ;   in Loop: Header=BB142_33 Depth=1
	v_bfe_u32 v90, v91, 16, 1
	v_add3_u32 v90, v91, v90, s74
                                        ; implicit-def: $vgpr91
; %bb.42:                               ;   in Loop: Header=BB142_33 Depth=1
	s_andn2_saveexec_b64 s[56:57], s[56:57]
; %bb.43:                               ;   in Loop: Header=BB142_33 Depth=1
	v_or_b32_e32 v90, 0x10000, v91
	v_cmp_eq_u32_sdwa vcc, v91, v23 src0_sel:WORD_0 src1_sel:DWORD
	s_nop 1
	v_cndmask_b32_e32 v90, v90, v91, vcc
; %bb.44:                               ;   in Loop: Header=BB142_33 Depth=1
	s_or_b64 exec, exec, s[56:57]
	v_perm_b32 v22, v90, v22, s75
	s_andn2_b64 vcc, exec, s[6:7]
	v_mov_b32_e32 v90, 0
	v_mov_b32_e32 v91, 0
	ds_write_b32 v98, v22 offset:64
	s_cbranch_vccnz .LBB142_47
; %bb.45:                               ;   in Loop: Header=BB142_33 Depth=1
	ds_read_b32 v22, v97 offset:4
	v_mov_b32_e32 v91, 0
	v_mov_b32_e32 v90, 0
	s_waitcnt lgkmcnt(0)
	v_cmp_gt_i32_e32 vcc, 0, v22
	s_cbranch_vccnz .LBB142_47
; %bb.46:                               ;   in Loop: Header=BB142_33 Depth=1
	v_mul_lo_u32 v22, v22, s49
	v_readlane_b32 s56, v109, 25
	s_nop 1
	v_add_u32_e32 v22, s56, v22
	v_add_u32_e32 v90, v22, v100
	v_ashrrev_i32_e32 v91, 31, v90
	v_lshl_add_u64 v[90:91], v[90:91], 2, v[20:21]
	global_load_dwordx2 v[90:91], v[90:91], off
.LBB142_47:                             ;   in Loop: Header=BB142_33 Depth=1
	s_waitcnt vmcnt(0)
	v_and_b32_e32 v22, 0x7f800000, v90
	v_cmp_ne_u32_e32 vcc, s73, v22
                                        ; implicit-def: $vgpr22
	s_and_saveexec_b64 s[56:57], vcc
	s_xor_b64 s[56:57], exec, s[56:57]
; %bb.48:                               ;   in Loop: Header=BB142_33 Depth=1
	v_bfe_u32 v22, v90, 16, 1
	v_add3_u32 v22, v90, v22, s74
; %bb.49:                               ;   in Loop: Header=BB142_33 Depth=1
	s_andn2_saveexec_b64 s[56:57], s[56:57]
; %bb.50:                               ;   in Loop: Header=BB142_33 Depth=1
	v_or_b32_e32 v22, 0x10000, v90
	v_cmp_eq_u32_sdwa vcc, v90, v23 src0_sel:WORD_0 src1_sel:DWORD
	s_nop 1
	v_cndmask_b32_e32 v22, v22, v90, vcc
; %bb.51:                               ;   in Loop: Header=BB142_33 Depth=1
	s_or_b64 exec, exec, s[56:57]
	v_and_b32_e32 v90, 0x7f800000, v91
	v_cmp_ne_u32_e32 vcc, s73, v90
                                        ; implicit-def: $vgpr90
	s_and_saveexec_b64 s[56:57], vcc
	s_xor_b64 s[56:57], exec, s[56:57]
; %bb.52:                               ;   in Loop: Header=BB142_33 Depth=1
	v_bfe_u32 v90, v91, 16, 1
	v_add3_u32 v90, v91, v90, s74
                                        ; implicit-def: $vgpr91
; %bb.53:                               ;   in Loop: Header=BB142_33 Depth=1
	s_andn2_saveexec_b64 s[56:57], s[56:57]
; %bb.54:                               ;   in Loop: Header=BB142_33 Depth=1
	v_or_b32_e32 v90, 0x10000, v91
	v_cmp_eq_u32_sdwa vcc, v91, v23 src0_sel:WORD_0 src1_sel:DWORD
	s_nop 1
	v_cndmask_b32_e32 v90, v90, v91, vcc
; %bb.55:                               ;   in Loop: Header=BB142_33 Depth=1
	s_or_b64 exec, exec, s[56:57]
	v_perm_b32 v22, v90, v22, s75
	s_andn2_b64 vcc, exec, s[8:9]
	v_mov_b32_e32 v90, 0
	v_mov_b32_e32 v91, 0
	ds_write_b32 v98, v22 offset:328
	s_cbranch_vccnz .LBB142_58
; %bb.56:                               ;   in Loop: Header=BB142_33 Depth=1
	ds_read_b32 v22, v97 offset:8
	v_mov_b32_e32 v91, 0
	v_mov_b32_e32 v90, 0
	s_waitcnt lgkmcnt(0)
	v_cmp_gt_i32_e32 vcc, 0, v22
	s_cbranch_vccnz .LBB142_58
; %bb.57:                               ;   in Loop: Header=BB142_33 Depth=1
	v_mul_lo_u32 v22, v22, s49
	v_add_u32_e32 v22, s41, v22
	v_add_u32_e32 v90, v22, v100
	v_ashrrev_i32_e32 v91, 31, v90
	v_lshl_add_u64 v[90:91], v[90:91], 2, v[20:21]
	global_load_dwordx2 v[90:91], v[90:91], off
.LBB142_58:                             ;   in Loop: Header=BB142_33 Depth=1
	s_waitcnt vmcnt(0)
	v_and_b32_e32 v22, 0x7f800000, v90
	v_cmp_ne_u32_e32 vcc, s73, v22
                                        ; implicit-def: $vgpr22
	s_and_saveexec_b64 s[56:57], vcc
	s_xor_b64 s[56:57], exec, s[56:57]
; %bb.59:                               ;   in Loop: Header=BB142_33 Depth=1
	v_bfe_u32 v22, v90, 16, 1
	v_add3_u32 v22, v90, v22, s74
; %bb.60:                               ;   in Loop: Header=BB142_33 Depth=1
	s_andn2_saveexec_b64 s[56:57], s[56:57]
; %bb.61:                               ;   in Loop: Header=BB142_33 Depth=1
	v_or_b32_e32 v22, 0x10000, v90
	v_cmp_eq_u32_sdwa vcc, v90, v23 src0_sel:WORD_0 src1_sel:DWORD
	s_nop 1
	v_cndmask_b32_e32 v22, v22, v90, vcc
; %bb.62:                               ;   in Loop: Header=BB142_33 Depth=1
	s_or_b64 exec, exec, s[56:57]
	v_and_b32_e32 v90, 0x7f800000, v91
	v_cmp_ne_u32_e32 vcc, s73, v90
                                        ; implicit-def: $vgpr90
	s_and_saveexec_b64 s[56:57], vcc
	s_xor_b64 s[56:57], exec, s[56:57]
; %bb.63:                               ;   in Loop: Header=BB142_33 Depth=1
	v_bfe_u32 v90, v91, 16, 1
	v_add3_u32 v90, v91, v90, s74
                                        ; implicit-def: $vgpr91
; %bb.64:                               ;   in Loop: Header=BB142_33 Depth=1
	s_andn2_saveexec_b64 s[56:57], s[56:57]
; %bb.65:                               ;   in Loop: Header=BB142_33 Depth=1
	v_or_b32_e32 v90, 0x10000, v91
	v_cmp_eq_u32_sdwa vcc, v91, v23 src0_sel:WORD_0 src1_sel:DWORD
	s_nop 1
	v_cndmask_b32_e32 v90, v90, v91, vcc
; %bb.66:                               ;   in Loop: Header=BB142_33 Depth=1
	s_or_b64 exec, exec, s[56:57]
	v_perm_b32 v22, v90, v22, s75
	s_andn2_b64 vcc, exec, s[10:11]
	v_mov_b32_e32 v90, 0
	v_mov_b32_e32 v91, 0
	ds_write_b32 v98, v22 offset:592
	s_cbranch_vccnz .LBB142_69
; %bb.67:                               ;   in Loop: Header=BB142_33 Depth=1
	ds_read_b32 v22, v97 offset:12
	v_mov_b32_e32 v91, 0
	v_mov_b32_e32 v90, 0
	s_waitcnt lgkmcnt(0)
	v_cmp_gt_i32_e32 vcc, 0, v22
	s_cbranch_vccnz .LBB142_69
; %bb.68:                               ;   in Loop: Header=BB142_33 Depth=1
	v_mul_lo_u32 v22, v22, s49
	v_readlane_b32 s56, v109, 15
	s_nop 1
	v_add_u32_e32 v22, s56, v22
	v_add_u32_e32 v90, v22, v100
	v_ashrrev_i32_e32 v91, 31, v90
	v_lshl_add_u64 v[90:91], v[90:91], 2, v[20:21]
	global_load_dwordx2 v[90:91], v[90:91], off
.LBB142_69:                             ;   in Loop: Header=BB142_33 Depth=1
	s_waitcnt vmcnt(0)
	v_and_b32_e32 v22, 0x7f800000, v90
	v_cmp_ne_u32_e32 vcc, s73, v22
                                        ; implicit-def: $vgpr22
	s_and_saveexec_b64 s[56:57], vcc
	s_xor_b64 s[56:57], exec, s[56:57]
; %bb.70:                               ;   in Loop: Header=BB142_33 Depth=1
	v_bfe_u32 v22, v90, 16, 1
	v_add3_u32 v22, v90, v22, s74
; %bb.71:                               ;   in Loop: Header=BB142_33 Depth=1
	s_andn2_saveexec_b64 s[56:57], s[56:57]
; %bb.72:                               ;   in Loop: Header=BB142_33 Depth=1
	v_or_b32_e32 v22, 0x10000, v90
	v_cmp_eq_u32_sdwa vcc, v90, v23 src0_sel:WORD_0 src1_sel:DWORD
	s_nop 1
	v_cndmask_b32_e32 v22, v22, v90, vcc
; %bb.73:                               ;   in Loop: Header=BB142_33 Depth=1
	s_or_b64 exec, exec, s[56:57]
	v_and_b32_e32 v90, 0x7f800000, v91
	v_cmp_ne_u32_e32 vcc, s73, v90
                                        ; implicit-def: $vgpr90
	s_and_saveexec_b64 s[56:57], vcc
	s_xor_b64 s[56:57], exec, s[56:57]
; %bb.74:                               ;   in Loop: Header=BB142_33 Depth=1
	v_bfe_u32 v90, v91, 16, 1
	v_add3_u32 v90, v91, v90, s74
                                        ; implicit-def: $vgpr91
; %bb.75:                               ;   in Loop: Header=BB142_33 Depth=1
	s_andn2_saveexec_b64 s[56:57], s[56:57]
; %bb.76:                               ;   in Loop: Header=BB142_33 Depth=1
	v_or_b32_e32 v90, 0x10000, v91
	v_cmp_eq_u32_sdwa vcc, v91, v23 src0_sel:WORD_0 src1_sel:DWORD
	s_nop 1
	v_cndmask_b32_e32 v90, v90, v91, vcc
; %bb.77:                               ;   in Loop: Header=BB142_33 Depth=1
	s_or_b64 exec, exec, s[56:57]
	v_perm_b32 v22, v90, v22, s75
	s_andn2_b64 vcc, exec, s[12:13]
	v_mov_b32_e32 v90, 0
	v_mov_b32_e32 v91, 0
	ds_write_b32 v98, v22 offset:856
	s_cbranch_vccnz .LBB142_80
; %bb.78:                               ;   in Loop: Header=BB142_33 Depth=1
	ds_read_b32 v22, v97 offset:16
	v_mov_b32_e32 v91, 0
	v_mov_b32_e32 v90, 0
	s_waitcnt lgkmcnt(0)
	v_cmp_gt_i32_e32 vcc, 0, v22
	s_cbranch_vccnz .LBB142_80
; %bb.79:                               ;   in Loop: Header=BB142_33 Depth=1
	v_mul_lo_u32 v22, v22, s49
	v_readlane_b32 s56, v109, 14
	s_nop 1
	v_add_u32_e32 v22, s56, v22
	v_add_u32_e32 v90, v22, v100
	v_ashrrev_i32_e32 v91, 31, v90
	v_lshl_add_u64 v[90:91], v[90:91], 2, v[20:21]
	global_load_dwordx2 v[90:91], v[90:91], off
.LBB142_80:                             ;   in Loop: Header=BB142_33 Depth=1
	;; [unrolled: 59-line block ×3, first 2 shown]
	s_waitcnt vmcnt(0)
	v_and_b32_e32 v22, 0x7f800000, v90
	v_cmp_ne_u32_e32 vcc, s73, v22
                                        ; implicit-def: $vgpr22
	s_and_saveexec_b64 s[56:57], vcc
	s_xor_b64 s[56:57], exec, s[56:57]
; %bb.92:                               ;   in Loop: Header=BB142_33 Depth=1
	v_bfe_u32 v22, v90, 16, 1
	v_add3_u32 v22, v90, v22, s74
; %bb.93:                               ;   in Loop: Header=BB142_33 Depth=1
	s_andn2_saveexec_b64 s[56:57], s[56:57]
; %bb.94:                               ;   in Loop: Header=BB142_33 Depth=1
	v_or_b32_e32 v22, 0x10000, v90
	v_cmp_eq_u32_sdwa vcc, v90, v23 src0_sel:WORD_0 src1_sel:DWORD
	s_nop 1
	v_cndmask_b32_e32 v22, v22, v90, vcc
; %bb.95:                               ;   in Loop: Header=BB142_33 Depth=1
	s_or_b64 exec, exec, s[56:57]
	v_and_b32_e32 v90, 0x7f800000, v91
	v_cmp_ne_u32_e32 vcc, s73, v90
                                        ; implicit-def: $vgpr90
	s_and_saveexec_b64 s[56:57], vcc
	s_xor_b64 s[56:57], exec, s[56:57]
; %bb.96:                               ;   in Loop: Header=BB142_33 Depth=1
	v_bfe_u32 v90, v91, 16, 1
	v_add3_u32 v90, v91, v90, s74
                                        ; implicit-def: $vgpr91
; %bb.97:                               ;   in Loop: Header=BB142_33 Depth=1
	s_andn2_saveexec_b64 s[56:57], s[56:57]
; %bb.98:                               ;   in Loop: Header=BB142_33 Depth=1
	v_or_b32_e32 v90, 0x10000, v91
	v_cmp_eq_u32_sdwa vcc, v91, v23 src0_sel:WORD_0 src1_sel:DWORD
	s_nop 1
	v_cndmask_b32_e32 v90, v90, v91, vcc
; %bb.99:                               ;   in Loop: Header=BB142_33 Depth=1
	s_or_b64 exec, exec, s[56:57]
	v_perm_b32 v22, v90, v22, s75
	s_andn2_b64 vcc, exec, s[16:17]
	v_mov_b32_e32 v90, 0
	v_mov_b32_e32 v91, 0
	ds_write_b32 v98, v22 offset:1384
	s_cbranch_vccnz .LBB142_102
; %bb.100:                              ;   in Loop: Header=BB142_33 Depth=1
	ds_read_b32 v22, v97 offset:24
	v_mov_b32_e32 v91, 0
	v_mov_b32_e32 v90, 0
	s_waitcnt lgkmcnt(0)
	v_cmp_gt_i32_e32 vcc, 0, v22
	s_cbranch_vccnz .LBB142_102
; %bb.101:                              ;   in Loop: Header=BB142_33 Depth=1
	v_mul_lo_u32 v22, v22, s49
	v_readlane_b32 s56, v109, 18
	s_nop 1
	v_add_u32_e32 v22, s56, v22
	v_add_u32_e32 v90, v22, v100
	v_ashrrev_i32_e32 v91, 31, v90
	v_lshl_add_u64 v[90:91], v[90:91], 2, v[20:21]
	global_load_dwordx2 v[90:91], v[90:91], off
.LBB142_102:                            ;   in Loop: Header=BB142_33 Depth=1
	s_waitcnt vmcnt(0)
	v_and_b32_e32 v22, 0x7f800000, v90
	v_cmp_ne_u32_e32 vcc, s73, v22
                                        ; implicit-def: $vgpr22
	s_and_saveexec_b64 s[56:57], vcc
	s_xor_b64 s[56:57], exec, s[56:57]
; %bb.103:                              ;   in Loop: Header=BB142_33 Depth=1
	v_bfe_u32 v22, v90, 16, 1
	v_add3_u32 v22, v90, v22, s74
; %bb.104:                              ;   in Loop: Header=BB142_33 Depth=1
	s_andn2_saveexec_b64 s[56:57], s[56:57]
; %bb.105:                              ;   in Loop: Header=BB142_33 Depth=1
	v_or_b32_e32 v22, 0x10000, v90
	v_cmp_eq_u32_sdwa vcc, v90, v23 src0_sel:WORD_0 src1_sel:DWORD
	s_nop 1
	v_cndmask_b32_e32 v22, v22, v90, vcc
; %bb.106:                              ;   in Loop: Header=BB142_33 Depth=1
	s_or_b64 exec, exec, s[56:57]
	v_and_b32_e32 v90, 0x7f800000, v91
	v_cmp_ne_u32_e32 vcc, s73, v90
                                        ; implicit-def: $vgpr90
	s_and_saveexec_b64 s[56:57], vcc
	s_xor_b64 s[56:57], exec, s[56:57]
; %bb.107:                              ;   in Loop: Header=BB142_33 Depth=1
	v_bfe_u32 v90, v91, 16, 1
	v_add3_u32 v90, v91, v90, s74
                                        ; implicit-def: $vgpr91
; %bb.108:                              ;   in Loop: Header=BB142_33 Depth=1
	s_andn2_saveexec_b64 s[56:57], s[56:57]
; %bb.109:                              ;   in Loop: Header=BB142_33 Depth=1
	v_or_b32_e32 v90, 0x10000, v91
	v_cmp_eq_u32_sdwa vcc, v91, v23 src0_sel:WORD_0 src1_sel:DWORD
	s_nop 1
	v_cndmask_b32_e32 v90, v90, v91, vcc
; %bb.110:                              ;   in Loop: Header=BB142_33 Depth=1
	s_or_b64 exec, exec, s[56:57]
	v_perm_b32 v22, v90, v22, s75
	s_andn2_b64 vcc, exec, s[18:19]
	v_mov_b32_e32 v90, 0
	v_mov_b32_e32 v91, 0
	ds_write_b32 v98, v22 offset:1648
	s_cbranch_vccnz .LBB142_113
; %bb.111:                              ;   in Loop: Header=BB142_33 Depth=1
	ds_read_b32 v22, v97 offset:28
	v_mov_b32_e32 v91, 0
	v_mov_b32_e32 v90, 0
	s_waitcnt lgkmcnt(0)
	v_cmp_gt_i32_e32 vcc, 0, v22
	s_cbranch_vccnz .LBB142_113
; %bb.112:                              ;   in Loop: Header=BB142_33 Depth=1
	v_mul_lo_u32 v22, v22, s49
	v_readlane_b32 s56, v109, 24
	s_nop 1
	v_add_u32_e32 v22, s56, v22
	v_add_u32_e32 v90, v22, v100
	v_ashrrev_i32_e32 v91, 31, v90
	v_lshl_add_u64 v[90:91], v[90:91], 2, v[20:21]
	global_load_dwordx2 v[90:91], v[90:91], off
.LBB142_113:                            ;   in Loop: Header=BB142_33 Depth=1
	s_waitcnt vmcnt(0)
	v_and_b32_e32 v22, 0x7f800000, v90
	v_cmp_ne_u32_e32 vcc, s73, v22
                                        ; implicit-def: $vgpr22
	s_and_saveexec_b64 s[56:57], vcc
	s_xor_b64 s[56:57], exec, s[56:57]
; %bb.114:                              ;   in Loop: Header=BB142_33 Depth=1
	v_bfe_u32 v22, v90, 16, 1
	v_add3_u32 v22, v90, v22, s74
; %bb.115:                              ;   in Loop: Header=BB142_33 Depth=1
	s_andn2_saveexec_b64 s[56:57], s[56:57]
; %bb.116:                              ;   in Loop: Header=BB142_33 Depth=1
	v_or_b32_e32 v22, 0x10000, v90
	v_cmp_eq_u32_sdwa vcc, v90, v23 src0_sel:WORD_0 src1_sel:DWORD
	s_nop 1
	v_cndmask_b32_e32 v22, v22, v90, vcc
; %bb.117:                              ;   in Loop: Header=BB142_33 Depth=1
	s_or_b64 exec, exec, s[56:57]
	v_and_b32_e32 v90, 0x7f800000, v91
	v_cmp_ne_u32_e32 vcc, s73, v90
                                        ; implicit-def: $vgpr90
	s_and_saveexec_b64 s[56:57], vcc
	s_xor_b64 s[56:57], exec, s[56:57]
; %bb.118:                              ;   in Loop: Header=BB142_33 Depth=1
	v_bfe_u32 v90, v91, 16, 1
	v_add3_u32 v90, v91, v90, s74
                                        ; implicit-def: $vgpr91
; %bb.119:                              ;   in Loop: Header=BB142_33 Depth=1
	s_andn2_saveexec_b64 s[56:57], s[56:57]
; %bb.120:                              ;   in Loop: Header=BB142_33 Depth=1
	v_or_b32_e32 v90, 0x10000, v91
	v_cmp_eq_u32_sdwa vcc, v91, v23 src0_sel:WORD_0 src1_sel:DWORD
	s_nop 1
	v_cndmask_b32_e32 v90, v90, v91, vcc
; %bb.121:                              ;   in Loop: Header=BB142_33 Depth=1
	;; [unrolled: 59-line block ×7, first 2 shown]
	s_or_b64 exec, exec, s[56:57]
	v_perm_b32 v22, v90, v22, s75
	s_andn2_b64 vcc, exec, s[30:31]
	v_mov_b32_e32 v90, 0
	v_mov_b32_e32 v91, 0
	ds_write_b32 v98, v22 offset:3232
	s_cbranch_vccnz .LBB142_179
; %bb.177:                              ;   in Loop: Header=BB142_33 Depth=1
	ds_read_b32 v22, v97 offset:52
	v_mov_b32_e32 v91, 0
	v_mov_b32_e32 v90, 0
	s_waitcnt lgkmcnt(0)
	v_cmp_gt_i32_e32 vcc, 0, v22
	s_cbranch_vccnz .LBB142_179
; %bb.178:                              ;   in Loop: Header=BB142_33 Depth=1
	v_mul_lo_u32 v22, v22, s49
	v_readlane_b32 s56, v109, 19
	s_nop 1
	v_add_u32_e32 v22, s56, v22
	v_add_u32_e32 v90, v22, v100
	v_ashrrev_i32_e32 v91, 31, v90
	v_lshl_add_u64 v[90:91], v[90:91], 2, v[20:21]
	global_load_dwordx2 v[90:91], v[90:91], off
.LBB142_179:                            ;   in Loop: Header=BB142_33 Depth=1
	s_waitcnt vmcnt(0)
	v_and_b32_e32 v22, 0x7f800000, v90
	v_cmp_ne_u32_e32 vcc, s73, v22
                                        ; implicit-def: $vgpr22
	s_and_saveexec_b64 s[56:57], vcc
	s_xor_b64 s[56:57], exec, s[56:57]
; %bb.180:                              ;   in Loop: Header=BB142_33 Depth=1
	v_bfe_u32 v22, v90, 16, 1
	v_add3_u32 v22, v90, v22, s74
; %bb.181:                              ;   in Loop: Header=BB142_33 Depth=1
	s_andn2_saveexec_b64 s[56:57], s[56:57]
; %bb.182:                              ;   in Loop: Header=BB142_33 Depth=1
	v_or_b32_e32 v22, 0x10000, v90
	v_cmp_eq_u32_sdwa vcc, v90, v23 src0_sel:WORD_0 src1_sel:DWORD
	s_nop 1
	v_cndmask_b32_e32 v22, v22, v90, vcc
; %bb.183:                              ;   in Loop: Header=BB142_33 Depth=1
	s_or_b64 exec, exec, s[56:57]
	v_and_b32_e32 v90, 0x7f800000, v91
	v_cmp_ne_u32_e32 vcc, s73, v90
                                        ; implicit-def: $vgpr90
	s_and_saveexec_b64 s[56:57], vcc
	s_xor_b64 s[56:57], exec, s[56:57]
; %bb.184:                              ;   in Loop: Header=BB142_33 Depth=1
	v_bfe_u32 v90, v91, 16, 1
	v_add3_u32 v90, v91, v90, s74
                                        ; implicit-def: $vgpr91
; %bb.185:                              ;   in Loop: Header=BB142_33 Depth=1
	s_andn2_saveexec_b64 s[56:57], s[56:57]
	s_cbranch_execz .LBB142_32
; %bb.186:                              ;   in Loop: Header=BB142_33 Depth=1
	v_or_b32_e32 v90, 0x10000, v91
	v_cmp_eq_u32_sdwa vcc, v91, v23 src0_sel:WORD_0 src1_sel:DWORD
	s_nop 1
	v_cndmask_b32_e32 v90, v90, v91, vcc
	s_branch .LBB142_32
.LBB142_187:
	s_or_b64 exec, exec, s[42:43]
	v_readlane_b32 s24, v109, 6
	v_readlane_b32 s28, v109, 10
	;; [unrolled: 1-line block ×8, first 2 shown]
.LBB142_188:
	s_waitcnt lgkmcnt(0)
	v_readlane_b32 s0, v109, 4
	v_readlane_b32 s1, v109, 5
	s_or_b64 exec, exec, s[0:1]
	v_mul_u32_u24_e32 v18, 0x708, v95
	s_movk_i32 s1, 0x100
	v_lshlrev_b32_e32 v19, 2, v94
	v_add3_u32 v18, s1, v18, v19
	v_and_b32_e32 v20, 0x3f0, v16
	v_add_u32_e32 v21, v18, v20
	s_barrier
	v_add_u32_e32 v19, 64, v18
	ds_write2_b32 v21, v8, v9 offset0:16 offset1:17
	v_or_b32_e32 v9, 12, v16
	v_add_u32_e32 v8, v19, v20
	v_and_b32_e32 v9, 0x3fc, v9
	ds_write_b32 v8, v10 offset:8
	v_add_u32_e32 v10, v18, v9
	ds_write_b32 v10, v11 offset:64
	ds_write2_b32 v8, v4, v5 offset0:16 offset1:17
	ds_write_b32 v8, v6 offset:72
	v_add_u32_e32 v4, v19, v9
	ds_write_b32 v4, v7 offset:64
	ds_write2_b32 v8, v0, v1 offset0:32 offset1:33
	ds_write_b32 v8, v2 offset:136
	ds_write_b32 v4, v3 offset:128
	ds_write2_b32 v8, v12, v13 offset0:48 offset1:49
	ds_write_b32 v8, v14 offset:200
	ds_write_b32 v4, v15 offset:192
	v_mov_b32_e32 v0, 0x100
	s_movk_i32 s0, 0x708
	v_lshl_add_u32 v9, v16, 2, v0
	v_mad_u32_u24 v1, v17, s0, v9
	v_add_u32_e32 v4, 64, v1
	s_waitcnt lgkmcnt(0)
	s_barrier
	ds_read2_b32 v[6:7], v1 offset0:16 offset1:80
	ds_read2_b32 v[2:3], v1 offset0:144 offset1:208
	ds_read2st64_b32 v[4:5], v4 offset0:4 offset1:5
	ds_read_b32 v10, v1 offset:1600
	v_cmp_gt_u32_e32 vcc, 14, v17
	v_mov_b32_e32 v11, -1
	s_and_saveexec_b64 s[0:1], vcc
	s_cbranch_execz .LBB142_190
; %bb.189:
	v_lshl_add_u32 v0, v17, 2, v0
	ds_read_b32 v11, v0
.LBB142_190:
	s_or_b64 exec, exec, s[0:1]
	s_mul_hi_i32 s1, s30, s4
	s_mul_i32 s0, s30, s4
	s_lshl_b64 s[0:1], s[0:1], 2
	v_readlane_b32 s2, v109, 2
	v_mul_hi_i32 v1, v92, s45
	v_mul_lo_u32 v0, v92, s45
	v_readlane_b32 s3, v109, 3
	s_add_u32 s0, s2, s0
	s_addc_u32 s1, s3, s1
	v_lshlrev_b64 v[0:1], 2, v[0:1]
	s_waitcnt lgkmcnt(0)
	v_cmp_lt_i32_e32 vcc, -1, v11
	v_mul_u32_u24_e32 v12, 0x708, v17
	v_add_u32_e32 v8, s6, v16
	v_lshl_add_u64 v[0:1], s[0:1], 0, v[0:1]
	s_and_b64 s[2:3], vcc, s[24:25]
	s_and_saveexec_b64 s[0:1], s[2:3]
	s_cbranch_execz .LBB142_192
; %bb.191:
	v_add_f32_e32 v6, 0, v6
	v_add_f32_e32 v6, v6, v7
	;; [unrolled: 1-line block ×7, first 2 shown]
	v_mul_lo_u32 v2, v11, s50
	v_mul_lo_u32 v3, v17, s45
	v_add3_u32 v2, v8, v3, v2
	v_mov_b32_e32 v3, 0
	v_lshl_add_u64 v[2:3], v[2:3], 2, v[0:1]
	global_store_dword v[2:3], v4, off
.LBB142_192:
	s_or_b64 exec, exec, s[0:1]
	v_add_u32_e32 v9, v12, v9
	v_add_u32_e32 v2, 0x78, v9
	ds_read2st64_b32 v[6:7], v2 offset0:49 offset1:50
	ds_read2st64_b32 v[4:5], v2 offset0:51 offset1:52
	;; [unrolled: 1-line block ×3, first 2 shown]
	ds_read_b32 v9, v9 offset:14200
	v_cmp_gt_u32_e32 vcc, 7, v17
	v_mov_b32_e32 v10, -1
	s_and_saveexec_b64 s[0:1], vcc
	s_cbranch_execz .LBB142_194
; %bb.193:
	v_mov_b32_e32 v10, 0x100
	v_lshl_add_u32 v10, v17, 2, v10
	ds_read_b32 v10, v10 offset:28
.LBB142_194:
	s_or_b64 exec, exec, s[0:1]
	v_readlane_b32 s0, v109, 0
	s_waitcnt lgkmcnt(0)
	v_cmp_lt_i32_e32 vcc, -1, v10
	v_readlane_b32 s1, v109, 1
	s_and_b64 s[0:1], vcc, s[0:1]
	s_and_saveexec_b64 s[2:3], s[0:1]
	s_cbranch_execz .LBB142_196
; %bb.195:
	v_add_f32_e32 v6, 0, v6
	v_add_f32_e32 v6, v6, v7
	;; [unrolled: 1-line block ×7, first 2 shown]
	v_mul_lo_u32 v2, v10, s50
	v_mul_lo_u32 v3, v93, s45
	v_add3_u32 v2, v8, v3, v2
	v_mov_b32_e32 v3, 0
	v_lshl_add_u64 v[0:1], v[2:3], 2, v[0:1]
	global_store_dword v[0:1], v4, off
.LBB142_196:
	s_endpgm
	.section	.rodata,"a",@progbits
	.p2align	6, 0x0
	.amdhsa_kernel _ZL9mul_mat_fI15__hip_bfloat162Li64ELi14ELi7ELb1EEvPKT_PKfPKiPfiiiiiiiiiiiiiiii
		.amdhsa_group_segment_fixed_size 256
		.amdhsa_private_segment_fixed_size 0
		.amdhsa_kernarg_size 352
		.amdhsa_user_sgpr_count 2
		.amdhsa_user_sgpr_dispatch_ptr 0
		.amdhsa_user_sgpr_queue_ptr 0
		.amdhsa_user_sgpr_kernarg_segment_ptr 1
		.amdhsa_user_sgpr_dispatch_id 0
		.amdhsa_user_sgpr_kernarg_preload_length 0
		.amdhsa_user_sgpr_kernarg_preload_offset 0
		.amdhsa_user_sgpr_private_segment_size 0
		.amdhsa_uses_dynamic_stack 0
		.amdhsa_enable_private_segment 0
		.amdhsa_system_sgpr_workgroup_id_x 1
		.amdhsa_system_sgpr_workgroup_id_y 1
		.amdhsa_system_sgpr_workgroup_id_z 1
		.amdhsa_system_sgpr_workgroup_info 0
		.amdhsa_system_vgpr_workitem_id 2
		.amdhsa_next_free_vgpr 110
		.amdhsa_next_free_sgpr 100
		.amdhsa_accum_offset 112
		.amdhsa_reserve_vcc 1
		.amdhsa_float_round_mode_32 0
		.amdhsa_float_round_mode_16_64 0
		.amdhsa_float_denorm_mode_32 3
		.amdhsa_float_denorm_mode_16_64 3
		.amdhsa_dx10_clamp 1
		.amdhsa_ieee_mode 1
		.amdhsa_fp16_overflow 0
		.amdhsa_tg_split 0
		.amdhsa_exception_fp_ieee_invalid_op 0
		.amdhsa_exception_fp_denorm_src 0
		.amdhsa_exception_fp_ieee_div_zero 0
		.amdhsa_exception_fp_ieee_overflow 0
		.amdhsa_exception_fp_ieee_underflow 0
		.amdhsa_exception_fp_ieee_inexact 0
		.amdhsa_exception_int_div_zero 0
	.end_amdhsa_kernel
	.section	.text._ZL9mul_mat_fI15__hip_bfloat162Li64ELi14ELi7ELb1EEvPKT_PKfPKiPfiiiiiiiiiiiiiiii,"axG",@progbits,_ZL9mul_mat_fI15__hip_bfloat162Li64ELi14ELi7ELb1EEvPKT_PKfPKiPfiiiiiiiiiiiiiiii,comdat
.Lfunc_end142:
	.size	_ZL9mul_mat_fI15__hip_bfloat162Li64ELi14ELi7ELb1EEvPKT_PKfPKiPfiiiiiiiiiiiiiiii, .Lfunc_end142-_ZL9mul_mat_fI15__hip_bfloat162Li64ELi14ELi7ELb1EEvPKT_PKfPKiPfiiiiiiiiiiiiiiii
                                        ; -- End function
	.section	.AMDGPU.csdata,"",@progbits
; Kernel info:
; codeLenInByte = 9788
; NumSgprs: 106
; NumVgprs: 110
; NumAgprs: 0
; TotalNumVgprs: 110
; ScratchSize: 0
; MemoryBound: 0
; FloatMode: 240
; IeeeMode: 1
; LDSByteSize: 256 bytes/workgroup (compile time only)
; SGPRBlocks: 13
; VGPRBlocks: 13
; NumSGPRsForWavesPerEU: 106
; NumVGPRsForWavesPerEU: 110
; AccumOffset: 112
; Occupancy: 4
; WaveLimiterHint : 0
; COMPUTE_PGM_RSRC2:SCRATCH_EN: 0
; COMPUTE_PGM_RSRC2:USER_SGPR: 2
; COMPUTE_PGM_RSRC2:TRAP_HANDLER: 0
; COMPUTE_PGM_RSRC2:TGID_X_EN: 1
; COMPUTE_PGM_RSRC2:TGID_Y_EN: 1
; COMPUTE_PGM_RSRC2:TGID_Z_EN: 1
; COMPUTE_PGM_RSRC2:TIDIG_COMP_CNT: 2
; COMPUTE_PGM_RSRC3_GFX90A:ACCUM_OFFSET: 27
; COMPUTE_PGM_RSRC3_GFX90A:TG_SPLIT: 0
	.section	.text._ZL9mul_mat_fI15__hip_bfloat162Li64ELi14ELi7ELb0EEvPKT_PKfPKiPfiiiiiiiiiiiiiiii,"axG",@progbits,_ZL9mul_mat_fI15__hip_bfloat162Li64ELi14ELi7ELb0EEvPKT_PKfPKiPfiiiiiiiiiiiiiiii,comdat
	.globl	_ZL9mul_mat_fI15__hip_bfloat162Li64ELi14ELi7ELb0EEvPKT_PKfPKiPfiiiiiiiiiiiiiiii ; -- Begin function _ZL9mul_mat_fI15__hip_bfloat162Li64ELi14ELi7ELb0EEvPKT_PKfPKiPfiiiiiiiiiiiiiiii
	.p2align	8
	.type	_ZL9mul_mat_fI15__hip_bfloat162Li64ELi14ELi7ELb0EEvPKT_PKfPKiPfiiiiiiiiiiiiiiii,@function
_ZL9mul_mat_fI15__hip_bfloat162Li64ELi14ELi7ELb0EEvPKT_PKfPKiPfiiiiiiiiiiiiiiii: ; @_ZL9mul_mat_fI15__hip_bfloat162Li64ELi14ELi7ELb0EEvPKT_PKfPKiPfiiiiiiiiiiiiiiii
; %bb.0:
	s_load_dword s5, s[0:1], 0x20
	s_load_dwordx4 s[16:19], s[0:1], 0x2c
	v_bfe_u32 v92, v0, 10, 10
	v_lshlrev_b32_e32 v94, 6, v92
	v_and_b32_e32 v93, 0x3ff, v0
	v_add_u32_e32 v96, v94, v93
	s_mov_b32 s20, 0
	s_waitcnt lgkmcnt(0)
	s_ashr_i32 s19, s4, 31
	v_cmp_le_i32_e32 vcc, s5, v96
	v_and_b32_e32 v95, 15, v93
	s_and_saveexec_b64 s[6:7], vcc
	s_xor_b64 s[6:7], exec, s[6:7]
; %bb.1:
	v_and_b32_e32 v95, 15, v93
                                        ; implicit-def: $vgpr96
; %bb.2:
	s_or_saveexec_b64 s[24:25], s[6:7]
	s_load_dwordx8 s[8:15], s[0:1], 0x40
	s_load_dwordx2 s[6:7], s[0:1], 0x18
	s_lshl_b32 s27, s2, 6
	v_mov_b32_e32 v11, s20
	v_lshlrev_b32_e32 v16, 2, v93
	v_mov_b32_e32 v10, s20
	v_mov_b32_e32 v9, s20
	v_mov_b32_e32 v8, s20
	v_mov_b32_e32 v7, s20
	v_mov_b32_e32 v6, s20
	v_mov_b32_e32 v5, s20
	v_mov_b32_e32 v4, s20
	v_mov_b32_e32 v3, s20
	v_mov_b32_e32 v2, s20
	v_mov_b32_e32 v1, s20
	v_mov_b32_e32 v0, s20
	v_mov_b32_e32 v15, s20
	v_mov_b32_e32 v14, s20
	v_mov_b32_e32 v13, s20
	v_mov_b32_e32 v12, s20
	s_xor_b64 exec, exec, s[24:25]
	s_cbranch_execz .LBB143_118
; %bb.3:
	s_waitcnt lgkmcnt(0)
	s_abs_i32 s2, s8
	v_cvt_f32_u32_e32 v0, s2
                                        ; implicit-def: $vgpr107 : SGPR spill to VGPR lane
	s_abs_i32 s26, s4
	v_writelane_b32 v107, s6, 0
	v_lshlrev_b32_e32 v20, 8, v92
	v_rcp_iflag_f32_e32 v0, v0
	v_writelane_b32 v107, s7, 1
	s_abs_i32 s6, s12
	v_cvt_f32_u32_e32 v1, s6
	v_mul_f32_e32 v0, 0x4f7ffffe, v0
	v_cvt_u32_f32_e32 v0, v0
	s_sub_i32 s7, 0, s2
	v_rcp_iflag_f32_e32 v1, v1
	s_sub_i32 s20, 0, s6
	v_mul_lo_u32 v2, s7, v0
	v_mul_hi_u32 v2, v0, v2
	v_mul_f32_e32 v1, 0x4f7ffffe, v1
	v_cvt_u32_f32_e32 v1, v1
	s_abs_i32 s7, s3
	v_add_u32_e32 v0, v0, v2
	v_mul_hi_u32 v0, s7, v0
	v_mul_lo_u32 v3, s20, v1
	v_mul_lo_u32 v2, v0, s2
	v_mul_hi_u32 v3, v1, v3
	v_sub_u32_e32 v2, s7, v2
	v_add_u32_e32 v1, v1, v3
	v_add_u32_e32 v3, 1, v0
	v_subrev_u32_e32 v4, s2, v2
	v_cmp_le_u32_e32 vcc, s2, v2
	s_load_dwordx4 s[20:23], s[0:1], 0x0
	s_ashr_i32 s0, s3, 31
	v_cndmask_b32_e32 v0, v0, v3, vcc
	v_cndmask_b32_e32 v2, v2, v4, vcc
	s_ashr_i32 s1, s8, 31
	v_add_u32_e32 v3, 1, v0
	v_cmp_le_u32_e32 vcc, s2, v2
	s_xor_b32 s0, s0, s1
	v_mul_hi_u32 v1, s26, v1
	v_cndmask_b32_e32 v0, v0, v3, vcc
	v_xor_b32_e32 v0, s0, v0
	v_subrev_u32_e32 v2, s0, v0
	v_mul_lo_u32 v0, v1, s6
	v_sub_u32_e32 v0, s26, v0
	v_add_u32_e32 v3, 1, v1
	v_subrev_u32_e32 v4, s6, v0
	v_cmp_le_u32_e32 vcc, s6, v0
	s_ashr_i32 s8, s12, 31
	s_xor_b32 s0, s19, s8
	v_cndmask_b32_e32 v1, v1, v3, vcc
	v_cndmask_b32_e32 v0, v0, v4, vcc
	v_add_u32_e32 v3, 1, v1
	v_cmp_le_u32_e32 vcc, s6, v0
	v_mul_lo_u32 v2, v2, s9
	s_mul_i32 s8, s3, s10
	v_cndmask_b32_e32 v0, v1, v3, vcc
	v_xor_b32_e32 v0, s0, v0
	v_subrev_u32_e32 v0, s0, v0
	s_mul_i32 s0, s27, s16
	v_ashrrev_i32_e32 v3, 31, v2
	s_ashr_i32 s1, s0, 31
	v_mul_hi_i32 v1, v0, s13
	v_mul_lo_u32 v0, v0, s13
	s_lshl_b64 s[0:1], s[0:1], 2
	v_lshlrev_b64 v[2:3], 2, v[2:3]
	v_lshlrev_b64 v[0:1], 2, v[0:1]
	s_mul_hi_i32 s7, s14, s4
	s_mul_i32 s6, s14, s4
	v_lshl_add_u64 v[2:3], v[2:3], 0, s[0:1]
	s_ashr_i32 s9, s8, 31
	s_waitcnt lgkmcnt(0)
	v_lshl_add_u64 v[4:5], s[20:21], 0, v[0:1]
	s_lshl_b64 s[6:7], s[6:7], 2
	s_lshl_b64 s[0:1], s[8:9], 2
	v_mov_b32_e32 v21, 0
	v_lshl_add_u64 v[0:1], v[2:3], 0, v[0:1]
	s_add_u32 s22, s22, s0
	v_lshl_add_u64 v[0:1], v[0:1], 0, v[20:21]
	v_mov_b32_e32 v17, v21
	s_addc_u32 s23, s23, s1
	v_lshl_add_u64 v[0:1], v[0:1], 0, v[16:17]
	v_lshlrev_b32_e32 v20, 9, v92
	s_add_u32 s0, s22, s6
	s_movk_i32 s2, 0x1080
	v_lshrrev_b32_e32 v6, 1, v93
	v_lshl_add_u64 v[22:23], s[20:21], 0, v[0:1]
	v_lshl_add_u64 v[0:1], s[6:7], 0, v[20:21]
	v_lshlrev_b32_e32 v20, 3, v93
	v_lshl_add_u64 v[18:19], v[2:3], 0, v[4:5]
	s_addc_u32 s1, s23, s7
	v_mad_u32_u24 v4, v92, s2, 0
	v_mul_u32_u24_e32 v5, 0x108, v95
	v_and_b32_e32 v6, 0x1f8, v6
	s_ashr_i32 s9, s16, 31
	s_mov_b32 s8, s16
	s_ashr_i32 s13, s17, 31
	s_mov_b32 s12, s17
	v_lshl_add_u64 v[0:1], v[0:1], 0, v[20:21]
	v_add_u32_e32 v97, v4, v16
	v_add3_u32 v98, v4, v5, v6
	s_lshl_b64 s[8:9], s[8:9], 2
	s_lshl_b64 s[12:13], s[12:13], 3
	v_lshl_add_u64 v[24:25], s[22:23], 0, v[0:1]
	s_mul_i32 s10, s16, 63
	s_lshl_b32 s14, s17, 1
	s_mul_i32 s19, s17, 3
	s_lshl_b32 s28, s17, 2
	s_mul_i32 s29, s17, 5
	s_mul_i32 s30, s17, 6
	;; [unrolled: 1-line block ×3, first 2 shown]
	s_lshl_b32 s33, s17, 3
	s_mul_i32 s34, s17, 9
	s_mul_i32 s35, s17, 10
	;; [unrolled: 1-line block ×5, first 2 shown]
	s_lshl_b32 s39, s16, 1
	s_mul_i32 s40, s16, 3
	s_lshl_b32 s41, s16, 2
	s_mul_i32 s42, s16, 5
	s_mul_i32 s43, s16, 6
	s_mul_i32 s44, s16, 7
	s_lshl_b32 s45, s16, 3
	s_mul_i32 s46, s16, 9
	s_mul_i32 s47, s16, 10
	;; [unrolled: 1-line block ×7, first 2 shown]
	s_lshl_b32 s53, s16, 4
	s_mul_i32 s54, s16, 17
	s_mul_i32 s55, s16, 18
	;; [unrolled: 1-line block ×15, first 2 shown]
	s_lshl_b32 s69, s16, 5
	s_mul_i32 s70, s16, 33
	s_mul_i32 s71, s16, 34
	;; [unrolled: 1-line block ×27, first 2 shown]
	v_mov_b32_e32 v12, 0
	v_mov_b32_e32 v13, v21
	;; [unrolled: 1-line block ×16, first 2 shown]
	s_mul_i32 s97, s16, 60
	s_mul_i32 s98, s16, 61
	;; [unrolled: 1-line block ×3, first 2 shown]
	s_mov_b32 s6, 0x7f800000
	s_movk_i32 s7, 0x7fff
	s_mov_b32 s2, 0x7060302
	s_mov_b64 s[16:17], 0
	s_mov_b64 s[20:21], 0x700
	;; [unrolled: 1-line block ×3, first 2 shown]
	v_writelane_b32 v107, s27, 2
	s_branch .LBB143_5
.LBB143_4:                              ;   in Loop: Header=BB143_5 Depth=1
	s_or_b64 exec, exec, s[26:27]
	v_perm_b32 v17, v20, v17, s2
	v_add_u32_e32 v20, 0xc00, v97
	ds_write2_b32 v20, v17, v21 offset0:90 offset1:156
	ds_write_b32 v97, v21 offset:3960
	ds_read2_b64 v[100:103], v98 offset1:4
	v_add_u32_e32 v96, 0x1c0, v96
	v_cmp_le_i32_e32 vcc, s5, v96
	v_lshl_add_u64 v[22:23], v[22:23], 0, s[20:21]
	s_waitcnt lgkmcnt(0)
	v_mfma_f32_16x16x16_bf16 v[0:3], v[74:75], v[100:101], v[0:3]
	v_lshl_add_u64 v[24:25], v[24:25], 0, s[22:23]
	s_or_b64 s[16:17], vcc, s[16:17]
	v_mfma_f32_16x16x16_bf16 v[8:11], v[42:43], v[100:101], v[8:11]
	v_mfma_f32_16x16x16_bf16 v[4:7], v[60:61], v[100:101], v[4:7]
	v_mfma_f32_16x16x16_bf16 v[12:15], v[88:89], v[100:101], v[12:15]
	v_mfma_f32_16x16x16_bf16 v[0:3], v[72:73], v[102:103], v[0:3]
	ds_read2_b64 v[72:75], v98 offset0:8 offset1:12
	v_mfma_f32_16x16x16_bf16 v[8:11], v[38:39], v[102:103], v[8:11]
	v_mfma_f32_16x16x16_bf16 v[4:7], v[56:57], v[102:103], v[4:7]
	v_mfma_f32_16x16x16_bf16 v[12:15], v[86:87], v[102:103], v[12:15]
	s_waitcnt lgkmcnt(0)
	v_mfma_f32_16x16x16_bf16 v[8:11], v[36:37], v[72:73], v[8:11]
	v_mfma_f32_16x16x16_bf16 v[4:7], v[52:53], v[72:73], v[4:7]
	v_mfma_f32_16x16x16_bf16 v[0:3], v[70:71], v[72:73], v[0:3]
	v_mfma_f32_16x16x16_bf16 v[12:15], v[84:85], v[72:73], v[12:15]
	v_mfma_f32_16x16x16_bf16 v[8:11], v[34:35], v[74:75], v[8:11]
	ds_read2_b64 v[34:37], v98 offset0:16 offset1:20
	v_mfma_f32_16x16x16_bf16 v[4:7], v[50:51], v[74:75], v[4:7]
	v_mfma_f32_16x16x16_bf16 v[0:3], v[68:69], v[74:75], v[0:3]
	v_mfma_f32_16x16x16_bf16 v[12:15], v[82:83], v[74:75], v[12:15]
	s_waitcnt lgkmcnt(0)
	v_mfma_f32_16x16x16_bf16 v[8:11], v[32:33], v[34:35], v[8:11]
	;; [unrolled: 10-line block ×3, first 2 shown]
	v_mfma_f32_16x16x16_bf16 v[4:7], v[44:45], v[30:31], v[4:7]
	v_mfma_f32_16x16x16_bf16 v[0:3], v[62:63], v[30:31], v[0:3]
	;; [unrolled: 1-line block ×7, first 2 shown]
	s_andn2_b64 exec, exec, s[16:17]
	s_cbranch_execz .LBB143_117
.LBB143_5:                              ; =>This Inner Loop Header: Depth=1
	v_lshl_add_u64 v[26:27], v[22:23], 0, s[8:9]
	global_load_dword v17, v[22:23], off
	global_load_dword v20, v[26:27], off
	v_add_u32_e32 v26, s39, v96
	v_ashrrev_i32_e32 v27, 31, v26
	v_add_u32_e32 v28, s40, v96
	v_add_u32_e32 v30, s41, v96
	;; [unrolled: 1-line block ×6, first 2 shown]
	v_lshl_add_u64 v[26:27], v[26:27], 2, v[18:19]
	v_ashrrev_i32_e32 v29, 31, v28
	v_ashrrev_i32_e32 v31, 31, v30
	;; [unrolled: 1-line block ×6, first 2 shown]
	v_lshl_add_u64 v[28:29], v[28:29], 2, v[18:19]
	v_lshl_add_u64 v[30:31], v[30:31], 2, v[18:19]
	;; [unrolled: 1-line block ×6, first 2 shown]
	global_load_dword v50, v[26:27], off
	global_load_dword v51, v[28:29], off
	;; [unrolled: 1-line block ×7, first 2 shown]
	v_add_u32_e32 v26, s46, v96
	v_add_u32_e32 v28, s47, v96
	;; [unrolled: 1-line block ×9, first 2 shown]
	v_ashrrev_i32_e32 v27, 31, v26
	v_ashrrev_i32_e32 v29, 31, v28
	;; [unrolled: 1-line block ×9, first 2 shown]
	v_lshl_add_u64 v[26:27], v[26:27], 2, v[18:19]
	v_lshl_add_u64 v[28:29], v[28:29], 2, v[18:19]
	;; [unrolled: 1-line block ×9, first 2 shown]
	global_load_dword v57, v[26:27], off
	global_load_dword v58, v[28:29], off
	;; [unrolled: 1-line block ×9, first 2 shown]
	v_add_u32_e32 v44, s55, v96
	v_add_u32_e32 v46, s56, v96
	;; [unrolled: 1-line block ×3, first 2 shown]
	v_ashrrev_i32_e32 v45, 31, v44
	v_ashrrev_i32_e32 v47, 31, v46
	;; [unrolled: 1-line block ×3, first 2 shown]
	v_add_u32_e32 v28, s58, v96
	v_add_u32_e32 v30, s59, v96
	;; [unrolled: 1-line block ×5, first 2 shown]
	v_lshl_add_u64 v[44:45], v[44:45], 2, v[18:19]
	v_lshl_add_u64 v[46:47], v[46:47], 2, v[18:19]
	;; [unrolled: 1-line block ×3, first 2 shown]
	v_ashrrev_i32_e32 v29, 31, v28
	v_ashrrev_i32_e32 v31, 31, v30
	;; [unrolled: 1-line block ×5, first 2 shown]
	v_lshl_add_u64 v[28:29], v[28:29], 2, v[18:19]
	v_lshl_add_u64 v[30:31], v[30:31], 2, v[18:19]
	v_lshl_add_u64 v[32:33], v[32:33], 2, v[18:19]
	v_lshl_add_u64 v[34:35], v[34:35], 2, v[18:19]
	v_lshl_add_u64 v[36:37], v[36:37], 2, v[18:19]
	v_add_u32_e32 v38, s69, v96
	v_add_u32_e32 v40, s70, v96
	v_ashrrev_i32_e32 v39, 31, v38
	v_ashrrev_i32_e32 v41, 31, v40
	v_lshl_add_u64 v[38:39], v[38:39], 2, v[18:19]
	v_lshl_add_u64 v[40:41], v[40:41], 2, v[18:19]
	s_waitcnt vmcnt(17)
	ds_write_b32 v97, v17
	s_waitcnt vmcnt(16)
	ds_write_b32 v97, v20 offset:264
	s_waitcnt vmcnt(15)
	ds_write_b32 v97, v50 offset:528
	;; [unrolled: 2-line block ×8, first 2 shown]
	global_load_dword v17, v[44:45], off
	global_load_dword v20, v[46:47], off
	s_nop 0
	global_load_dword v44, v[26:27], off
	global_load_dword v45, v[28:29], off
	;; [unrolled: 1-line block ×6, first 2 shown]
	v_add_u32_e32 v26, s63, v96
	v_ashrrev_i32_e32 v27, 31, v26
	v_add_u32_e32 v28, s64, v96
	v_add_u32_e32 v30, s65, v96
	;; [unrolled: 1-line block ×5, first 2 shown]
	v_lshl_add_u64 v[26:27], v[26:27], 2, v[18:19]
	v_ashrrev_i32_e32 v29, 31, v28
	v_ashrrev_i32_e32 v31, 31, v30
	;; [unrolled: 1-line block ×5, first 2 shown]
	v_lshl_add_u64 v[28:29], v[28:29], 2, v[18:19]
	v_lshl_add_u64 v[30:31], v[30:31], 2, v[18:19]
	v_lshl_add_u64 v[32:33], v[32:33], 2, v[18:19]
	v_lshl_add_u64 v[34:35], v[34:35], 2, v[18:19]
	v_lshl_add_u64 v[36:37], v[36:37], 2, v[18:19]
	global_load_dword v50, v[26:27], off
	global_load_dword v51, v[28:29], off
	global_load_dword v52, v[30:31], off
	global_load_dword v53, v[32:33], off
	global_load_dword v54, v[34:35], off
	global_load_dword v55, v[36:37], off
	global_load_dword v66, v[38:39], off
	global_load_dword v67, v[40:41], off
	v_add_u32_e32 v26, s71, v96
	v_ashrrev_i32_e32 v27, 31, v26
	v_add_u32_e32 v28, s72, v96
	v_add_u32_e32 v30, s73, v96
	v_add_u32_e32 v32, s74, v96
	v_add_u32_e32 v34, s75, v96
	v_add_u32_e32 v36, s76, v96
	v_add_u32_e32 v38, s77, v96
	v_add_u32_e32 v40, s78, v96
	v_lshl_add_u64 v[26:27], v[26:27], 2, v[18:19]
	v_ashrrev_i32_e32 v29, 31, v28
	v_ashrrev_i32_e32 v31, 31, v30
	v_ashrrev_i32_e32 v33, 31, v32
	v_ashrrev_i32_e32 v35, 31, v34
	v_ashrrev_i32_e32 v37, 31, v36
	v_ashrrev_i32_e32 v39, 31, v38
	v_ashrrev_i32_e32 v41, 31, v40
	v_lshl_add_u64 v[28:29], v[28:29], 2, v[18:19]
	v_lshl_add_u64 v[30:31], v[30:31], 2, v[18:19]
	v_lshl_add_u64 v[32:33], v[32:33], 2, v[18:19]
	v_lshl_add_u64 v[34:35], v[34:35], 2, v[18:19]
	v_lshl_add_u64 v[36:37], v[36:37], 2, v[18:19]
	v_lshl_add_u64 v[38:39], v[38:39], 2, v[18:19]
	v_lshl_add_u64 v[40:41], v[40:41], 2, v[18:19]
	global_load_dword v68, v[26:27], off
	global_load_dword v69, v[28:29], off
	global_load_dword v70, v[30:31], off
	global_load_dword v71, v[32:33], off
	global_load_dword v72, v[34:35], off
	global_load_dword v73, v[36:37], off
	global_load_dword v74, v[38:39], off
	global_load_dword v75, v[40:41], off
	v_add_u32_e32 v26, s79, v96
	v_ashrrev_i32_e32 v27, 31, v26
	v_add_u32_e32 v28, s80, v96
	v_add_u32_e32 v30, s81, v96
	v_add_u32_e32 v32, s82, v96
	v_add_u32_e32 v34, s83, v96
	v_add_u32_e32 v36, s84, v96
	v_add_u32_e32 v38, s85, v96
	v_add_u32_e32 v40, s86, v96
	v_lshl_add_u64 v[26:27], v[26:27], 2, v[18:19]
	v_ashrrev_i32_e32 v29, 31, v28
	v_ashrrev_i32_e32 v31, 31, v30
	v_ashrrev_i32_e32 v33, 31, v32
	v_ashrrev_i32_e32 v35, 31, v34
	v_ashrrev_i32_e32 v37, 31, v36
	v_ashrrev_i32_e32 v39, 31, v38
	v_ashrrev_i32_e32 v41, 31, v40
	v_lshl_add_u64 v[28:29], v[28:29], 2, v[18:19]
	v_lshl_add_u64 v[30:31], v[30:31], 2, v[18:19]
	;; [unrolled: 32-line block ×3, first 2 shown]
	v_lshl_add_u64 v[32:33], v[32:33], 2, v[18:19]
	v_lshl_add_u64 v[34:35], v[34:35], 2, v[18:19]
	;; [unrolled: 1-line block ×5, first 2 shown]
	global_load_dword v84, v[26:27], off
	global_load_dword v85, v[28:29], off
	;; [unrolled: 1-line block ×8, first 2 shown]
	v_add_u32_e32 v26, s95, v96
	v_ashrrev_i32_e32 v27, 31, v26
	v_add_u32_e32 v28, s96, v96
	v_add_u32_e32 v30, s97, v96
	;; [unrolled: 1-line block ×5, first 2 shown]
	v_lshl_add_u64 v[26:27], v[26:27], 2, v[18:19]
	v_ashrrev_i32_e32 v29, 31, v28
	v_ashrrev_i32_e32 v31, 31, v30
	;; [unrolled: 1-line block ×5, first 2 shown]
	v_lshl_add_u64 v[28:29], v[28:29], 2, v[18:19]
	v_lshl_add_u64 v[30:31], v[30:31], 2, v[18:19]
	;; [unrolled: 1-line block ×5, first 2 shown]
	global_load_dword v101, v[26:27], off
	global_load_dword v102, v[28:29], off
	global_load_dword v103, v[30:31], off
	global_load_dword v104, v[32:33], off
	global_load_dword v105, v[34:35], off
	global_load_dword v106, v[36:37], off
	s_waitcnt vmcnt(54)
	ds_write_b32 v97, v57 offset:2376
	s_waitcnt vmcnt(53)
	ds_write_b32 v97, v58 offset:2640
	;; [unrolled: 2-line block ×7, first 2 shown]
	global_load_dwordx2 v[90:91], v[24:25], off
	ds_read_b64 v[42:43], v98
	ds_read_b64 v[38:39], v98 offset:32
	ds_read_b64 v[36:37], v98 offset:64
	ds_read_b64 v[34:35], v98 offset:96
	ds_read_b64 v[32:33], v98 offset:128
	ds_read_b64 v[30:31], v98 offset:160
	ds_read_b64 v[28:29], v98 offset:192
	ds_read_b64 v[26:27], v98 offset:224
	s_waitcnt vmcnt(48)
	ds_write_b32 v97, v64
	s_waitcnt vmcnt(47)
	ds_write_b32 v97, v65 offset:264
	s_waitcnt vmcnt(46)
	ds_write_b32 v97, v17 offset:528
	s_waitcnt vmcnt(45)
	ds_write_b32 v97, v20 offset:792
	s_waitcnt vmcnt(44)
	ds_write_b32 v97, v44 offset:1056
	s_waitcnt vmcnt(43)
	ds_write_b32 v97, v45 offset:1320
	s_waitcnt vmcnt(42)
	ds_write_b32 v97, v46 offset:1584
	s_waitcnt vmcnt(41)
	ds_write_b32 v97, v47 offset:1848
	s_waitcnt vmcnt(40)
	ds_write_b32 v97, v48 offset:2112
	s_waitcnt vmcnt(39)
	ds_write_b32 v97, v49 offset:2376
	s_waitcnt vmcnt(38)
	ds_write_b32 v97, v50 offset:2640
	s_waitcnt vmcnt(37)
	ds_write_b32 v97, v51 offset:2904
	s_waitcnt vmcnt(36)
	ds_write_b32 v97, v52 offset:3168
	s_waitcnt vmcnt(35)
	ds_write_b32 v97, v53 offset:3432
	s_waitcnt vmcnt(34)
	ds_write_b32 v97, v54 offset:3696
	s_waitcnt vmcnt(33)
	ds_write_b32 v97, v55 offset:3960
	ds_read_b64 v[60:61], v98
	ds_read_b64 v[56:57], v98 offset:32
	ds_read_b64 v[52:53], v98 offset:64
	ds_read_b64 v[50:51], v98 offset:96
	ds_read_b64 v[48:49], v98 offset:128
	ds_read_b64 v[46:47], v98 offset:160
	ds_read_b64 v[44:45], v98 offset:192
	ds_read_b64 v[40:41], v98 offset:224
	s_waitcnt vmcnt(32)
	ds_write_b32 v97, v66
	s_waitcnt vmcnt(31)
	ds_write_b32 v97, v67 offset:264
	s_waitcnt vmcnt(30)
	ds_write_b32 v97, v68 offset:528
	s_waitcnt vmcnt(29)
	ds_write_b32 v97, v69 offset:792
	s_waitcnt vmcnt(28)
	ds_write_b32 v97, v70 offset:1056
	s_waitcnt vmcnt(27)
	ds_write_b32 v97, v71 offset:1320
	s_waitcnt vmcnt(26)
	ds_write_b32 v97, v72 offset:1584
	s_waitcnt vmcnt(25)
	ds_write_b32 v97, v73 offset:1848
	s_waitcnt vmcnt(24)
	ds_write_b32 v97, v74 offset:2112
	s_waitcnt vmcnt(23)
	ds_write_b32 v97, v75 offset:2376
	s_waitcnt vmcnt(22)
	ds_write_b32 v97, v76 offset:2640
	s_waitcnt vmcnt(21)
	ds_write_b32 v97, v77 offset:2904
	s_waitcnt vmcnt(20)
	ds_write_b32 v97, v78 offset:3168
	s_waitcnt vmcnt(19)
	ds_write_b32 v97, v79 offset:3432
	s_waitcnt vmcnt(18)
	ds_write_b32 v97, v80 offset:3696
	s_waitcnt vmcnt(17)
	ds_write_b32 v97, v81 offset:3960
	;; [unrolled: 40-line block ×3, first 2 shown]
	ds_read_b64 v[88:89], v98
	ds_read_b64 v[86:87], v98 offset:32
	ds_read_b64 v[84:85], v98 offset:64
	;; [unrolled: 1-line block ×7, first 2 shown]
	s_waitcnt vmcnt(0)
	v_and_b32_e32 v17, 0x7f800000, v90
	v_cmp_ne_u32_e32 vcc, s6, v17
                                        ; implicit-def: $vgpr17
	s_and_saveexec_b64 s[26:27], vcc
	s_xor_b64 s[26:27], exec, s[26:27]
; %bb.6:                                ;   in Loop: Header=BB143_5 Depth=1
	v_bfe_u32 v17, v90, 16, 1
	v_add3_u32 v17, v90, v17, s7
; %bb.7:                                ;   in Loop: Header=BB143_5 Depth=1
	s_andn2_saveexec_b64 s[26:27], s[26:27]
; %bb.8:                                ;   in Loop: Header=BB143_5 Depth=1
	v_or_b32_e32 v17, 0x10000, v90
	v_cmp_eq_u32_sdwa vcc, v90, v21 src0_sel:WORD_0 src1_sel:DWORD
	s_nop 1
	v_cndmask_b32_e32 v17, v17, v90, vcc
; %bb.9:                                ;   in Loop: Header=BB143_5 Depth=1
	s_or_b64 exec, exec, s[26:27]
	v_and_b32_e32 v20, 0x7f800000, v91
	v_cmp_ne_u32_e32 vcc, s6, v20
                                        ; implicit-def: $vgpr20
	s_and_saveexec_b64 s[26:27], vcc
	s_xor_b64 s[26:27], exec, s[26:27]
; %bb.10:                               ;   in Loop: Header=BB143_5 Depth=1
	v_bfe_u32 v20, v91, 16, 1
	v_add3_u32 v20, v91, v20, s7
                                        ; implicit-def: $vgpr90_vgpr91
; %bb.11:                               ;   in Loop: Header=BB143_5 Depth=1
	s_andn2_saveexec_b64 s[26:27], s[26:27]
; %bb.12:                               ;   in Loop: Header=BB143_5 Depth=1
	v_or_b32_e32 v20, 0x10000, v91
	v_cmp_eq_u32_sdwa vcc, v91, v21 src0_sel:WORD_0 src1_sel:DWORD
	s_nop 1
	v_cndmask_b32_e32 v20, v20, v91, vcc
; %bb.13:                               ;   in Loop: Header=BB143_5 Depth=1
	s_or_b64 exec, exec, s[26:27]
	v_lshl_add_u64 v[90:91], v[24:25], 0, s[12:13]
	global_load_dwordx2 v[90:91], v[90:91], off
	v_perm_b32 v17, v20, v17, s2
	ds_write_b32 v97, v17
	s_waitcnt vmcnt(0)
	v_and_b32_e32 v17, 0x7f800000, v90
	v_cmp_ne_u32_e32 vcc, s6, v17
                                        ; implicit-def: $vgpr17
	s_and_saveexec_b64 s[26:27], vcc
	s_xor_b64 s[26:27], exec, s[26:27]
; %bb.14:                               ;   in Loop: Header=BB143_5 Depth=1
	v_bfe_u32 v17, v90, 16, 1
	v_add3_u32 v17, v90, v17, s7
; %bb.15:                               ;   in Loop: Header=BB143_5 Depth=1
	s_andn2_saveexec_b64 s[26:27], s[26:27]
; %bb.16:                               ;   in Loop: Header=BB143_5 Depth=1
	v_or_b32_e32 v17, 0x10000, v90
	v_cmp_eq_u32_sdwa vcc, v90, v21 src0_sel:WORD_0 src1_sel:DWORD
	s_nop 1
	v_cndmask_b32_e32 v17, v17, v90, vcc
; %bb.17:                               ;   in Loop: Header=BB143_5 Depth=1
	s_or_b64 exec, exec, s[26:27]
	v_and_b32_e32 v20, 0x7f800000, v91
	v_cmp_ne_u32_e32 vcc, s6, v20
                                        ; implicit-def: $vgpr20
	s_and_saveexec_b64 s[26:27], vcc
	s_xor_b64 s[26:27], exec, s[26:27]
; %bb.18:                               ;   in Loop: Header=BB143_5 Depth=1
	v_bfe_u32 v20, v91, 16, 1
	v_add3_u32 v20, v91, v20, s7
                                        ; implicit-def: $vgpr90_vgpr91
; %bb.19:                               ;   in Loop: Header=BB143_5 Depth=1
	s_andn2_saveexec_b64 s[26:27], s[26:27]
; %bb.20:                               ;   in Loop: Header=BB143_5 Depth=1
	v_or_b32_e32 v20, 0x10000, v91
	v_cmp_eq_u32_sdwa vcc, v91, v21 src0_sel:WORD_0 src1_sel:DWORD
	s_nop 1
	v_cndmask_b32_e32 v20, v20, v91, vcc
; %bb.21:                               ;   in Loop: Header=BB143_5 Depth=1
	s_or_b64 exec, exec, s[26:27]
	v_add_u32_e32 v90, s14, v96
	v_ashrrev_i32_e32 v91, 31, v90
	v_lshl_add_u64 v[90:91], v[90:91], 3, s[0:1]
	global_load_dwordx2 v[90:91], v[90:91], off
	v_perm_b32 v17, v20, v17, s2
	ds_write_b32 v97, v17 offset:264
	s_waitcnt vmcnt(0)
	v_and_b32_e32 v17, 0x7f800000, v90
	v_cmp_ne_u32_e32 vcc, s6, v17
                                        ; implicit-def: $vgpr17
	s_and_saveexec_b64 s[26:27], vcc
	s_xor_b64 s[26:27], exec, s[26:27]
; %bb.22:                               ;   in Loop: Header=BB143_5 Depth=1
	v_bfe_u32 v17, v90, 16, 1
	v_add3_u32 v17, v90, v17, s7
; %bb.23:                               ;   in Loop: Header=BB143_5 Depth=1
	s_andn2_saveexec_b64 s[26:27], s[26:27]
; %bb.24:                               ;   in Loop: Header=BB143_5 Depth=1
	v_or_b32_e32 v17, 0x10000, v90
	v_cmp_eq_u32_sdwa vcc, v90, v21 src0_sel:WORD_0 src1_sel:DWORD
	s_nop 1
	v_cndmask_b32_e32 v17, v17, v90, vcc
; %bb.25:                               ;   in Loop: Header=BB143_5 Depth=1
	s_or_b64 exec, exec, s[26:27]
	v_and_b32_e32 v20, 0x7f800000, v91
	v_cmp_ne_u32_e32 vcc, s6, v20
                                        ; implicit-def: $vgpr20
	s_and_saveexec_b64 s[26:27], vcc
	s_xor_b64 s[26:27], exec, s[26:27]
; %bb.26:                               ;   in Loop: Header=BB143_5 Depth=1
	v_bfe_u32 v20, v91, 16, 1
	v_add3_u32 v20, v91, v20, s7
                                        ; implicit-def: $vgpr90_vgpr91
; %bb.27:                               ;   in Loop: Header=BB143_5 Depth=1
	s_andn2_saveexec_b64 s[26:27], s[26:27]
; %bb.28:                               ;   in Loop: Header=BB143_5 Depth=1
	v_or_b32_e32 v20, 0x10000, v91
	v_cmp_eq_u32_sdwa vcc, v91, v21 src0_sel:WORD_0 src1_sel:DWORD
	s_nop 1
	v_cndmask_b32_e32 v20, v20, v91, vcc
; %bb.29:                               ;   in Loop: Header=BB143_5 Depth=1
	s_or_b64 exec, exec, s[26:27]
	v_add_u32_e32 v90, s19, v96
	v_ashrrev_i32_e32 v91, 31, v90
	v_lshl_add_u64 v[90:91], v[90:91], 3, s[0:1]
	global_load_dwordx2 v[90:91], v[90:91], off
	v_perm_b32 v17, v20, v17, s2
	ds_write_b32 v97, v17 offset:528
	;; [unrolled: 42-line block ×10, first 2 shown]
	s_waitcnt vmcnt(0)
	v_and_b32_e32 v17, 0x7f800000, v90
	v_cmp_ne_u32_e32 vcc, s6, v17
                                        ; implicit-def: $vgpr17
	s_and_saveexec_b64 s[26:27], vcc
	s_xor_b64 s[26:27], exec, s[26:27]
; %bb.94:                               ;   in Loop: Header=BB143_5 Depth=1
	v_bfe_u32 v17, v90, 16, 1
	v_add3_u32 v17, v90, v17, s7
; %bb.95:                               ;   in Loop: Header=BB143_5 Depth=1
	s_andn2_saveexec_b64 s[26:27], s[26:27]
; %bb.96:                               ;   in Loop: Header=BB143_5 Depth=1
	v_or_b32_e32 v17, 0x10000, v90
	v_cmp_eq_u32_sdwa vcc, v90, v21 src0_sel:WORD_0 src1_sel:DWORD
	s_nop 1
	v_cndmask_b32_e32 v17, v17, v90, vcc
; %bb.97:                               ;   in Loop: Header=BB143_5 Depth=1
	s_or_b64 exec, exec, s[26:27]
	v_and_b32_e32 v20, 0x7f800000, v91
	v_cmp_ne_u32_e32 vcc, s6, v20
                                        ; implicit-def: $vgpr20
	s_and_saveexec_b64 s[26:27], vcc
	s_xor_b64 s[26:27], exec, s[26:27]
; %bb.98:                               ;   in Loop: Header=BB143_5 Depth=1
	v_bfe_u32 v20, v91, 16, 1
	v_add3_u32 v20, v91, v20, s7
                                        ; implicit-def: $vgpr90_vgpr91
; %bb.99:                               ;   in Loop: Header=BB143_5 Depth=1
	s_andn2_saveexec_b64 s[26:27], s[26:27]
; %bb.100:                              ;   in Loop: Header=BB143_5 Depth=1
	v_or_b32_e32 v20, 0x10000, v91
	v_cmp_eq_u32_sdwa vcc, v91, v21 src0_sel:WORD_0 src1_sel:DWORD
	s_nop 1
	v_cndmask_b32_e32 v20, v20, v91, vcc
; %bb.101:                              ;   in Loop: Header=BB143_5 Depth=1
	s_or_b64 exec, exec, s[26:27]
	v_add_u32_e32 v90, s37, v96
	v_ashrrev_i32_e32 v91, 31, v90
	v_lshl_add_u64 v[90:91], v[90:91], 3, s[0:1]
	global_load_dwordx2 v[90:91], v[90:91], off
	v_perm_b32 v17, v20, v17, s2
	ds_write_b32 v97, v17 offset:2904
	s_waitcnt vmcnt(0)
	v_and_b32_e32 v17, 0x7f800000, v90
	v_cmp_ne_u32_e32 vcc, s6, v17
                                        ; implicit-def: $vgpr17
	s_and_saveexec_b64 s[26:27], vcc
	s_xor_b64 s[26:27], exec, s[26:27]
; %bb.102:                              ;   in Loop: Header=BB143_5 Depth=1
	v_bfe_u32 v17, v90, 16, 1
	v_add3_u32 v17, v90, v17, s7
; %bb.103:                              ;   in Loop: Header=BB143_5 Depth=1
	s_andn2_saveexec_b64 s[26:27], s[26:27]
; %bb.104:                              ;   in Loop: Header=BB143_5 Depth=1
	v_or_b32_e32 v17, 0x10000, v90
	v_cmp_eq_u32_sdwa vcc, v90, v21 src0_sel:WORD_0 src1_sel:DWORD
	s_nop 1
	v_cndmask_b32_e32 v17, v17, v90, vcc
; %bb.105:                              ;   in Loop: Header=BB143_5 Depth=1
	s_or_b64 exec, exec, s[26:27]
	v_and_b32_e32 v20, 0x7f800000, v91
	v_cmp_ne_u32_e32 vcc, s6, v20
                                        ; implicit-def: $vgpr20
	s_and_saveexec_b64 s[26:27], vcc
	s_xor_b64 s[26:27], exec, s[26:27]
; %bb.106:                              ;   in Loop: Header=BB143_5 Depth=1
	v_bfe_u32 v20, v91, 16, 1
	v_add3_u32 v20, v91, v20, s7
                                        ; implicit-def: $vgpr90_vgpr91
; %bb.107:                              ;   in Loop: Header=BB143_5 Depth=1
	s_andn2_saveexec_b64 s[26:27], s[26:27]
; %bb.108:                              ;   in Loop: Header=BB143_5 Depth=1
	v_or_b32_e32 v20, 0x10000, v91
	v_cmp_eq_u32_sdwa vcc, v91, v21 src0_sel:WORD_0 src1_sel:DWORD
	s_nop 1
	v_cndmask_b32_e32 v20, v20, v91, vcc
; %bb.109:                              ;   in Loop: Header=BB143_5 Depth=1
	s_or_b64 exec, exec, s[26:27]
	v_add_u32_e32 v90, s38, v96
	v_ashrrev_i32_e32 v91, 31, v90
	v_lshl_add_u64 v[90:91], v[90:91], 3, s[0:1]
	global_load_dwordx2 v[90:91], v[90:91], off
	v_perm_b32 v17, v20, v17, s2
	ds_write_b32 v97, v17 offset:3168
	s_waitcnt vmcnt(0)
	v_and_b32_e32 v17, 0x7f800000, v90
	v_cmp_ne_u32_e32 vcc, s6, v17
                                        ; implicit-def: $vgpr17
	s_and_saveexec_b64 s[26:27], vcc
	s_xor_b64 s[26:27], exec, s[26:27]
; %bb.110:                              ;   in Loop: Header=BB143_5 Depth=1
	v_bfe_u32 v17, v90, 16, 1
	v_add3_u32 v17, v90, v17, s7
; %bb.111:                              ;   in Loop: Header=BB143_5 Depth=1
	s_andn2_saveexec_b64 s[26:27], s[26:27]
; %bb.112:                              ;   in Loop: Header=BB143_5 Depth=1
	v_or_b32_e32 v17, 0x10000, v90
	v_cmp_eq_u32_sdwa vcc, v90, v21 src0_sel:WORD_0 src1_sel:DWORD
	s_nop 1
	v_cndmask_b32_e32 v17, v17, v90, vcc
; %bb.113:                              ;   in Loop: Header=BB143_5 Depth=1
	s_or_b64 exec, exec, s[26:27]
	v_and_b32_e32 v20, 0x7f800000, v91
	v_cmp_ne_u32_e32 vcc, s6, v20
                                        ; implicit-def: $vgpr20
	s_and_saveexec_b64 s[26:27], vcc
	s_xor_b64 s[26:27], exec, s[26:27]
; %bb.114:                              ;   in Loop: Header=BB143_5 Depth=1
	v_bfe_u32 v20, v91, 16, 1
	v_add3_u32 v20, v91, v20, s7
                                        ; implicit-def: $vgpr90_vgpr91
; %bb.115:                              ;   in Loop: Header=BB143_5 Depth=1
	s_andn2_saveexec_b64 s[26:27], s[26:27]
	s_cbranch_execz .LBB143_4
; %bb.116:                              ;   in Loop: Header=BB143_5 Depth=1
	v_or_b32_e32 v20, 0x10000, v91
	v_cmp_eq_u32_sdwa vcc, v91, v21 src0_sel:WORD_0 src1_sel:DWORD
	s_nop 1
	v_cndmask_b32_e32 v20, v20, v91, vcc
	s_branch .LBB143_4
.LBB143_117:
	s_or_b64 exec, exec, s[16:17]
	v_readlane_b32 s6, v107, 0
	v_readlane_b32 s27, v107, 2
	;; [unrolled: 1-line block ×3, first 2 shown]
.LBB143_118:
	s_or_b64 exec, exec, s[24:25]
	v_mul_u32_u24_e32 v17, 0x708, v95
	v_lshlrev_b32_e32 v18, 2, v94
	v_add3_u32 v17, 0, v17, v18
	v_and_b32_e32 v18, 0x3f0, v93
	v_add_u32_e32 v18, v17, v18
	s_waitcnt lgkmcnt(0)
	s_barrier
	ds_write2_b32 v18, v8, v9 offset1:1
	ds_write_b32 v18, v10 offset:8
	v_or_b32_e32 v8, 12, v93
	v_and_b32_e32 v8, 0x3fc, v8
	v_add_u32_e32 v8, v17, v8
	ds_write_b32 v8, v11
	ds_write2_b32 v18, v4, v5 offset0:16 offset1:17
	ds_write_b32 v18, v6 offset:72
	ds_write_b32 v8, v7 offset:64
	ds_write2_b32 v18, v0, v1 offset0:32 offset1:33
	ds_write_b32 v18, v2 offset:136
	ds_write_b32 v8, v3 offset:128
	;; [unrolled: 3-line block ×3, first 2 shown]
	v_mul_u32_u24_e32 v0, 0x708, v92
	v_add3_u32 v8, 0, v16, v0
	s_waitcnt lgkmcnt(0)
	s_barrier
	ds_read2st64_b32 v[0:1], v8 offset1:1
	ds_read2st64_b32 v[2:3], v8 offset0:2 offset1:3
	ds_read2st64_b32 v[4:5], v8 offset0:4 offset1:5
	ds_read_b32 v6, v8 offset:1536
	s_mul_hi_i32 s1, s15, s4
	s_mul_i32 s0, s15, s4
	s_lshl_b64 s[0:1], s[0:1], 2
	s_waitcnt lgkmcnt(3)
	v_add_f32_e32 v0, 0, v0
	v_add_f32_e32 v0, v0, v1
	s_waitcnt lgkmcnt(2)
	v_add_f32_e32 v0, v0, v2
	s_add_u32 s2, s6, s0
	s_mul_i32 s0, s3, s11
	v_add_f32_e32 v0, v0, v3
	s_addc_u32 s4, s7, s1
	s_ashr_i32 s1, s0, 31
	s_waitcnt lgkmcnt(1)
	v_add_f32_e32 v0, v0, v4
	s_lshl_b64 s[0:1], s[0:1], 2
	v_add_f32_e32 v0, v0, v5
	s_add_u32 s0, s2, s0
	s_waitcnt lgkmcnt(0)
	v_add_f32_e32 v6, v0, v6
	v_mul_lo_u32 v0, v92, s18
	v_add_u32_e32 v7, 56, v8
	s_addc_u32 s1, s4, s1
	v_add3_u32 v0, s27, v93, v0
	v_mov_b32_e32 v1, 0
	ds_read2st64_b32 v[2:3], v7 offset0:49 offset1:50
	v_lshl_add_u64 v[4:5], v[0:1], 2, s[0:1]
	global_store_dword v[4:5], v6, off
	ds_read2st64_b32 v[4:5], v7 offset0:51 offset1:52
	ds_read2st64_b32 v[6:7], v7 offset0:53 offset1:54
	s_waitcnt lgkmcnt(2)
	v_add_f32_e32 v2, 0, v2
	v_add_f32_e32 v2, v2, v3
	ds_read_b32 v3, v8 offset:14136
	s_waitcnt lgkmcnt(2)
	v_add_f32_e32 v2, v2, v4
	v_add_f32_e32 v2, v2, v5
	s_waitcnt lgkmcnt(1)
	v_add_f32_e32 v2, v2, v6
	v_add_f32_e32 v2, v2, v7
	s_waitcnt lgkmcnt(0)
	v_add_f32_e32 v4, v2, v3
	v_mad_u64_u32 v[2:3], s[2:3], s18, 7, v[0:1]
	v_mov_b32_e32 v3, v1
	v_lshl_add_u64 v[0:1], v[2:3], 2, s[0:1]
	global_store_dword v[0:1], v4, off
	s_endpgm
	.section	.rodata,"a",@progbits
	.p2align	6, 0x0
	.amdhsa_kernel _ZL9mul_mat_fI15__hip_bfloat162Li64ELi14ELi7ELb0EEvPKT_PKfPKiPfiiiiiiiiiiiiiiii
		.amdhsa_group_segment_fixed_size 0
		.amdhsa_private_segment_fixed_size 0
		.amdhsa_kernarg_size 96
		.amdhsa_user_sgpr_count 2
		.amdhsa_user_sgpr_dispatch_ptr 0
		.amdhsa_user_sgpr_queue_ptr 0
		.amdhsa_user_sgpr_kernarg_segment_ptr 1
		.amdhsa_user_sgpr_dispatch_id 0
		.amdhsa_user_sgpr_kernarg_preload_length 0
		.amdhsa_user_sgpr_kernarg_preload_offset 0
		.amdhsa_user_sgpr_private_segment_size 0
		.amdhsa_uses_dynamic_stack 0
		.amdhsa_enable_private_segment 0
		.amdhsa_system_sgpr_workgroup_id_x 1
		.amdhsa_system_sgpr_workgroup_id_y 1
		.amdhsa_system_sgpr_workgroup_id_z 1
		.amdhsa_system_sgpr_workgroup_info 0
		.amdhsa_system_vgpr_workitem_id 1
		.amdhsa_next_free_vgpr 108
		.amdhsa_next_free_sgpr 100
		.amdhsa_accum_offset 108
		.amdhsa_reserve_vcc 1
		.amdhsa_float_round_mode_32 0
		.amdhsa_float_round_mode_16_64 0
		.amdhsa_float_denorm_mode_32 3
		.amdhsa_float_denorm_mode_16_64 3
		.amdhsa_dx10_clamp 1
		.amdhsa_ieee_mode 1
		.amdhsa_fp16_overflow 0
		.amdhsa_tg_split 0
		.amdhsa_exception_fp_ieee_invalid_op 0
		.amdhsa_exception_fp_denorm_src 0
		.amdhsa_exception_fp_ieee_div_zero 0
		.amdhsa_exception_fp_ieee_overflow 0
		.amdhsa_exception_fp_ieee_underflow 0
		.amdhsa_exception_fp_ieee_inexact 0
		.amdhsa_exception_int_div_zero 0
	.end_amdhsa_kernel
	.section	.text._ZL9mul_mat_fI15__hip_bfloat162Li64ELi14ELi7ELb0EEvPKT_PKfPKiPfiiiiiiiiiiiiiiii,"axG",@progbits,_ZL9mul_mat_fI15__hip_bfloat162Li64ELi14ELi7ELb0EEvPKT_PKfPKiPfiiiiiiiiiiiiiiii,comdat
.Lfunc_end143:
	.size	_ZL9mul_mat_fI15__hip_bfloat162Li64ELi14ELi7ELb0EEvPKT_PKfPKiPfiiiiiiiiiiiiiiii, .Lfunc_end143-_ZL9mul_mat_fI15__hip_bfloat162Li64ELi14ELi7ELb0EEvPKT_PKfPKiPfiiiiiiiiiiiiiiii
                                        ; -- End function
	.section	.AMDGPU.csdata,"",@progbits
; Kernel info:
; codeLenInByte = 7000
; NumSgprs: 106
; NumVgprs: 108
; NumAgprs: 0
; TotalNumVgprs: 108
; ScratchSize: 0
; MemoryBound: 0
; FloatMode: 240
; IeeeMode: 1
; LDSByteSize: 0 bytes/workgroup (compile time only)
; SGPRBlocks: 13
; VGPRBlocks: 13
; NumSGPRsForWavesPerEU: 106
; NumVGPRsForWavesPerEU: 108
; AccumOffset: 108
; Occupancy: 4
; WaveLimiterHint : 0
; COMPUTE_PGM_RSRC2:SCRATCH_EN: 0
; COMPUTE_PGM_RSRC2:USER_SGPR: 2
; COMPUTE_PGM_RSRC2:TRAP_HANDLER: 0
; COMPUTE_PGM_RSRC2:TGID_X_EN: 1
; COMPUTE_PGM_RSRC2:TGID_Y_EN: 1
; COMPUTE_PGM_RSRC2:TGID_Z_EN: 1
; COMPUTE_PGM_RSRC2:TIDIG_COMP_CNT: 1
; COMPUTE_PGM_RSRC3_GFX90A:ACCUM_OFFSET: 26
; COMPUTE_PGM_RSRC3_GFX90A:TG_SPLIT: 0
	.section	.text._ZL13mul_mat_f_idsI15__hip_bfloat162Li64ELi14ELi8EEvPKT_PKfPKiS7_S7_Pfiiiiiiiiiiiiii15HIP_vector_typeIjLj3EESA_,"axG",@progbits,_ZL13mul_mat_f_idsI15__hip_bfloat162Li64ELi14ELi8EEvPKT_PKfPKiS7_S7_Pfiiiiiiiiiiiiii15HIP_vector_typeIjLj3EESA_,comdat
	.globl	_ZL13mul_mat_f_idsI15__hip_bfloat162Li64ELi14ELi8EEvPKT_PKfPKiS7_S7_Pfiiiiiiiiiiiiii15HIP_vector_typeIjLj3EESA_ ; -- Begin function _ZL13mul_mat_f_idsI15__hip_bfloat162Li64ELi14ELi8EEvPKT_PKfPKiS7_S7_Pfiiiiiiiiiiiiii15HIP_vector_typeIjLj3EESA_
	.p2align	8
	.type	_ZL13mul_mat_f_idsI15__hip_bfloat162Li64ELi14ELi8EEvPKT_PKfPKiS7_S7_Pfiiiiiiiiiiiiii15HIP_vector_typeIjLj3EESA_,@function
_ZL13mul_mat_f_idsI15__hip_bfloat162Li64ELi14ELi8EEvPKT_PKfPKiS7_S7_Pfiiiiiiiiiiiiii15HIP_vector_typeIjLj3EESA_: ; @_ZL13mul_mat_f_idsI15__hip_bfloat162Li64ELi14ELi8EEvPKT_PKfPKiS7_S7_Pfiiiiiiiiiiiiii15HIP_vector_typeIjLj3EESA_
; %bb.0:
	s_load_dwordx2 s[6:7], s[0:1], 0x20
	s_mov_b32 s34, s3
	s_ashr_i32 s35, s3, 31
	s_lshl_b64 s[8:9], s[34:35], 2
	s_waitcnt lgkmcnt(0)
	s_add_u32 s6, s6, s8
	s_addc_u32 s7, s7, s9
	s_load_dwordx2 s[26:27], s[6:7], 0x0
	s_waitcnt lgkmcnt(0)
	s_sub_i32 s33, s27, s26
	s_add_i32 s3, s33, 13
	s_mul_hi_i32 s5, s3, 0x92492493
	s_add_i32 s5, s5, s3
	s_lshr_b32 s3, s5, 31
	s_ashr_i32 s5, s5, 3
	s_add_i32 s5, s5, s3
	s_cmp_ge_i32 s4, s5
	s_cbranch_scc1 .LBB144_168
; %bb.1:
	v_bfe_u32 v16, v0, 10, 10
	v_lshlrev_b32_e32 v114, 6, v16
	v_and_b32_e32 v17, 0x3ff, v0
	s_load_dwordx4 s[12:15], s[0:1], 0x30
	s_load_dwordx2 s[20:21], s[0:1], 0x40
	s_load_dwordx4 s[8:11], s[0:1], 0x4c
	s_load_dwordx4 s[16:19], s[0:1], 0x68
	s_load_dwordx2 s[24:25], s[0:1], 0x78
	v_add_u32_e32 v116, v114, v17
	s_ashr_i32 s27, s26, 31
	s_waitcnt lgkmcnt(0)
	v_cmp_le_i32_e32 vcc, s12, v116
	v_and_b32_e32 v115, 15, v17
                                        ; implicit-def: $sgpr3
	s_and_saveexec_b64 s[6:7], vcc
	s_xor_b64 s[6:7], exec, s[6:7]
; %bb.2:
	v_and_b32_e32 v115, 15, v17
	s_mov_b32 s3, 0
                                        ; implicit-def: $vgpr116
; %bb.3:
	s_or_saveexec_b64 s[22:23], s[6:7]
	s_load_dwordx2 s[6:7], s[0:1], 0x18
                                        ; implicit-def: $vgpr119 : SGPR spill to VGPR lane
	s_lshl_b32 s11, s2, 6
	s_mul_i32 s2, s4, 14
	v_mov_b32_e32 v15, s3
	v_mov_b32_e32 v14, s3
	s_waitcnt lgkmcnt(0)
	v_writelane_b32 v119, s6, 0
	v_mov_b32_e32 v13, s3
	v_mov_b32_e32 v12, s3
	v_writelane_b32 v119, s7, 1
	s_load_dwordx2 s[6:7], s[0:1], 0x28
	v_mov_b32_e32 v3, s3
	v_mov_b32_e32 v2, s3
	;; [unrolled: 1-line block ×4, first 2 shown]
	s_waitcnt lgkmcnt(0)
	v_writelane_b32 v119, s6, 2
	v_mov_b32_e32 v7, s3
	v_mov_b32_e32 v6, s3
	v_writelane_b32 v119, s7, 3
	v_mov_b32_e32 v5, s3
	v_mov_b32_e32 v4, s3
	v_mov_b32_e32 v11, s3
	v_mov_b32_e32 v10, s3
	v_mov_b32_e32 v9, s3
	v_mov_b32_e32 v8, s3
	v_writelane_b32 v119, s22, 4
	s_nop 1
	v_writelane_b32 v119, s23, 5
	s_xor_b64 exec, exec, s[22:23]
	s_cbranch_execz .LBB144_161
; %bb.4:
	v_writelane_b32 v119, s24, 6
	s_load_dwordx4 s[4:7], s[0:1], 0x0
	s_load_dwordx2 s[22:23], s[0:1], 0x10
	v_writelane_b32 v119, s25, 7
	s_mul_i32 s0, s34, s8
	s_mul_i32 s24, s11, s15
	s_ashr_i32 s1, s0, 31
	s_ashr_i32 s25, s24, 31
	s_lshl_b64 s[24:25], s[24:25], 2
	s_lshl_b64 s[0:1], s[0:1], 2
	s_add_u32 s24, s0, s24
	v_writelane_b32 v119, s11, 8
	s_addc_u32 s25, s1, s25
	s_waitcnt lgkmcnt(0)
	s_add_u32 s0, s24, s4
	v_writelane_b32 v119, s26, 9
	s_addc_u32 s1, s25, s5
	s_movk_i32 s3, 0x1080
	v_writelane_b32 v119, s27, 10
	s_lshl_b64 s[26:27], s[26:27], 2
	s_add_u32 s8, s22, s26
	s_addc_u32 s11, s23, s27
	s_cmp_lt_i32 s2, s33
	v_mad_u32_u24 v1, v16, s3, 0
	s_cselect_b64 s[34:35], -1, 0
	s_ashr_i32 s3, s2, 31
	s_lshl_b64 s[22:23], s[2:3], 2
	s_add_u32 s36, s8, s22
	s_addc_u32 s37, s11, s23
	s_or_b32 s3, s2, 1
	s_cmp_lt_i32 s3, s33
	v_lshrrev_b32_e32 v3, 1, v17
	s_cselect_b64 s[38:39], -1, 0
	s_add_i32 s3, s2, 2
	v_mov_b32_e32 v19, 0
	v_lshlrev_b32_e32 v0, 2, v17
	v_mul_u32_u24_e32 v2, 0x108, v115
	v_and_b32_e32 v3, 0x1f8, v3
	s_cmp_lt_i32 s3, s33
	v_lshlrev_b32_e32 v18, 8, v16
	v_add_u32_e32 v117, v1, v0
	v_add3_u32 v118, v1, v2, v3
	s_cselect_b64 s[40:41], -1, 0
	s_add_i32 s3, s2, 3
	v_lshl_add_u64 v[2:3], s[24:25], 0, v[18:19]
	v_mov_b32_e32 v1, v19
	s_cmp_lt_i32 s3, s33
	v_lshl_add_u64 v[0:1], v[2:3], 0, v[0:1]
	s_cselect_b64 s[42:43], -1, 0
	s_add_i32 s3, s2, 4
	v_lshl_add_u64 v[20:21], s[4:5], 0, v[0:1]
	s_mul_i32 s4, s15, 3
	s_cmp_lt_i32 s3, s33
	v_writelane_b32 v119, s4, 11
	s_mul_i32 s4, s15, 5
	s_cselect_b64 s[44:45], -1, 0
	s_add_i32 s3, s2, 5
	v_writelane_b32 v119, s4, 12
	s_mul_i32 s4, s15, 6
	s_cmp_lt_i32 s3, s33
	v_writelane_b32 v119, s4, 13
	s_mul_i32 s4, s15, 7
	s_cselect_b64 s[46:47], -1, 0
	s_add_i32 s3, s2, 6
	v_writelane_b32 v119, s4, 14
	;; [unrolled: 7-line block ×9, first 2 shown]
	s_mul_i32 s4, s15, 24
	s_cmp_lt_i32 s3, s33
	v_writelane_b32 v119, s4, 29
	s_mul_i32 s4, s15, 25
	s_cselect_b64 s[62:63], -1, 0
	s_ashr_i32 s23, s15, 31
	s_mov_b32 s22, s15
	v_writelane_b32 v119, s4, 30
	s_mul_i32 s4, s15, 26
	s_lshl_b64 s[64:65], s[22:23], 2
	s_lshl_b32 s3, s15, 1
	s_lshl_b32 s70, s15, 2
	;; [unrolled: 1-line block ×4, first 2 shown]
	v_writelane_b32 v119, s4, 31
	s_mul_i32 s93, s15, 27
	v_mov_b32_e32 v8, 0
	v_mov_b32_e32 v9, v19
	;; [unrolled: 1-line block ×16, first 2 shown]
	s_mul_i32 s94, s15, 28
	s_mul_i32 s95, s15, 29
	;; [unrolled: 1-line block ×4, first 2 shown]
	s_lshl_b32 s98, s15, 5
	s_mul_i32 s99, s15, 33
	s_mul_i32 s24, s15, 34
	;; [unrolled: 1-line block ×31, first 2 shown]
	s_mov_b32 s90, 0x7f800000
	s_movk_i32 s91, 0x7fff
	s_mov_b32 s92, 0x7060302
	s_mov_b64 s[4:5], 0
	s_mov_b64 s[66:67], 0x800
	s_branch .LBB144_6
.LBB144_5:                              ;   in Loop: Header=BB144_6 Depth=1
	s_or_b64 exec, exec, s[68:69]
	v_perm_b32 v18, v86, v18, s92
	v_add_u32_e32 v86, 0xc00, v117
	ds_write2_b32 v86, v18, v19 offset0:90 offset1:156
	ds_write_b32 v117, v19 offset:3960
	ds_read2_b64 v[86:89], v118 offset1:4
	v_add_u32_e32 v116, 0x200, v116
	v_cmp_le_i32_e32 vcc, s12, v116
	v_lshl_add_u64 v[20:21], v[20:21], 0, s[66:67]
	s_waitcnt lgkmcnt(0)
	v_mfma_f32_16x16x16_bf16 v[0:3], v[70:71], v[86:87], v[0:3]
	s_or_b64 s[4:5], vcc, s[4:5]
	v_mfma_f32_16x16x16_bf16 v[8:11], v[38:39], v[86:87], v[8:11]
	v_mfma_f32_16x16x16_bf16 v[4:7], v[54:55], v[86:87], v[4:7]
	v_mfma_f32_16x16x16_bf16 v[12:15], v[84:85], v[86:87], v[12:15]
	v_mfma_f32_16x16x16_bf16 v[0:3], v[68:69], v[88:89], v[0:3]
	ds_read2_b64 v[68:71], v118 offset0:8 offset1:12
	v_mfma_f32_16x16x16_bf16 v[8:11], v[34:35], v[88:89], v[8:11]
	v_mfma_f32_16x16x16_bf16 v[4:7], v[50:51], v[88:89], v[4:7]
	v_mfma_f32_16x16x16_bf16 v[12:15], v[82:83], v[88:89], v[12:15]
	s_waitcnt lgkmcnt(0)
	v_mfma_f32_16x16x16_bf16 v[8:11], v[32:33], v[68:69], v[8:11]
	v_mfma_f32_16x16x16_bf16 v[4:7], v[48:49], v[68:69], v[4:7]
	v_mfma_f32_16x16x16_bf16 v[0:3], v[66:67], v[68:69], v[0:3]
	v_mfma_f32_16x16x16_bf16 v[12:15], v[78:79], v[68:69], v[12:15]
	v_mfma_f32_16x16x16_bf16 v[8:11], v[30:31], v[70:71], v[8:11]
	ds_read2_b64 v[30:33], v118 offset0:16 offset1:20
	v_mfma_f32_16x16x16_bf16 v[4:7], v[46:47], v[70:71], v[4:7]
	v_mfma_f32_16x16x16_bf16 v[0:3], v[64:65], v[70:71], v[0:3]
	v_mfma_f32_16x16x16_bf16 v[12:15], v[74:75], v[70:71], v[12:15]
	s_waitcnt lgkmcnt(0)
	v_mfma_f32_16x16x16_bf16 v[8:11], v[28:29], v[30:31], v[8:11]
	;; [unrolled: 10-line block ×3, first 2 shown]
	v_mfma_f32_16x16x16_bf16 v[4:7], v[40:41], v[26:27], v[4:7]
	v_mfma_f32_16x16x16_bf16 v[0:3], v[56:57], v[26:27], v[0:3]
	;; [unrolled: 1-line block ×7, first 2 shown]
	s_andn2_b64 exec, exec, s[4:5]
	s_cbranch_execz .LBB144_160
.LBB144_6:                              ; =>This Inner Loop Header: Depth=1
	v_readlane_b32 s68, v119, 11
	v_lshl_add_u64 v[22:23], v[20:21], 0, s[64:65]
	global_load_dword v18, v[20:21], off
	global_load_dword v48, v[22:23], off
	v_add_u32_e32 v24, s68, v116
	v_readlane_b32 s68, v119, 12
	v_add_u32_e32 v22, s3, v116
	v_ashrrev_i32_e32 v23, 31, v22
	v_add_u32_e32 v28, s68, v116
	v_readlane_b32 s68, v119, 13
	v_add_u32_e32 v26, s70, v116
	v_lshl_add_u64 v[22:23], v[22:23], 2, s[0:1]
	v_add_u32_e32 v30, s68, v116
	v_readlane_b32 s68, v119, 14
	v_ashrrev_i32_e32 v25, 31, v24
	v_ashrrev_i32_e32 v27, 31, v26
	v_add_u32_e32 v32, s68, v116
	v_ashrrev_i32_e32 v29, 31, v28
	v_ashrrev_i32_e32 v31, 31, v30
	;; [unrolled: 1-line block ×3, first 2 shown]
	v_lshl_add_u64 v[24:25], v[24:25], 2, s[0:1]
	v_lshl_add_u64 v[26:27], v[26:27], 2, s[0:1]
	;; [unrolled: 1-line block ×5, first 2 shown]
	global_load_dword v49, v[22:23], off
	global_load_dword v50, v[24:25], off
	global_load_dword v51, v[26:27], off
	global_load_dword v52, v[28:29], off
	global_load_dword v53, v[30:31], off
	global_load_dword v54, v[32:33], off
	v_readlane_b32 s68, v119, 15
	v_add_u32_e32 v22, s74, v116
	v_add_u32_e32 v38, s82, v116
	;; [unrolled: 1-line block ×3, first 2 shown]
	v_readlane_b32 s68, v119, 16
	v_ashrrev_i32_e32 v23, 31, v22
	v_ashrrev_i32_e32 v25, 31, v24
	v_add_u32_e32 v26, s68, v116
	v_readlane_b32 s68, v119, 17
	v_ashrrev_i32_e32 v27, 31, v26
	v_ashrrev_i32_e32 v39, 31, v38
	v_add_u32_e32 v28, s68, v116
	v_readlane_b32 s68, v119, 18
	v_ashrrev_i32_e32 v29, 31, v28
	v_lshl_add_u64 v[22:23], v[22:23], 2, s[0:1]
	v_add_u32_e32 v30, s68, v116
	v_readlane_b32 s68, v119, 19
	v_ashrrev_i32_e32 v31, 31, v30
	v_lshl_add_u64 v[24:25], v[24:25], 2, s[0:1]
	;; [unrolled: 4-line block ×6, first 2 shown]
	v_add_u32_e32 v42, s68, v116
	v_readlane_b32 s68, v119, 24
	v_lshl_add_u64 v[32:33], v[32:33], 2, s[0:1]
	v_lshl_add_u64 v[34:35], v[34:35], 2, s[0:1]
	v_add_u32_e32 v44, s68, v116
	v_readlane_b32 s68, v119, 25
	v_lshl_add_u64 v[36:37], v[36:37], 2, s[0:1]
	v_lshl_add_u64 v[38:39], v[38:39], 2, s[0:1]
	v_add_u32_e32 v46, s68, v116
	v_readlane_b32 s68, v119, 26
	global_load_dword v55, v[22:23], off
	global_load_dword v56, v[24:25], off
	;; [unrolled: 1-line block ×9, first 2 shown]
	s_nop 0
	global_load_dword v40, v[40:41], off
	v_add_u32_e32 v22, s68, v116
	v_readlane_b32 s68, v119, 27
	v_ashrrev_i32_e32 v43, 31, v42
	v_ashrrev_i32_e32 v45, 31, v44
	v_add_u32_e32 v24, s68, v116
	v_readlane_b32 s68, v119, 28
	v_ashrrev_i32_e32 v47, 31, v46
	v_ashrrev_i32_e32 v23, 31, v22
	v_add_u32_e32 v26, s68, v116
	v_readlane_b32 s68, v119, 29
	v_lshl_add_u64 v[42:43], v[42:43], 2, s[0:1]
	v_lshl_add_u64 v[44:45], v[44:45], 2, s[0:1]
	v_add_u32_e32 v28, s68, v116
	v_readlane_b32 s68, v119, 30
	v_lshl_add_u64 v[46:47], v[46:47], 2, s[0:1]
	s_waitcnt vmcnt(17)
	ds_write_b32 v117, v18
	s_waitcnt vmcnt(16)
	ds_write_b32 v117, v48 offset:264
	s_waitcnt vmcnt(15)
	ds_write_b32 v117, v49 offset:528
	;; [unrolled: 2-line block ×7, first 2 shown]
	v_add_u32_e32 v30, s68, v116
	v_lshl_add_u64 v[22:23], v[22:23], 2, s[0:1]
	v_ashrrev_i32_e32 v25, 31, v24
	v_ashrrev_i32_e32 v27, 31, v26
	;; [unrolled: 1-line block ×4, first 2 shown]
	v_readlane_b32 s68, v119, 31
	v_lshl_add_u64 v[24:25], v[24:25], 2, s[0:1]
	v_lshl_add_u64 v[26:27], v[26:27], 2, s[0:1]
	;; [unrolled: 1-line block ×4, first 2 shown]
	global_load_dword v18, v[42:43], off
	global_load_dword v41, v[44:45], off
	s_nop 0
	global_load_dword v42, v[46:47], off
	global_load_dword v43, v[22:23], off
	;; [unrolled: 1-line block ×4, first 2 shown]
	s_nop 0
	global_load_dword v46, v[28:29], off
	global_load_dword v47, v[30:31], off
	v_add_u32_e32 v22, s68, v116
	v_ashrrev_i32_e32 v23, 31, v22
	v_add_u32_e32 v24, s93, v116
	v_add_u32_e32 v26, s94, v116
	v_add_u32_e32 v28, s95, v116
	v_add_u32_e32 v30, s96, v116
	v_add_u32_e32 v32, s97, v116
	v_add_u32_e32 v34, s98, v116
	v_add_u32_e32 v36, s99, v116
	v_lshl_add_u64 v[22:23], v[22:23], 2, s[0:1]
	v_ashrrev_i32_e32 v25, 31, v24
	v_ashrrev_i32_e32 v27, 31, v26
	v_ashrrev_i32_e32 v29, 31, v28
	v_ashrrev_i32_e32 v31, 31, v30
	v_ashrrev_i32_e32 v33, 31, v32
	v_ashrrev_i32_e32 v35, 31, v34
	v_ashrrev_i32_e32 v37, 31, v36
	v_lshl_add_u64 v[24:25], v[24:25], 2, s[0:1]
	v_lshl_add_u64 v[26:27], v[26:27], 2, s[0:1]
	v_lshl_add_u64 v[28:29], v[28:29], 2, s[0:1]
	v_lshl_add_u64 v[30:31], v[30:31], 2, s[0:1]
	v_lshl_add_u64 v[32:33], v[32:33], 2, s[0:1]
	v_lshl_add_u64 v[34:35], v[34:35], 2, s[0:1]
	v_lshl_add_u64 v[36:37], v[36:37], 2, s[0:1]
	global_load_dword v48, v[22:23], off
	global_load_dword v49, v[24:25], off
	global_load_dword v50, v[26:27], off
	global_load_dword v51, v[28:29], off
	global_load_dword v52, v[30:31], off
	global_load_dword v53, v[32:33], off
	global_load_dword v64, v[34:35], off
	global_load_dword v65, v[36:37], off
	v_add_u32_e32 v22, s24, v116
	v_ashrrev_i32_e32 v23, 31, v22
	v_add_u32_e32 v24, s25, v116
	v_add_u32_e32 v26, s22, v116
	v_add_u32_e32 v28, s23, v116
	v_add_u32_e32 v30, s28, v116
	v_add_u32_e32 v32, s29, v116
	v_add_u32_e32 v34, s11, v116
	v_add_u32_e32 v36, s30, v116
	v_lshl_add_u64 v[22:23], v[22:23], 2, s[0:1]
	v_ashrrev_i32_e32 v25, 31, v24
	v_ashrrev_i32_e32 v27, 31, v26
	v_ashrrev_i32_e32 v29, 31, v28
	v_ashrrev_i32_e32 v31, 31, v30
	v_ashrrev_i32_e32 v33, 31, v32
	v_ashrrev_i32_e32 v35, 31, v34
	v_ashrrev_i32_e32 v37, 31, v36
	v_lshl_add_u64 v[24:25], v[24:25], 2, s[0:1]
	v_lshl_add_u64 v[26:27], v[26:27], 2, s[0:1]
	v_lshl_add_u64 v[28:29], v[28:29], 2, s[0:1]
	v_lshl_add_u64 v[30:31], v[30:31], 2, s[0:1]
	v_lshl_add_u64 v[32:33], v[32:33], 2, s[0:1]
	v_lshl_add_u64 v[34:35], v[34:35], 2, s[0:1]
	v_lshl_add_u64 v[36:37], v[36:37], 2, s[0:1]
	global_load_dword v66, v[22:23], off
	global_load_dword v67, v[24:25], off
	global_load_dword v68, v[26:27], off
	global_load_dword v69, v[28:29], off
	global_load_dword v70, v[30:31], off
	global_load_dword v71, v[32:33], off
	;; [unrolled: 32-line block ×4, first 2 shown]
	global_load_dword v88, v[34:35], off
	global_load_dword v89, v[36:37], off
	v_add_u32_e32 v22, s85, v116
	v_ashrrev_i32_e32 v23, 31, v22
	v_add_u32_e32 v24, s86, v116
	v_add_u32_e32 v26, s87, v116
	;; [unrolled: 1-line block ×5, first 2 shown]
	v_lshl_add_u64 v[22:23], v[22:23], 2, s[0:1]
	v_ashrrev_i32_e32 v25, 31, v24
	v_ashrrev_i32_e32 v27, 31, v26
	;; [unrolled: 1-line block ×5, first 2 shown]
	v_lshl_add_u64 v[24:25], v[24:25], 2, s[0:1]
	v_lshl_add_u64 v[26:27], v[26:27], 2, s[0:1]
	;; [unrolled: 1-line block ×5, first 2 shown]
	global_load_dword v90, v[22:23], off
	global_load_dword v91, v[24:25], off
	;; [unrolled: 1-line block ×6, first 2 shown]
	s_waitcnt vmcnt(55)
	ds_write_b32 v117, v55 offset:2112
	s_waitcnt vmcnt(54)
	ds_write_b32 v117, v56 offset:2376
	s_waitcnt vmcnt(53)
	ds_write_b32 v117, v57 offset:2640
	s_waitcnt vmcnt(52)
	ds_write_b32 v117, v58 offset:2904
	s_waitcnt vmcnt(51)
	ds_write_b32 v117, v59 offset:3168
	s_waitcnt vmcnt(50)
	ds_write_b32 v117, v60 offset:3432
	s_waitcnt vmcnt(49)
	ds_write_b32 v117, v61 offset:3696
	s_waitcnt vmcnt(48)
	ds_write_b32 v117, v62 offset:3960
	ds_read_b64 v[38:39], v118
	ds_read_b64 v[34:35], v118 offset:32
	ds_read_b64 v[32:33], v118 offset:64
	ds_read_b64 v[30:31], v118 offset:96
	ds_read_b64 v[28:29], v118 offset:128
	ds_read_b64 v[26:27], v118 offset:160
	ds_read_b64 v[24:25], v118 offset:192
	ds_read_b64 v[22:23], v118 offset:224
	s_waitcnt vmcnt(47)
	ds_write_b32 v117, v63
	s_waitcnt vmcnt(46)
	ds_write_b32 v117, v40 offset:264
	s_waitcnt vmcnt(45)
	ds_write_b32 v117, v18 offset:528
	s_waitcnt vmcnt(44)
	ds_write_b32 v117, v41 offset:792
	s_waitcnt vmcnt(43)
	ds_write_b32 v117, v42 offset:1056
	s_waitcnt vmcnt(42)
	ds_write_b32 v117, v43 offset:1320
	s_waitcnt vmcnt(41)
	ds_write_b32 v117, v44 offset:1584
	s_waitcnt vmcnt(40)
	ds_write_b32 v117, v45 offset:1848
	s_waitcnt vmcnt(39)
	ds_write_b32 v117, v46 offset:2112
	s_waitcnt vmcnt(38)
	ds_write_b32 v117, v47 offset:2376
	s_waitcnt vmcnt(37)
	ds_write_b32 v117, v48 offset:2640
	s_waitcnt vmcnt(36)
	ds_write_b32 v117, v49 offset:2904
	s_waitcnt vmcnt(35)
	ds_write_b32 v117, v50 offset:3168
	s_waitcnt vmcnt(34)
	ds_write_b32 v117, v51 offset:3432
	s_waitcnt vmcnt(33)
	ds_write_b32 v117, v52 offset:3696
	s_waitcnt vmcnt(32)
	ds_write_b32 v117, v53 offset:3960
	ds_read_b64 v[54:55], v118
	ds_read_b64 v[50:51], v118 offset:32
	ds_read_b64 v[48:49], v118 offset:64
	ds_read_b64 v[46:47], v118 offset:96
	ds_read_b64 v[44:45], v118 offset:128
	ds_read_b64 v[42:43], v118 offset:160
	ds_read_b64 v[40:41], v118 offset:192
	ds_read_b64 v[36:37], v118 offset:224
	s_waitcnt vmcnt(31)
	ds_write_b32 v117, v64
	s_waitcnt vmcnt(30)
	ds_write_b32 v117, v65 offset:264
	s_waitcnt vmcnt(29)
	ds_write_b32 v117, v66 offset:528
	s_waitcnt vmcnt(28)
	ds_write_b32 v117, v67 offset:792
	s_waitcnt vmcnt(27)
	ds_write_b32 v117, v68 offset:1056
	s_waitcnt vmcnt(26)
	ds_write_b32 v117, v69 offset:1320
	s_waitcnt vmcnt(25)
	ds_write_b32 v117, v70 offset:1584
	s_waitcnt vmcnt(24)
	ds_write_b32 v117, v71 offset:1848
	;; [unrolled: 40-line block ×3, first 2 shown]
	s_waitcnt vmcnt(7)
	ds_write_b32 v117, v88 offset:2112
	s_waitcnt vmcnt(6)
	ds_write_b32 v117, v89 offset:2376
	;; [unrolled: 2-line block ×8, first 2 shown]
	ds_read_b64 v[84:85], v118
	ds_read_b64 v[82:83], v118 offset:32
	ds_read_b64 v[78:79], v118 offset:64
	;; [unrolled: 1-line block ×7, first 2 shown]
	s_andn2_b64 vcc, exec, s[34:35]
	v_mov_b32_e32 v112, 0
	v_mov_b32_e32 v113, 0
	s_cbranch_vccnz .LBB144_9
; %bb.7:                                ;   in Loop: Header=BB144_6 Depth=1
	s_load_dword s68, s[36:37], 0x0
	v_mov_b32_e32 v113, 0
	v_mov_b32_e32 v112, 0
	s_waitcnt lgkmcnt(0)
	s_mul_hi_u32 s69, s68, s16
	s_add_i32 s69, s68, s69
	s_lshr_b32 s69, s69, s17
	s_cmp_ge_i32 s69, s13
	s_cbranch_scc1 .LBB144_9
; %bb.8:                                ;   in Loop: Header=BB144_6 Depth=1
	s_mul_i32 vcc_lo, s69, s18
	s_sub_i32 s68, s68, vcc_lo
	s_mul_i32 s69, s69, s20
	s_mul_i32 s68, s68, s9
	v_add_u32_e32 v18, s69, v116
	v_lshl_add_u32 v86, v18, 1, s68
	v_ashrrev_i32_e32 v87, 31, v86
	v_lshl_add_u64 v[86:87], v[86:87], 2, s[6:7]
	global_load_dwordx2 v[112:113], v[86:87], off
.LBB144_9:                              ;   in Loop: Header=BB144_6 Depth=1
	s_andn2_b64 vcc, exec, s[38:39]
	v_mov_b32_e32 v106, 0
	v_mov_b32_e32 v110, 0
	v_mov_b32_e32 v111, 0
	s_cbranch_vccnz .LBB144_12
; %bb.10:                               ;   in Loop: Header=BB144_6 Depth=1
	s_load_dword s68, s[36:37], 0x4
	v_mov_b32_e32 v111, 0
	v_mov_b32_e32 v110, 0
	s_waitcnt lgkmcnt(0)
	s_mul_hi_u32 s69, s68, s16
	s_add_i32 s69, s68, s69
	s_lshr_b32 s69, s69, s17
	s_cmp_ge_i32 s69, s13
	s_cbranch_scc1 .LBB144_12
; %bb.11:                               ;   in Loop: Header=BB144_6 Depth=1
	s_mul_i32 vcc_lo, s69, s18
	s_sub_i32 s68, s68, vcc_lo
	s_mul_i32 s69, s69, s20
	s_mul_i32 s68, s68, s9
	v_add_u32_e32 v18, s69, v116
	v_lshl_add_u32 v86, v18, 1, s68
	v_ashrrev_i32_e32 v87, 31, v86
	v_lshl_add_u64 v[86:87], v[86:87], 2, s[6:7]
	global_load_dwordx2 v[110:111], v[86:87], off
.LBB144_12:                             ;   in Loop: Header=BB144_6 Depth=1
	s_andn2_b64 vcc, exec, s[40:41]
	v_mov_b32_e32 v107, 0
	s_cbranch_vccnz .LBB144_15
; %bb.13:                               ;   in Loop: Header=BB144_6 Depth=1
	s_load_dword s68, s[36:37], 0x8
	v_mov_b32_e32 v107, 0
	v_mov_b32_e32 v106, 0
	s_waitcnt lgkmcnt(0)
	s_mul_hi_u32 s69, s68, s16
	s_add_i32 s69, s68, s69
	s_lshr_b32 s69, s69, s17
	s_cmp_ge_i32 s69, s13
	s_cbranch_scc1 .LBB144_15
; %bb.14:                               ;   in Loop: Header=BB144_6 Depth=1
	s_mul_i32 vcc_lo, s69, s18
	s_sub_i32 s68, s68, vcc_lo
	s_mul_i32 s69, s69, s20
	s_mul_i32 s68, s68, s9
	v_add_u32_e32 v18, s69, v116
	v_lshl_add_u32 v86, v18, 1, s68
	v_ashrrev_i32_e32 v87, 31, v86
	v_lshl_add_u64 v[86:87], v[86:87], 2, s[6:7]
	global_load_dwordx2 v[106:107], v[86:87], off
.LBB144_15:                             ;   in Loop: Header=BB144_6 Depth=1
	s_andn2_b64 vcc, exec, s[42:43]
	v_mov_b32_e32 v102, 0
	v_mov_b32_e32 v108, 0
	v_mov_b32_e32 v109, 0
	s_cbranch_vccnz .LBB144_18
; %bb.16:                               ;   in Loop: Header=BB144_6 Depth=1
	s_load_dword s68, s[36:37], 0xc
	v_mov_b32_e32 v109, 0
	v_mov_b32_e32 v108, 0
	s_waitcnt lgkmcnt(0)
	s_mul_hi_u32 s69, s68, s16
	s_add_i32 s69, s68, s69
	s_lshr_b32 s69, s69, s17
	s_cmp_ge_i32 s69, s13
	s_cbranch_scc1 .LBB144_18
; %bb.17:                               ;   in Loop: Header=BB144_6 Depth=1
	s_mul_i32 vcc_lo, s69, s18
	s_sub_i32 s68, s68, vcc_lo
	s_mul_i32 s69, s69, s20
	s_mul_i32 s68, s68, s9
	v_add_u32_e32 v18, s69, v116
	v_lshl_add_u32 v86, v18, 1, s68
	v_ashrrev_i32_e32 v87, 31, v86
	v_lshl_add_u64 v[86:87], v[86:87], 2, s[6:7]
	global_load_dwordx2 v[108:109], v[86:87], off
.LBB144_18:                             ;   in Loop: Header=BB144_6 Depth=1
	s_andn2_b64 vcc, exec, s[44:45]
	v_mov_b32_e32 v103, 0
	s_cbranch_vccnz .LBB144_21
; %bb.19:                               ;   in Loop: Header=BB144_6 Depth=1
	s_load_dword s68, s[36:37], 0x10
	v_mov_b32_e32 v103, 0
	v_mov_b32_e32 v102, 0
	s_waitcnt lgkmcnt(0)
	s_mul_hi_u32 s69, s68, s16
	s_add_i32 s69, s68, s69
	s_lshr_b32 s69, s69, s17
	s_cmp_ge_i32 s69, s13
	s_cbranch_scc1 .LBB144_21
; %bb.20:                               ;   in Loop: Header=BB144_6 Depth=1
	s_mul_i32 vcc_lo, s69, s18
	s_sub_i32 s68, s68, vcc_lo
	s_mul_i32 s69, s69, s20
	s_mul_i32 s68, s68, s9
	v_add_u32_e32 v18, s69, v116
	v_lshl_add_u32 v86, v18, 1, s68
	v_ashrrev_i32_e32 v87, 31, v86
	v_lshl_add_u64 v[86:87], v[86:87], 2, s[6:7]
	global_load_dwordx2 v[102:103], v[86:87], off
.LBB144_21:                             ;   in Loop: Header=BB144_6 Depth=1
	;; [unrolled: 50-line block ×6, first 2 shown]
	s_andn2_b64 vcc, exec, s[62:63]
	v_mov_b32_e32 v88, 0
	v_mov_b32_e32 v89, 0
	s_cbranch_vccnz .LBB144_48
; %bb.46:                               ;   in Loop: Header=BB144_6 Depth=1
	s_load_dword s68, s[36:37], 0x34
	v_mov_b32_e32 v89, 0
	v_mov_b32_e32 v88, 0
	s_waitcnt lgkmcnt(0)
	s_mul_hi_u32 s69, s68, s16
	s_add_i32 s69, s68, s69
	s_lshr_b32 s69, s69, s17
	s_cmp_ge_i32 s69, s13
	s_cbranch_scc1 .LBB144_48
; %bb.47:                               ;   in Loop: Header=BB144_6 Depth=1
	s_mul_i32 vcc_lo, s69, s18
	s_sub_i32 s68, s68, vcc_lo
	s_mul_i32 s69, s69, s20
	s_mul_i32 s68, s68, s9
	v_add_u32_e32 v18, s69, v116
	v_lshl_add_u32 v88, v18, 1, s68
	v_ashrrev_i32_e32 v89, 31, v88
	v_lshl_add_u64 v[88:89], v[88:89], 2, s[6:7]
	global_load_dwordx2 v[88:89], v[88:89], off
.LBB144_48:                             ;   in Loop: Header=BB144_6 Depth=1
	s_waitcnt vmcnt(0)
	v_and_b32_e32 v18, 0x7f800000, v112
	v_cmp_ne_u32_e32 vcc, s90, v18
                                        ; implicit-def: $vgpr18
	s_and_saveexec_b64 s[68:69], vcc
	s_xor_b64 s[68:69], exec, s[68:69]
; %bb.49:                               ;   in Loop: Header=BB144_6 Depth=1
	v_bfe_u32 v18, v112, 16, 1
	v_add3_u32 v18, v112, v18, s91
; %bb.50:                               ;   in Loop: Header=BB144_6 Depth=1
	s_andn2_saveexec_b64 s[68:69], s[68:69]
; %bb.51:                               ;   in Loop: Header=BB144_6 Depth=1
	v_or_b32_e32 v18, 0x10000, v112
	v_cmp_eq_u32_sdwa vcc, v112, v19 src0_sel:WORD_0 src1_sel:DWORD
	s_nop 1
	v_cndmask_b32_e32 v18, v18, v112, vcc
; %bb.52:                               ;   in Loop: Header=BB144_6 Depth=1
	s_or_b64 exec, exec, s[68:69]
	v_and_b32_e32 v112, 0x7f800000, v113
	v_cmp_ne_u32_e32 vcc, s90, v112
                                        ; implicit-def: $vgpr112
	s_and_saveexec_b64 s[68:69], vcc
	s_xor_b64 s[68:69], exec, s[68:69]
; %bb.53:                               ;   in Loop: Header=BB144_6 Depth=1
	v_bfe_u32 v112, v113, 16, 1
	v_add3_u32 v112, v113, v112, s91
                                        ; implicit-def: $vgpr113
; %bb.54:                               ;   in Loop: Header=BB144_6 Depth=1
	s_andn2_saveexec_b64 s[68:69], s[68:69]
; %bb.55:                               ;   in Loop: Header=BB144_6 Depth=1
	v_or_b32_e32 v112, 0x10000, v113
	v_cmp_eq_u32_sdwa vcc, v113, v19 src0_sel:WORD_0 src1_sel:DWORD
	s_nop 1
	v_cndmask_b32_e32 v112, v112, v113, vcc
; %bb.56:                               ;   in Loop: Header=BB144_6 Depth=1
	s_or_b64 exec, exec, s[68:69]
	v_perm_b32 v18, v112, v18, s92
	ds_write_b32 v117, v18
	v_and_b32_e32 v18, 0x7f800000, v110
	v_cmp_ne_u32_e32 vcc, s90, v18
                                        ; implicit-def: $vgpr18
	s_and_saveexec_b64 s[68:69], vcc
	s_xor_b64 s[68:69], exec, s[68:69]
; %bb.57:                               ;   in Loop: Header=BB144_6 Depth=1
	v_bfe_u32 v18, v110, 16, 1
	v_add3_u32 v18, v110, v18, s91
; %bb.58:                               ;   in Loop: Header=BB144_6 Depth=1
	s_andn2_saveexec_b64 s[68:69], s[68:69]
; %bb.59:                               ;   in Loop: Header=BB144_6 Depth=1
	v_or_b32_e32 v18, 0x10000, v110
	v_cmp_eq_u32_sdwa vcc, v110, v19 src0_sel:WORD_0 src1_sel:DWORD
	s_nop 1
	v_cndmask_b32_e32 v18, v18, v110, vcc
; %bb.60:                               ;   in Loop: Header=BB144_6 Depth=1
	s_or_b64 exec, exec, s[68:69]
	v_and_b32_e32 v110, 0x7f800000, v111
	v_cmp_ne_u32_e32 vcc, s90, v110
                                        ; implicit-def: $vgpr110
	s_and_saveexec_b64 s[68:69], vcc
	s_xor_b64 s[68:69], exec, s[68:69]
; %bb.61:                               ;   in Loop: Header=BB144_6 Depth=1
	v_bfe_u32 v110, v111, 16, 1
	v_add3_u32 v110, v111, v110, s91
                                        ; implicit-def: $vgpr111
; %bb.62:                               ;   in Loop: Header=BB144_6 Depth=1
	s_andn2_saveexec_b64 s[68:69], s[68:69]
; %bb.63:                               ;   in Loop: Header=BB144_6 Depth=1
	v_or_b32_e32 v110, 0x10000, v111
	v_cmp_eq_u32_sdwa vcc, v111, v19 src0_sel:WORD_0 src1_sel:DWORD
	s_nop 1
	v_cndmask_b32_e32 v110, v110, v111, vcc
; %bb.64:                               ;   in Loop: Header=BB144_6 Depth=1
	s_or_b64 exec, exec, s[68:69]
	v_perm_b32 v18, v110, v18, s92
	ds_write_b32 v117, v18 offset:264
	v_and_b32_e32 v18, 0x7f800000, v106
	v_cmp_ne_u32_e32 vcc, s90, v18
                                        ; implicit-def: $vgpr18
	s_and_saveexec_b64 s[68:69], vcc
	s_xor_b64 s[68:69], exec, s[68:69]
; %bb.65:                               ;   in Loop: Header=BB144_6 Depth=1
	v_bfe_u32 v18, v106, 16, 1
	v_add3_u32 v18, v106, v18, s91
; %bb.66:                               ;   in Loop: Header=BB144_6 Depth=1
	s_andn2_saveexec_b64 s[68:69], s[68:69]
; %bb.67:                               ;   in Loop: Header=BB144_6 Depth=1
	v_or_b32_e32 v18, 0x10000, v106
	v_cmp_eq_u32_sdwa vcc, v106, v19 src0_sel:WORD_0 src1_sel:DWORD
	s_nop 1
	v_cndmask_b32_e32 v18, v18, v106, vcc
; %bb.68:                               ;   in Loop: Header=BB144_6 Depth=1
	s_or_b64 exec, exec, s[68:69]
	v_and_b32_e32 v106, 0x7f800000, v107
	v_cmp_ne_u32_e32 vcc, s90, v106
                                        ; implicit-def: $vgpr106
	s_and_saveexec_b64 s[68:69], vcc
	s_xor_b64 s[68:69], exec, s[68:69]
; %bb.69:                               ;   in Loop: Header=BB144_6 Depth=1
	v_bfe_u32 v106, v107, 16, 1
	v_add3_u32 v106, v107, v106, s91
                                        ; implicit-def: $vgpr107
; %bb.70:                               ;   in Loop: Header=BB144_6 Depth=1
	s_andn2_saveexec_b64 s[68:69], s[68:69]
; %bb.71:                               ;   in Loop: Header=BB144_6 Depth=1
	v_or_b32_e32 v106, 0x10000, v107
	v_cmp_eq_u32_sdwa vcc, v107, v19 src0_sel:WORD_0 src1_sel:DWORD
	s_nop 1
	v_cndmask_b32_e32 v106, v106, v107, vcc
; %bb.72:                               ;   in Loop: Header=BB144_6 Depth=1
	s_or_b64 exec, exec, s[68:69]
	v_perm_b32 v18, v106, v18, s92
	ds_write_b32 v117, v18 offset:528
	v_and_b32_e32 v18, 0x7f800000, v108
	v_cmp_ne_u32_e32 vcc, s90, v18
                                        ; implicit-def: $vgpr18
	s_and_saveexec_b64 s[68:69], vcc
	s_xor_b64 s[68:69], exec, s[68:69]
; %bb.73:                               ;   in Loop: Header=BB144_6 Depth=1
	v_bfe_u32 v18, v108, 16, 1
	v_add3_u32 v18, v108, v18, s91
; %bb.74:                               ;   in Loop: Header=BB144_6 Depth=1
	s_andn2_saveexec_b64 s[68:69], s[68:69]
; %bb.75:                               ;   in Loop: Header=BB144_6 Depth=1
	v_or_b32_e32 v18, 0x10000, v108
	v_cmp_eq_u32_sdwa vcc, v108, v19 src0_sel:WORD_0 src1_sel:DWORD
	s_nop 1
	v_cndmask_b32_e32 v18, v18, v108, vcc
; %bb.76:                               ;   in Loop: Header=BB144_6 Depth=1
	s_or_b64 exec, exec, s[68:69]
	v_and_b32_e32 v106, 0x7f800000, v109
	v_cmp_ne_u32_e32 vcc, s90, v106
                                        ; implicit-def: $vgpr106
	s_and_saveexec_b64 s[68:69], vcc
	s_xor_b64 s[68:69], exec, s[68:69]
; %bb.77:                               ;   in Loop: Header=BB144_6 Depth=1
	v_bfe_u32 v106, v109, 16, 1
	v_add3_u32 v106, v109, v106, s91
                                        ; implicit-def: $vgpr109
; %bb.78:                               ;   in Loop: Header=BB144_6 Depth=1
	s_andn2_saveexec_b64 s[68:69], s[68:69]
; %bb.79:                               ;   in Loop: Header=BB144_6 Depth=1
	v_or_b32_e32 v106, 0x10000, v109
	v_cmp_eq_u32_sdwa vcc, v109, v19 src0_sel:WORD_0 src1_sel:DWORD
	s_nop 1
	v_cndmask_b32_e32 v106, v106, v109, vcc
; %bb.80:                               ;   in Loop: Header=BB144_6 Depth=1
	s_or_b64 exec, exec, s[68:69]
	v_perm_b32 v18, v106, v18, s92
	ds_write_b32 v117, v18 offset:792
	v_and_b32_e32 v18, 0x7f800000, v102
	v_cmp_ne_u32_e32 vcc, s90, v18
                                        ; implicit-def: $vgpr18
	s_and_saveexec_b64 s[68:69], vcc
	s_xor_b64 s[68:69], exec, s[68:69]
; %bb.81:                               ;   in Loop: Header=BB144_6 Depth=1
	v_bfe_u32 v18, v102, 16, 1
	v_add3_u32 v18, v102, v18, s91
; %bb.82:                               ;   in Loop: Header=BB144_6 Depth=1
	s_andn2_saveexec_b64 s[68:69], s[68:69]
; %bb.83:                               ;   in Loop: Header=BB144_6 Depth=1
	v_or_b32_e32 v18, 0x10000, v102
	v_cmp_eq_u32_sdwa vcc, v102, v19 src0_sel:WORD_0 src1_sel:DWORD
	s_nop 1
	v_cndmask_b32_e32 v18, v18, v102, vcc
; %bb.84:                               ;   in Loop: Header=BB144_6 Depth=1
	s_or_b64 exec, exec, s[68:69]
	v_and_b32_e32 v102, 0x7f800000, v103
	v_cmp_ne_u32_e32 vcc, s90, v102
                                        ; implicit-def: $vgpr102
	s_and_saveexec_b64 s[68:69], vcc
	s_xor_b64 s[68:69], exec, s[68:69]
; %bb.85:                               ;   in Loop: Header=BB144_6 Depth=1
	v_bfe_u32 v102, v103, 16, 1
	v_add3_u32 v102, v103, v102, s91
                                        ; implicit-def: $vgpr103
; %bb.86:                               ;   in Loop: Header=BB144_6 Depth=1
	s_andn2_saveexec_b64 s[68:69], s[68:69]
; %bb.87:                               ;   in Loop: Header=BB144_6 Depth=1
	v_or_b32_e32 v102, 0x10000, v103
	v_cmp_eq_u32_sdwa vcc, v103, v19 src0_sel:WORD_0 src1_sel:DWORD
	s_nop 1
	v_cndmask_b32_e32 v102, v102, v103, vcc
; %bb.88:                               ;   in Loop: Header=BB144_6 Depth=1
	s_or_b64 exec, exec, s[68:69]
	v_perm_b32 v18, v102, v18, s92
	ds_write_b32 v117, v18 offset:1056
	v_and_b32_e32 v18, 0x7f800000, v104
	v_cmp_ne_u32_e32 vcc, s90, v18
                                        ; implicit-def: $vgpr18
	s_and_saveexec_b64 s[68:69], vcc
	s_xor_b64 s[68:69], exec, s[68:69]
; %bb.89:                               ;   in Loop: Header=BB144_6 Depth=1
	v_bfe_u32 v18, v104, 16, 1
	v_add3_u32 v18, v104, v18, s91
; %bb.90:                               ;   in Loop: Header=BB144_6 Depth=1
	s_andn2_saveexec_b64 s[68:69], s[68:69]
; %bb.91:                               ;   in Loop: Header=BB144_6 Depth=1
	v_or_b32_e32 v18, 0x10000, v104
	v_cmp_eq_u32_sdwa vcc, v104, v19 src0_sel:WORD_0 src1_sel:DWORD
	s_nop 1
	v_cndmask_b32_e32 v18, v18, v104, vcc
; %bb.92:                               ;   in Loop: Header=BB144_6 Depth=1
	s_or_b64 exec, exec, s[68:69]
	v_and_b32_e32 v102, 0x7f800000, v105
	v_cmp_ne_u32_e32 vcc, s90, v102
                                        ; implicit-def: $vgpr102
	s_and_saveexec_b64 s[68:69], vcc
	s_xor_b64 s[68:69], exec, s[68:69]
; %bb.93:                               ;   in Loop: Header=BB144_6 Depth=1
	v_bfe_u32 v102, v105, 16, 1
	v_add3_u32 v102, v105, v102, s91
                                        ; implicit-def: $vgpr105
; %bb.94:                               ;   in Loop: Header=BB144_6 Depth=1
	s_andn2_saveexec_b64 s[68:69], s[68:69]
; %bb.95:                               ;   in Loop: Header=BB144_6 Depth=1
	v_or_b32_e32 v102, 0x10000, v105
	v_cmp_eq_u32_sdwa vcc, v105, v19 src0_sel:WORD_0 src1_sel:DWORD
	s_nop 1
	v_cndmask_b32_e32 v102, v102, v105, vcc
; %bb.96:                               ;   in Loop: Header=BB144_6 Depth=1
	s_or_b64 exec, exec, s[68:69]
	v_perm_b32 v18, v102, v18, s92
	ds_write_b32 v117, v18 offset:1320
	v_and_b32_e32 v18, 0x7f800000, v98
	v_cmp_ne_u32_e32 vcc, s90, v18
                                        ; implicit-def: $vgpr18
	s_and_saveexec_b64 s[68:69], vcc
	s_xor_b64 s[68:69], exec, s[68:69]
; %bb.97:                               ;   in Loop: Header=BB144_6 Depth=1
	v_bfe_u32 v18, v98, 16, 1
	v_add3_u32 v18, v98, v18, s91
; %bb.98:                               ;   in Loop: Header=BB144_6 Depth=1
	s_andn2_saveexec_b64 s[68:69], s[68:69]
; %bb.99:                               ;   in Loop: Header=BB144_6 Depth=1
	v_or_b32_e32 v18, 0x10000, v98
	v_cmp_eq_u32_sdwa vcc, v98, v19 src0_sel:WORD_0 src1_sel:DWORD
	s_nop 1
	v_cndmask_b32_e32 v18, v18, v98, vcc
; %bb.100:                              ;   in Loop: Header=BB144_6 Depth=1
	s_or_b64 exec, exec, s[68:69]
	v_and_b32_e32 v98, 0x7f800000, v99
	v_cmp_ne_u32_e32 vcc, s90, v98
                                        ; implicit-def: $vgpr98
	s_and_saveexec_b64 s[68:69], vcc
	s_xor_b64 s[68:69], exec, s[68:69]
; %bb.101:                              ;   in Loop: Header=BB144_6 Depth=1
	v_bfe_u32 v98, v99, 16, 1
	v_add3_u32 v98, v99, v98, s91
                                        ; implicit-def: $vgpr99
; %bb.102:                              ;   in Loop: Header=BB144_6 Depth=1
	s_andn2_saveexec_b64 s[68:69], s[68:69]
; %bb.103:                              ;   in Loop: Header=BB144_6 Depth=1
	v_or_b32_e32 v98, 0x10000, v99
	v_cmp_eq_u32_sdwa vcc, v99, v19 src0_sel:WORD_0 src1_sel:DWORD
	s_nop 1
	v_cndmask_b32_e32 v98, v98, v99, vcc
; %bb.104:                              ;   in Loop: Header=BB144_6 Depth=1
	s_or_b64 exec, exec, s[68:69]
	v_perm_b32 v18, v98, v18, s92
	ds_write_b32 v117, v18 offset:1584
	v_and_b32_e32 v18, 0x7f800000, v100
	v_cmp_ne_u32_e32 vcc, s90, v18
                                        ; implicit-def: $vgpr18
	s_and_saveexec_b64 s[68:69], vcc
	s_xor_b64 s[68:69], exec, s[68:69]
; %bb.105:                              ;   in Loop: Header=BB144_6 Depth=1
	v_bfe_u32 v18, v100, 16, 1
	v_add3_u32 v18, v100, v18, s91
; %bb.106:                              ;   in Loop: Header=BB144_6 Depth=1
	s_andn2_saveexec_b64 s[68:69], s[68:69]
; %bb.107:                              ;   in Loop: Header=BB144_6 Depth=1
	v_or_b32_e32 v18, 0x10000, v100
	v_cmp_eq_u32_sdwa vcc, v100, v19 src0_sel:WORD_0 src1_sel:DWORD
	s_nop 1
	v_cndmask_b32_e32 v18, v18, v100, vcc
; %bb.108:                              ;   in Loop: Header=BB144_6 Depth=1
	s_or_b64 exec, exec, s[68:69]
	v_and_b32_e32 v98, 0x7f800000, v101
	v_cmp_ne_u32_e32 vcc, s90, v98
                                        ; implicit-def: $vgpr98
	s_and_saveexec_b64 s[68:69], vcc
	s_xor_b64 s[68:69], exec, s[68:69]
; %bb.109:                              ;   in Loop: Header=BB144_6 Depth=1
	v_bfe_u32 v98, v101, 16, 1
	v_add3_u32 v98, v101, v98, s91
                                        ; implicit-def: $vgpr101
; %bb.110:                              ;   in Loop: Header=BB144_6 Depth=1
	s_andn2_saveexec_b64 s[68:69], s[68:69]
; %bb.111:                              ;   in Loop: Header=BB144_6 Depth=1
	v_or_b32_e32 v98, 0x10000, v101
	v_cmp_eq_u32_sdwa vcc, v101, v19 src0_sel:WORD_0 src1_sel:DWORD
	s_nop 1
	v_cndmask_b32_e32 v98, v98, v101, vcc
; %bb.112:                              ;   in Loop: Header=BB144_6 Depth=1
	s_or_b64 exec, exec, s[68:69]
	v_perm_b32 v18, v98, v18, s92
	ds_write_b32 v117, v18 offset:1848
	v_and_b32_e32 v18, 0x7f800000, v94
	v_cmp_ne_u32_e32 vcc, s90, v18
                                        ; implicit-def: $vgpr18
	s_and_saveexec_b64 s[68:69], vcc
	s_xor_b64 s[68:69], exec, s[68:69]
; %bb.113:                              ;   in Loop: Header=BB144_6 Depth=1
	v_bfe_u32 v18, v94, 16, 1
	v_add3_u32 v18, v94, v18, s91
; %bb.114:                              ;   in Loop: Header=BB144_6 Depth=1
	s_andn2_saveexec_b64 s[68:69], s[68:69]
; %bb.115:                              ;   in Loop: Header=BB144_6 Depth=1
	v_or_b32_e32 v18, 0x10000, v94
	v_cmp_eq_u32_sdwa vcc, v94, v19 src0_sel:WORD_0 src1_sel:DWORD
	s_nop 1
	v_cndmask_b32_e32 v18, v18, v94, vcc
; %bb.116:                              ;   in Loop: Header=BB144_6 Depth=1
	s_or_b64 exec, exec, s[68:69]
	v_and_b32_e32 v94, 0x7f800000, v95
	v_cmp_ne_u32_e32 vcc, s90, v94
                                        ; implicit-def: $vgpr94
	s_and_saveexec_b64 s[68:69], vcc
	s_xor_b64 s[68:69], exec, s[68:69]
; %bb.117:                              ;   in Loop: Header=BB144_6 Depth=1
	v_bfe_u32 v94, v95, 16, 1
	v_add3_u32 v94, v95, v94, s91
                                        ; implicit-def: $vgpr95
; %bb.118:                              ;   in Loop: Header=BB144_6 Depth=1
	s_andn2_saveexec_b64 s[68:69], s[68:69]
; %bb.119:                              ;   in Loop: Header=BB144_6 Depth=1
	v_or_b32_e32 v94, 0x10000, v95
	v_cmp_eq_u32_sdwa vcc, v95, v19 src0_sel:WORD_0 src1_sel:DWORD
	s_nop 1
	v_cndmask_b32_e32 v94, v94, v95, vcc
; %bb.120:                              ;   in Loop: Header=BB144_6 Depth=1
	s_or_b64 exec, exec, s[68:69]
	v_perm_b32 v18, v94, v18, s92
	ds_write_b32 v117, v18 offset:2112
	v_and_b32_e32 v18, 0x7f800000, v96
	v_cmp_ne_u32_e32 vcc, s90, v18
                                        ; implicit-def: $vgpr18
	s_and_saveexec_b64 s[68:69], vcc
	s_xor_b64 s[68:69], exec, s[68:69]
; %bb.121:                              ;   in Loop: Header=BB144_6 Depth=1
	v_bfe_u32 v18, v96, 16, 1
	v_add3_u32 v18, v96, v18, s91
; %bb.122:                              ;   in Loop: Header=BB144_6 Depth=1
	s_andn2_saveexec_b64 s[68:69], s[68:69]
; %bb.123:                              ;   in Loop: Header=BB144_6 Depth=1
	v_or_b32_e32 v18, 0x10000, v96
	v_cmp_eq_u32_sdwa vcc, v96, v19 src0_sel:WORD_0 src1_sel:DWORD
	s_nop 1
	v_cndmask_b32_e32 v18, v18, v96, vcc
; %bb.124:                              ;   in Loop: Header=BB144_6 Depth=1
	s_or_b64 exec, exec, s[68:69]
	v_and_b32_e32 v94, 0x7f800000, v97
	v_cmp_ne_u32_e32 vcc, s90, v94
                                        ; implicit-def: $vgpr94
	s_and_saveexec_b64 s[68:69], vcc
	s_xor_b64 s[68:69], exec, s[68:69]
; %bb.125:                              ;   in Loop: Header=BB144_6 Depth=1
	v_bfe_u32 v94, v97, 16, 1
	v_add3_u32 v94, v97, v94, s91
                                        ; implicit-def: $vgpr97
; %bb.126:                              ;   in Loop: Header=BB144_6 Depth=1
	s_andn2_saveexec_b64 s[68:69], s[68:69]
; %bb.127:                              ;   in Loop: Header=BB144_6 Depth=1
	v_or_b32_e32 v94, 0x10000, v97
	v_cmp_eq_u32_sdwa vcc, v97, v19 src0_sel:WORD_0 src1_sel:DWORD
	s_nop 1
	v_cndmask_b32_e32 v94, v94, v97, vcc
; %bb.128:                              ;   in Loop: Header=BB144_6 Depth=1
	s_or_b64 exec, exec, s[68:69]
	v_perm_b32 v18, v94, v18, s92
	ds_write_b32 v117, v18 offset:2376
	v_and_b32_e32 v18, 0x7f800000, v90
	v_cmp_ne_u32_e32 vcc, s90, v18
                                        ; implicit-def: $vgpr18
	s_and_saveexec_b64 s[68:69], vcc
	s_xor_b64 s[68:69], exec, s[68:69]
; %bb.129:                              ;   in Loop: Header=BB144_6 Depth=1
	v_bfe_u32 v18, v90, 16, 1
	v_add3_u32 v18, v90, v18, s91
; %bb.130:                              ;   in Loop: Header=BB144_6 Depth=1
	s_andn2_saveexec_b64 s[68:69], s[68:69]
; %bb.131:                              ;   in Loop: Header=BB144_6 Depth=1
	v_or_b32_e32 v18, 0x10000, v90
	v_cmp_eq_u32_sdwa vcc, v90, v19 src0_sel:WORD_0 src1_sel:DWORD
	s_nop 1
	v_cndmask_b32_e32 v18, v18, v90, vcc
; %bb.132:                              ;   in Loop: Header=BB144_6 Depth=1
	s_or_b64 exec, exec, s[68:69]
	v_and_b32_e32 v90, 0x7f800000, v91
	v_cmp_ne_u32_e32 vcc, s90, v90
                                        ; implicit-def: $vgpr90
	s_and_saveexec_b64 s[68:69], vcc
	s_xor_b64 s[68:69], exec, s[68:69]
; %bb.133:                              ;   in Loop: Header=BB144_6 Depth=1
	v_bfe_u32 v90, v91, 16, 1
	v_add3_u32 v90, v91, v90, s91
                                        ; implicit-def: $vgpr91
; %bb.134:                              ;   in Loop: Header=BB144_6 Depth=1
	s_andn2_saveexec_b64 s[68:69], s[68:69]
; %bb.135:                              ;   in Loop: Header=BB144_6 Depth=1
	v_or_b32_e32 v90, 0x10000, v91
	v_cmp_eq_u32_sdwa vcc, v91, v19 src0_sel:WORD_0 src1_sel:DWORD
	s_nop 1
	v_cndmask_b32_e32 v90, v90, v91, vcc
; %bb.136:                              ;   in Loop: Header=BB144_6 Depth=1
	s_or_b64 exec, exec, s[68:69]
	v_perm_b32 v18, v90, v18, s92
	ds_write_b32 v117, v18 offset:2640
	v_and_b32_e32 v18, 0x7f800000, v92
	v_cmp_ne_u32_e32 vcc, s90, v18
                                        ; implicit-def: $vgpr18
	s_and_saveexec_b64 s[68:69], vcc
	s_xor_b64 s[68:69], exec, s[68:69]
; %bb.137:                              ;   in Loop: Header=BB144_6 Depth=1
	v_bfe_u32 v18, v92, 16, 1
	v_add3_u32 v18, v92, v18, s91
; %bb.138:                              ;   in Loop: Header=BB144_6 Depth=1
	s_andn2_saveexec_b64 s[68:69], s[68:69]
; %bb.139:                              ;   in Loop: Header=BB144_6 Depth=1
	v_or_b32_e32 v18, 0x10000, v92
	v_cmp_eq_u32_sdwa vcc, v92, v19 src0_sel:WORD_0 src1_sel:DWORD
	s_nop 1
	v_cndmask_b32_e32 v18, v18, v92, vcc
; %bb.140:                              ;   in Loop: Header=BB144_6 Depth=1
	s_or_b64 exec, exec, s[68:69]
	v_and_b32_e32 v90, 0x7f800000, v93
	v_cmp_ne_u32_e32 vcc, s90, v90
                                        ; implicit-def: $vgpr90
	s_and_saveexec_b64 s[68:69], vcc
	s_xor_b64 s[68:69], exec, s[68:69]
; %bb.141:                              ;   in Loop: Header=BB144_6 Depth=1
	v_bfe_u32 v90, v93, 16, 1
	v_add3_u32 v90, v93, v90, s91
                                        ; implicit-def: $vgpr93
; %bb.142:                              ;   in Loop: Header=BB144_6 Depth=1
	s_andn2_saveexec_b64 s[68:69], s[68:69]
; %bb.143:                              ;   in Loop: Header=BB144_6 Depth=1
	v_or_b32_e32 v90, 0x10000, v93
	v_cmp_eq_u32_sdwa vcc, v93, v19 src0_sel:WORD_0 src1_sel:DWORD
	s_nop 1
	v_cndmask_b32_e32 v90, v90, v93, vcc
; %bb.144:                              ;   in Loop: Header=BB144_6 Depth=1
	s_or_b64 exec, exec, s[68:69]
	v_perm_b32 v18, v90, v18, s92
	ds_write_b32 v117, v18 offset:2904
	v_and_b32_e32 v18, 0x7f800000, v86
	v_cmp_ne_u32_e32 vcc, s90, v18
                                        ; implicit-def: $vgpr18
	s_and_saveexec_b64 s[68:69], vcc
	s_xor_b64 s[68:69], exec, s[68:69]
; %bb.145:                              ;   in Loop: Header=BB144_6 Depth=1
	v_bfe_u32 v18, v86, 16, 1
	v_add3_u32 v18, v86, v18, s91
; %bb.146:                              ;   in Loop: Header=BB144_6 Depth=1
	s_andn2_saveexec_b64 s[68:69], s[68:69]
; %bb.147:                              ;   in Loop: Header=BB144_6 Depth=1
	v_or_b32_e32 v18, 0x10000, v86
	v_cmp_eq_u32_sdwa vcc, v86, v19 src0_sel:WORD_0 src1_sel:DWORD
	s_nop 1
	v_cndmask_b32_e32 v18, v18, v86, vcc
; %bb.148:                              ;   in Loop: Header=BB144_6 Depth=1
	s_or_b64 exec, exec, s[68:69]
	v_and_b32_e32 v86, 0x7f800000, v87
	v_cmp_ne_u32_e32 vcc, s90, v86
                                        ; implicit-def: $vgpr86
	s_and_saveexec_b64 s[68:69], vcc
	s_xor_b64 s[68:69], exec, s[68:69]
; %bb.149:                              ;   in Loop: Header=BB144_6 Depth=1
	v_bfe_u32 v86, v87, 16, 1
	v_add3_u32 v86, v87, v86, s91
                                        ; implicit-def: $vgpr87
; %bb.150:                              ;   in Loop: Header=BB144_6 Depth=1
	s_andn2_saveexec_b64 s[68:69], s[68:69]
; %bb.151:                              ;   in Loop: Header=BB144_6 Depth=1
	v_or_b32_e32 v86, 0x10000, v87
	v_cmp_eq_u32_sdwa vcc, v87, v19 src0_sel:WORD_0 src1_sel:DWORD
	s_nop 1
	v_cndmask_b32_e32 v86, v86, v87, vcc
; %bb.152:                              ;   in Loop: Header=BB144_6 Depth=1
	s_or_b64 exec, exec, s[68:69]
	v_perm_b32 v18, v86, v18, s92
	ds_write_b32 v117, v18 offset:3168
	v_and_b32_e32 v18, 0x7f800000, v88
	v_cmp_ne_u32_e32 vcc, s90, v18
                                        ; implicit-def: $vgpr18
	s_and_saveexec_b64 s[68:69], vcc
	s_xor_b64 s[68:69], exec, s[68:69]
; %bb.153:                              ;   in Loop: Header=BB144_6 Depth=1
	v_bfe_u32 v18, v88, 16, 1
	v_add3_u32 v18, v88, v18, s91
; %bb.154:                              ;   in Loop: Header=BB144_6 Depth=1
	s_andn2_saveexec_b64 s[68:69], s[68:69]
; %bb.155:                              ;   in Loop: Header=BB144_6 Depth=1
	v_or_b32_e32 v18, 0x10000, v88
	v_cmp_eq_u32_sdwa vcc, v88, v19 src0_sel:WORD_0 src1_sel:DWORD
	s_nop 1
	v_cndmask_b32_e32 v18, v18, v88, vcc
; %bb.156:                              ;   in Loop: Header=BB144_6 Depth=1
	s_or_b64 exec, exec, s[68:69]
	v_and_b32_e32 v86, 0x7f800000, v89
	v_cmp_ne_u32_e32 vcc, s90, v86
                                        ; implicit-def: $vgpr86
	s_and_saveexec_b64 s[68:69], vcc
	s_xor_b64 s[68:69], exec, s[68:69]
; %bb.157:                              ;   in Loop: Header=BB144_6 Depth=1
	v_bfe_u32 v86, v89, 16, 1
	v_add3_u32 v86, v89, v86, s91
                                        ; implicit-def: $vgpr89
; %bb.158:                              ;   in Loop: Header=BB144_6 Depth=1
	s_andn2_saveexec_b64 s[68:69], s[68:69]
	s_cbranch_execz .LBB144_5
; %bb.159:                              ;   in Loop: Header=BB144_6 Depth=1
	v_or_b32_e32 v86, 0x10000, v89
	v_cmp_eq_u32_sdwa vcc, v89, v19 src0_sel:WORD_0 src1_sel:DWORD
	s_nop 1
	v_cndmask_b32_e32 v86, v86, v89, vcc
	s_branch .LBB144_5
.LBB144_160:
	s_or_b64 exec, exec, s[4:5]
	v_readlane_b32 s24, v119, 6
	v_readlane_b32 s26, v119, 9
	;; [unrolled: 1-line block ×5, first 2 shown]
.LBB144_161:
	v_readlane_b32 s0, v119, 4
	v_readlane_b32 s1, v119, 5
	s_or_b64 exec, exec, s[0:1]
	v_mul_u32_u24_e32 v18, 0x808, v115
	v_lshlrev_b32_e32 v19, 2, v114
	v_add3_u32 v18, 0, v18, v19
	v_and_b32_e32 v19, 0x3f0, v17
	v_add_u32_e32 v19, v18, v19
	s_lshl_b64 s[0:1], s[26:27], 2
	v_readlane_b32 s4, v119, 0
	s_barrier
	ds_write2_b32 v19, v8, v9 offset1:1
	ds_write_b32 v19, v10 offset:8
	v_or_b32_e32 v8, 12, v17
	v_readlane_b32 s5, v119, 1
	s_add_u32 s4, s4, s0
	v_and_b32_e32 v8, 0x3fc, v8
	s_addc_u32 s5, s5, s1
	v_add_u32_e32 v8, v18, v8
	ds_write_b32 v8, v11
	ds_write2_b32 v19, v4, v5 offset0:16 offset1:17
	ds_write_b32 v19, v6 offset:72
	ds_write_b32 v8, v7 offset:64
	ds_write2_b32 v19, v0, v1 offset0:32 offset1:33
	ds_write_b32 v19, v2 offset:136
	ds_write_b32 v8, v3 offset:128
	;; [unrolled: 3-line block ×3, first 2 shown]
	s_cmp_gt_i32 s14, 0
	v_add_u32_e32 v0, s2, v16
	s_cselect_b64 s[6:7], -1, 0
	v_cmp_gt_i32_e64 s[0:1], s33, v0
	v_cmp_gt_u32_e32 vcc, 14, v16
	s_and_b64 s[0:1], s[6:7], s[0:1]
	v_lshl_add_u32 v3, v17, 2, 0
	v_add_u32_e32 v2, s11, v17
	s_and_b64 s[8:9], vcc, s[0:1]
	s_waitcnt lgkmcnt(0)
	s_barrier
	s_and_saveexec_b64 s[0:1], s[8:9]
	s_cbranch_execz .LBB144_164
; %bb.162:
	v_ashrrev_i32_e32 v1, 31, v0
	v_lshl_add_u64 v[0:1], v[0:1], 2, s[4:5]
	global_load_dword v0, v[0:1], off
	s_waitcnt vmcnt(0)
	v_mul_hi_u32 v1, v0, s19
	v_add_u32_e32 v1, v0, v1
	v_lshrrev_b32_e32 v1, s24, v1
	v_cmp_gt_i32_e32 vcc, s13, v1
	s_and_b64 exec, exec, vcc
	s_cbranch_execz .LBB144_164
; %bb.163:
	s_movk_i32 s3, 0x808
	v_mad_u32_u24 v10, v16, s3, v3
	ds_read2st64_b32 v[4:5], v10 offset1:1
	ds_read2st64_b32 v[6:7], v10 offset0:2 offset1:3
	ds_read2st64_b32 v[8:9], v10 offset0:4 offset1:5
	;; [unrolled: 1-line block ×3, first 2 shown]
	v_mul_lo_u32 v12, v1, s25
	v_sub_u32_e32 v0, v0, v12
	v_mul_lo_u32 v0, v0, s10
	s_waitcnt lgkmcnt(3)
	v_add_f32_e32 v4, 0, v4
	v_add_f32_e32 v4, v4, v5
	s_waitcnt lgkmcnt(2)
	v_add_f32_e32 v4, v4, v6
	v_add_f32_e32 v4, v4, v7
	;; [unrolled: 3-line block ×3, first 2 shown]
	v_mul_lo_u32 v1, v1, s21
	v_readlane_b32 s8, v119, 2
	s_waitcnt lgkmcnt(0)
	v_add_f32_e32 v4, v4, v10
	v_add3_u32 v0, v2, v1, v0
	v_mov_b32_e32 v1, 0
	v_readlane_b32 s9, v119, 3
	v_add_f32_e32 v4, v4, v11
	s_nop 0
	v_lshl_add_u64 v[0:1], v[0:1], 2, s[8:9]
	global_store_dword v[0:1], v4, off
.LBB144_164:
	s_or_b64 exec, exec, s[0:1]
	v_cmp_gt_u32_e32 vcc, 6, v16
	s_and_saveexec_b64 s[0:1], vcc
	s_cbranch_execz .LBB144_168
; %bb.165:
	v_or_b32_e32 v4, 8, v16
	v_add_u32_e32 v0, s2, v4
	v_cmp_gt_i32_e32 vcc, s33, v0
	s_and_b64 s[0:1], s[6:7], vcc
	s_and_b64 exec, exec, s[0:1]
	s_cbranch_execz .LBB144_168
; %bb.166:
	s_ashr_i32 s3, s2, 31
	v_mov_b32_e32 v17, 0
	v_lshl_add_u64 v[0:1], v[16:17], 0, s[2:3]
	v_lshl_add_u64 v[0:1], v[0:1], 2, s[4:5]
	global_load_dword v0, v[0:1], off offset:32
	s_waitcnt vmcnt(0)
	v_mul_hi_u32 v1, v0, s19
	v_add_u32_e32 v1, v0, v1
	v_lshrrev_b32_e32 v1, s24, v1
	v_cmp_gt_i32_e32 vcc, s13, v1
	s_and_b64 exec, exec, vcc
	s_cbranch_execz .LBB144_168
; %bb.167:
	s_movk_i32 s0, 0x808
	v_mad_u32_u24 v3, v4, s0, v3
	ds_read2st64_b32 v[4:5], v3 offset1:1
	ds_read2st64_b32 v[6:7], v3 offset0:2 offset1:3
	ds_read2st64_b32 v[8:9], v3 offset0:4 offset1:5
	;; [unrolled: 1-line block ×3, first 2 shown]
	v_mul_lo_u32 v12, v1, s25
	v_sub_u32_e32 v0, v0, v12
	v_mul_lo_u32 v0, v0, s10
	s_waitcnt lgkmcnt(3)
	v_add_f32_e32 v3, 0, v4
	v_add_f32_e32 v3, v3, v5
	s_waitcnt lgkmcnt(2)
	v_add_f32_e32 v3, v3, v6
	v_add_f32_e32 v3, v3, v7
	;; [unrolled: 3-line block ×3, first 2 shown]
	v_mul_lo_u32 v1, v1, s21
	v_readlane_b32 s0, v119, 2
	s_waitcnt lgkmcnt(0)
	v_add_f32_e32 v3, v3, v10
	v_add3_u32 v16, v2, v1, v0
	v_readlane_b32 s1, v119, 3
	v_add_f32_e32 v3, v3, v11
	s_nop 0
	v_lshl_add_u64 v[0:1], v[16:17], 2, s[0:1]
	global_store_dword v[0:1], v3, off
.LBB144_168:
	s_endpgm
	.section	.rodata,"a",@progbits
	.p2align	6, 0x0
	.amdhsa_kernel _ZL13mul_mat_f_idsI15__hip_bfloat162Li64ELi14ELi8EEvPKT_PKfPKiS7_S7_Pfiiiiiiiiiiiiii15HIP_vector_typeIjLj3EESA_
		.amdhsa_group_segment_fixed_size 0
		.amdhsa_private_segment_fixed_size 0
		.amdhsa_kernarg_size 128
		.amdhsa_user_sgpr_count 2
		.amdhsa_user_sgpr_dispatch_ptr 0
		.amdhsa_user_sgpr_queue_ptr 0
		.amdhsa_user_sgpr_kernarg_segment_ptr 1
		.amdhsa_user_sgpr_dispatch_id 0
		.amdhsa_user_sgpr_kernarg_preload_length 0
		.amdhsa_user_sgpr_kernarg_preload_offset 0
		.amdhsa_user_sgpr_private_segment_size 0
		.amdhsa_uses_dynamic_stack 0
		.amdhsa_enable_private_segment 0
		.amdhsa_system_sgpr_workgroup_id_x 1
		.amdhsa_system_sgpr_workgroup_id_y 1
		.amdhsa_system_sgpr_workgroup_id_z 1
		.amdhsa_system_sgpr_workgroup_info 0
		.amdhsa_system_vgpr_workitem_id 1
		.amdhsa_next_free_vgpr 120
		.amdhsa_next_free_sgpr 100
		.amdhsa_accum_offset 120
		.amdhsa_reserve_vcc 1
		.amdhsa_float_round_mode_32 0
		.amdhsa_float_round_mode_16_64 0
		.amdhsa_float_denorm_mode_32 3
		.amdhsa_float_denorm_mode_16_64 3
		.amdhsa_dx10_clamp 1
		.amdhsa_ieee_mode 1
		.amdhsa_fp16_overflow 0
		.amdhsa_tg_split 0
		.amdhsa_exception_fp_ieee_invalid_op 0
		.amdhsa_exception_fp_denorm_src 0
		.amdhsa_exception_fp_ieee_div_zero 0
		.amdhsa_exception_fp_ieee_overflow 0
		.amdhsa_exception_fp_ieee_underflow 0
		.amdhsa_exception_fp_ieee_inexact 0
		.amdhsa_exception_int_div_zero 0
	.end_amdhsa_kernel
	.section	.text._ZL13mul_mat_f_idsI15__hip_bfloat162Li64ELi14ELi8EEvPKT_PKfPKiS7_S7_Pfiiiiiiiiiiiiii15HIP_vector_typeIjLj3EESA_,"axG",@progbits,_ZL13mul_mat_f_idsI15__hip_bfloat162Li64ELi14ELi8EEvPKT_PKfPKiS7_S7_Pfiiiiiiiiiiiiii15HIP_vector_typeIjLj3EESA_,comdat
.Lfunc_end144:
	.size	_ZL13mul_mat_f_idsI15__hip_bfloat162Li64ELi14ELi8EEvPKT_PKfPKiS7_S7_Pfiiiiiiiiiiiiii15HIP_vector_typeIjLj3EESA_, .Lfunc_end144-_ZL13mul_mat_f_idsI15__hip_bfloat162Li64ELi14ELi8EEvPKT_PKfPKiS7_S7_Pfiiiiiiiiiiiiii15HIP_vector_typeIjLj3EESA_
                                        ; -- End function
	.section	.AMDGPU.csdata,"",@progbits
; Kernel info:
; codeLenInByte = 8700
; NumSgprs: 106
; NumVgprs: 120
; NumAgprs: 0
; TotalNumVgprs: 120
; ScratchSize: 0
; MemoryBound: 0
; FloatMode: 240
; IeeeMode: 1
; LDSByteSize: 0 bytes/workgroup (compile time only)
; SGPRBlocks: 13
; VGPRBlocks: 14
; NumSGPRsForWavesPerEU: 106
; NumVGPRsForWavesPerEU: 120
; AccumOffset: 120
; Occupancy: 4
; WaveLimiterHint : 1
; COMPUTE_PGM_RSRC2:SCRATCH_EN: 0
; COMPUTE_PGM_RSRC2:USER_SGPR: 2
; COMPUTE_PGM_RSRC2:TRAP_HANDLER: 0
; COMPUTE_PGM_RSRC2:TGID_X_EN: 1
; COMPUTE_PGM_RSRC2:TGID_Y_EN: 1
; COMPUTE_PGM_RSRC2:TGID_Z_EN: 1
; COMPUTE_PGM_RSRC2:TIDIG_COMP_CNT: 1
; COMPUTE_PGM_RSRC3_GFX90A:ACCUM_OFFSET: 29
; COMPUTE_PGM_RSRC3_GFX90A:TG_SPLIT: 0
	.section	.text._ZL9mul_mat_fI15__hip_bfloat162Li64ELi14ELi8ELb1EEvPKT_PKfPKiPfiiiiiiiiiiiiiiii,"axG",@progbits,_ZL9mul_mat_fI15__hip_bfloat162Li64ELi14ELi8ELb1EEvPKT_PKfPKiPfiiiiiiiiiiiiiiii,comdat
	.globl	_ZL9mul_mat_fI15__hip_bfloat162Li64ELi14ELi8ELb1EEvPKT_PKfPKiPfiiiiiiiiiiiiiiii ; -- Begin function _ZL9mul_mat_fI15__hip_bfloat162Li64ELi14ELi8ELb1EEvPKT_PKfPKiPfiiiiiiiiiiiiiiii
	.p2align	8
	.type	_ZL9mul_mat_fI15__hip_bfloat162Li64ELi14ELi8ELb1EEvPKT_PKfPKiPfiiiiiiiiiiiiiiii,@function
_ZL9mul_mat_fI15__hip_bfloat162Li64ELi14ELi8ELb1EEvPKT_PKfPKiPfiiiiiiiiiiiiiiii: ; @_ZL9mul_mat_fI15__hip_bfloat162Li64ELi14ELi8ELb1EEvPKT_PKfPKiPfiiiiiiiiiiiiiiii
; %bb.0:
	s_load_dwordx8 s[40:47], s[0:1], 0x20
	s_load_dwordx4 s[48:51], s[0:1], 0x44
	s_load_dword s7, s[0:1], 0x64
	s_load_dwordx2 s[8:9], s[0:1], 0x10
	v_and_b32_e32 v16, 0x3ff, v0
	v_bfe_u32 v17, v0, 10, 10
	s_waitcnt lgkmcnt(0)
	s_add_i32 s6, s41, 13
	s_mul_hi_i32 s5, s6, 0x92492493
	s_add_i32 s5, s5, s6
	s_lshr_b32 s6, s5, 31
	s_ashr_i32 s5, s5, 3
	s_add_i32 s5, s5, s6
	v_cvt_f32_u32_e32 v1, s5
	s_add_u32 s12, s0, 0x60
	s_addc_u32 s13, s1, 0
	s_sub_i32 s6, 0, s5
	v_rcp_iflag_f32_e32 v1, v1
	s_abs_i32 s22, s51
	v_mul_f32_e32 v1, 0x4f7ffffe, v1
	v_cvt_u32_f32_e32 v1, v1
	v_mul_lo_u32 v2, s6, v1
	v_mul_hi_u32 v2, v1, v2
	v_add_u32_e32 v1, v1, v2
	v_mul_hi_u32 v1, s7, v1
	v_mul_lo_u32 v2, v1, s5
	v_sub_u32_e32 v2, s7, v2
	v_add_u32_e32 v3, 1, v1
	v_subrev_u32_e32 v4, s5, v2
	v_cmp_le_u32_e32 vcc, s5, v2
	s_nop 1
	v_cndmask_b32_e32 v1, v1, v3, vcc
	v_cndmask_b32_e32 v2, v2, v4, vcc
	v_add_u32_e32 v3, 1, v1
	v_cmp_le_u32_e32 vcc, s5, v2
	s_sub_i32 s5, 0, s22
	s_nop 0
	v_cndmask_b32_e32 v1, v1, v3, vcc
	v_cvt_f32_u32_e32 v2, v1
	v_cvt_f32_u32_e32 v3, s22
	v_cmp_eq_u32_e32 vcc, 0, v16
	v_rcp_iflag_f32_e32 v2, v2
	v_rcp_iflag_f32_e32 v3, v3
	v_mul_f32_e32 v2, 0x4f7ffffe, v2
	v_cvt_u32_f32_e32 v2, v2
	v_mul_f32_e32 v3, 0x4f7ffffe, v3
	v_cvt_u32_f32_e32 v8, v3
	v_sub_u32_e32 v3, 0, v1
	v_mul_lo_u32 v3, v3, v2
	v_mul_hi_u32 v3, v2, v3
	v_add_u32_e32 v2, v2, v3
	v_mul_hi_u32 v2, s3, v2
	s_and_saveexec_b64 s[6:7], vcc
	s_cbranch_execz .LBB145_2
; %bb.1:
	v_mov_b32_e32 v3, 0x100
	v_lshl_add_u32 v3, v17, 2, v3
	v_mov_b32_e32 v4, -1
	ds_write_b32 v3, v4
.LBB145_2:
	s_or_b64 exec, exec, s[6:7]
	v_mul_lo_u32 v3, v2, v1
	v_sub_u32_e32 v3, s3, v3
	v_add_u32_e32 v4, 1, v2
	v_sub_u32_e32 v5, v3, v1
	v_cmp_ge_u32_e64 s[6:7], v3, v1
	v_mul_lo_u32 v9, s5, v8
	s_nop 0
	v_cndmask_b32_e64 v2, v2, v4, s[6:7]
	v_cndmask_b32_e64 v3, v3, v5, s[6:7]
	v_add_u32_e32 v4, 1, v2
	v_cmp_ge_u32_e64 s[6:7], v3, v1
	s_nop 1
	v_cndmask_b32_e64 v2, v2, v4, s[6:7]
	v_mul_lo_u32 v92, v2, 14
	v_mul_lo_u32 v1, v2, v1
	v_mul_hi_i32 v3, v92, s47
	v_mul_lo_u32 v2, v92, s47
	v_sub_u32_e32 v18, s3, v1
	v_lshlrev_b64 v[2:3], 2, v[2:3]
	v_add_u32_e32 v1, v17, v92
	v_lshl_add_u64 v[2:3], s[8:9], 0, v[2:3]
	v_cmp_gt_i32_e64 s[6:7], s42, v16
	v_cmp_gt_i32_e64 s[24:25], s41, v1
	v_mov_b32_e32 v1, 0
	s_and_saveexec_b64 s[14:15], s[24:25]
	s_cbranch_execz .LBB145_10
; %bb.3:
	v_mov_b32_e32 v1, 0
	s_and_saveexec_b64 s[16:17], s[6:7]
	s_cbranch_execz .LBB145_9
; %bb.4:
	v_mul_lo_u32 v4, v17, s47
	v_ashrrev_i32_e32 v5, 31, v4
	v_mov_b32_e32 v1, 0x100
	v_lshl_add_u64 v[4:5], v[4:5], 2, v[2:3]
	v_lshl_add_u32 v10, v17, 2, v1
	v_mul_lo_u32 v6, v16, s46
	s_lshl_b32 s3, s46, 6
	s_mov_b64 s[18:19], 0
	v_mov_b32_e32 v1, 0
	v_mov_b32_e32 v11, v16
	s_branch .LBB145_6
.LBB145_5:                              ;   in Loop: Header=BB145_6 Depth=1
	s_or_b64 exec, exec, s[20:21]
	v_add_u32_e32 v11, 64, v11
	v_cmp_le_i32_e64 s[10:11], s42, v11
	s_xor_b64 s[8:9], s[8:9], -1
	s_or_b64 s[8:9], s[8:9], s[10:11]
	s_and_b64 s[8:9], exec, s[8:9]
	s_or_b64 s[18:19], s[8:9], s[18:19]
	v_add_u32_e32 v6, s3, v6
	s_andn2_b64 exec, exec, s[18:19]
	s_cbranch_execz .LBB145_8
.LBB145_6:                              ; =>This Inner Loop Header: Depth=1
	v_ashrrev_i32_e32 v7, 31, v6
	v_lshl_add_u64 v[12:13], v[6:7], 2, v[4:5]
	global_load_dword v7, v[12:13], off
	s_waitcnt vmcnt(0)
	v_cmp_ne_u32_e64 s[8:9], v7, v18
	v_cmp_eq_u32_e64 s[10:11], v7, v18
	s_and_saveexec_b64 s[20:21], s[10:11]
	s_cbranch_execz .LBB145_5
; %bb.7:                                ;   in Loop: Header=BB145_6 Depth=1
	v_mov_b32_e32 v1, 1
	ds_write_b32 v10, v11
	s_branch .LBB145_5
.LBB145_8:
	s_or_b64 exec, exec, s[18:19]
.LBB145_9:
	s_or_b64 exec, exec, s[16:17]
.LBB145_10:
	s_or_b64 exec, exec, s[14:15]
	v_mul_hi_u32 v4, v8, v9
	s_and_saveexec_b64 s[8:9], vcc
	s_cbranch_execz .LBB145_12
; %bb.11:
	v_mov_b32_e32 v5, 0x100
	v_lshl_add_u32 v5, v17, 2, v5
	v_mov_b32_e32 v6, -1
	ds_write_b32 v5, v6 offset:32
.LBB145_12:
	s_or_b64 exec, exec, s[8:9]
	s_load_dwordx4 s[28:31], s[0:1], 0x54
	v_add_u32_e32 v93, 8, v17
	s_abs_i32 s3, s4
	v_add_u32_e32 v6, v8, v4
	v_add_u32_e32 v4, v93, v92
	v_cmp_gt_i32_e64 s[10:11], s41, v4
	s_mov_b64 s[8:9], exec
                                        ; implicit-def: $vgpr109 : SGPR spill to VGPR lane
	s_nop 0
	v_writelane_b32 v109, s10, 0
	s_nop 1
	v_writelane_b32 v109, s11, 1
	s_and_b64 s[10:11], s[8:9], s[10:11]
	s_mov_b64 exec, s[10:11]
	s_cbranch_execz .LBB145_20
; %bb.13:
	s_and_saveexec_b64 s[10:11], s[6:7]
	s_cbranch_execz .LBB145_19
; %bb.14:
	v_mul_lo_u32 v4, v93, s47
	v_ashrrev_i32_e32 v5, 31, v4
	v_lshl_add_u64 v[2:3], v[4:5], 2, v[2:3]
	v_mov_b32_e32 v4, 0x100
	v_lshl_add_u32 v7, v17, 2, v4
	v_mul_lo_u32 v4, v16, s46
	s_lshl_b32 s5, s46, 6
	s_mov_b64 s[14:15], 0
	v_mov_b32_e32 v8, v16
	s_branch .LBB145_16
.LBB145_15:                             ;   in Loop: Header=BB145_16 Depth=1
	s_or_b64 exec, exec, s[16:17]
	v_add_u32_e32 v8, 64, v8
	v_cmp_le_i32_e64 s[6:7], s42, v8
	s_xor_b64 s[16:17], vcc, -1
	s_or_b64 s[6:7], s[16:17], s[6:7]
	s_and_b64 s[6:7], exec, s[6:7]
	s_or_b64 s[14:15], s[6:7], s[14:15]
	v_add_u32_e32 v4, s5, v4
	s_andn2_b64 exec, exec, s[14:15]
	s_cbranch_execz .LBB145_18
.LBB145_16:                             ; =>This Inner Loop Header: Depth=1
	v_ashrrev_i32_e32 v5, 31, v4
	v_lshl_add_u64 v[10:11], v[4:5], 2, v[2:3]
	global_load_dword v5, v[10:11], off
	s_waitcnt vmcnt(0)
	v_cmp_ne_u32_e32 vcc, v5, v18
	v_cmp_eq_u32_e64 s[6:7], v5, v18
	s_and_saveexec_b64 s[16:17], s[6:7]
	s_cbranch_execz .LBB145_15
; %bb.17:                               ;   in Loop: Header=BB145_16 Depth=1
	v_mov_b32_e32 v1, 1
	ds_write_b32 v7, v8 offset:32
	s_branch .LBB145_15
.LBB145_18:
	s_or_b64 exec, exec, s[14:15]
.LBB145_19:
	s_or_b64 exec, exec, s[10:11]
.LBB145_20:
	s_or_b64 exec, exec, s[8:9]
	s_load_dwordx2 s[6:7], s[12:13], 0xc
	s_load_dwordx2 s[8:9], s[0:1], 0x8
	;; [unrolled: 1-line block ×3, first 2 shown]
	v_cmp_ne_u32_e32 vcc, 0, v1
	v_mul_hi_u32 v19, s3, v6
	s_waitcnt lgkmcnt(0)
	s_and_b32 s5, s7, 0xffff
	v_cndmask_b32_e64 v1, 0, 1, vcc
	v_writelane_b32 v109, s10, 2
	s_lshr_b32 s7, s6, 16
	v_or_b32_dpp v1, v1, v1 row_shl:1 row_mask:0xf bank_mask:0xf bound_ctrl:1
	s_and_b32 s6, s6, 0xffff
	v_writelane_b32 v109, s11, 3
	v_or_b32_dpp v1, v1, v1 row_shl:2 row_mask:0xf bank_mask:0xf bound_ctrl:1
	s_mul_i32 s10, s7, s6
	s_bfe_i32 s10, s10, 0x180000
	v_or_b32_dpp v1, v1, v1 row_shl:4 row_mask:0xf bank_mask:0xf bound_ctrl:1
	s_mul_i32 s5, s10, s5
	s_add_i32 s10, s5, 63
	v_or_b32_dpp v1, v1, v1 row_shl:8 row_mask:0xf bank_mask:0xf bound_ctrl:1
	s_bitcmp1_b32 exec_hi, 0
                                        ; kill: killed $sgpr12 killed $sgpr13
	s_nop 0
	v_mov_b32_dpp v2, v1 wave_shl:1 row_mask:0xf bank_mask:0xf bound_ctrl:1
	s_nop 1
	v_or_b32_dpp v1, v2, v1 row_mirror row_mask:0xf bank_mask:0xf bound_ctrl:1
	s_nop 0
	v_readlane_b32 s5, v1, 32
	s_cselect_b32 s5, s5, 0
	v_readlane_b32 s11, v1, 0
	s_or_b32 s5, s5, s11
	s_andn2_b32 s10, s10, 63
	s_cmp_lg_u32 s10, 64
	v_mov_b32_e32 v1, s5
	s_cbranch_scc0 .LBB145_27
; %bb.21:
	v_bfe_u32 v0, v0, 20, 10
	v_mbcnt_lo_u32_b32 v1, -1, 0
	v_mad_u32_u24 v0, v0, s7, v17
	v_mbcnt_hi_u32_b32 v2, -1, v1
	v_mad_u64_u32 v[0:1], s[6:7], v0, s6, v[16:17]
	v_lshrrev_b32_e32 v1, 6, v0
	v_or_b32_e32 v1, v2, v1
	v_cmp_eq_u32_e32 vcc, 0, v1
	s_and_saveexec_b64 s[6:7], vcc
	s_cbranch_execz .LBB145_23
; %bb.22:
	v_mov_b32_e32 v1, 0
	v_mov_b32_e32 v3, s5
	ds_write_b32 v1, v3
.LBB145_23:
	s_or_b64 exec, exec, s[6:7]
	v_cmp_eq_u32_e32 vcc, 0, v2
	v_cmp_lt_u32_e64 s[6:7], 63, v0
	s_and_b64 s[10:11], s[6:7], vcc
	s_waitcnt lgkmcnt(0)
	s_barrier
	s_and_saveexec_b64 s[6:7], s[10:11]
	s_cbranch_execz .LBB145_26
; %bb.24:
	v_mbcnt_lo_u32_b32 v0, exec_lo, 0
	v_mbcnt_hi_u32_b32 v0, exec_hi, v0
	v_cmp_eq_u32_e32 vcc, 0, v0
	s_and_b64 exec, exec, vcc
	s_cbranch_execz .LBB145_26
; %bb.25:
	v_mov_b32_e32 v0, 0
	v_mov_b32_e32 v1, s5
	ds_or_b32 v0, v1
.LBB145_26:
	s_or_b64 exec, exec, s[6:7]
	v_mov_b32_e32 v0, 0
	s_waitcnt lgkmcnt(0)
	s_barrier
	ds_read_b32 v1, v0
	s_waitcnt lgkmcnt(0)
	s_barrier
.LBB145_27:
	s_load_dwordx2 s[0:1], s[0:1], 0x0
	v_cmp_ne_u32_e32 vcc, 0, v1
	s_ashr_i32 s5, s4, 31
	s_ashr_i32 s10, s51, 31
	s_cbranch_vccz .LBB145_195
; %bb.28:
	v_lshlrev_b32_e32 v94, 6, v17
	v_add_u32_e32 v96, v94, v16
	v_cmp_le_i32_e32 vcc, s40, v96
	v_and_b32_e32 v95, 15, v16
                                        ; implicit-def: $sgpr11
	s_and_saveexec_b64 s[6:7], vcc
	s_xor_b64 s[6:7], exec, s[6:7]
; %bb.29:
	v_and_b32_e32 v95, 15, v16
	s_mov_b32 s11, 0
                                        ; implicit-def: $vgpr96
                                        ; implicit-def: $vgpr19
                                        ; implicit-def: $vgpr18
; %bb.30:
	s_or_saveexec_b64 s[12:13], s[6:7]
	s_lshl_b32 s6, s2, 6
	v_mov_b32_e32 v11, s11
	v_mov_b32_e32 v10, s11
	;; [unrolled: 1-line block ×16, first 2 shown]
	v_writelane_b32 v109, s12, 4
	s_nop 1
	v_writelane_b32 v109, s13, 5
	s_xor_b64 exec, exec, s[12:13]
	s_cbranch_execz .LBB145_188
; %bb.31:
	v_mul_lo_u32 v0, v19, s22
	v_sub_u32_e32 v0, s3, v0
	v_add_u32_e32 v1, 1, v19
	v_subrev_u32_e32 v2, s22, v0
	v_cmp_le_u32_e32 vcc, s22, v0
	s_xor_b32 s2, s5, s10
	v_writelane_b32 v109, s24, 6
	v_cndmask_b32_e32 v1, v19, v1, vcc
	v_cndmask_b32_e32 v0, v0, v2, vcc
	v_add_u32_e32 v2, 1, v1
	v_cmp_le_u32_e32 vcc, s22, v0
	v_writelane_b32 v109, s25, 7
	v_writelane_b32 v109, s6, 8
	v_cndmask_b32_e32 v0, v1, v2, vcc
	v_xor_b32_e32 v0, s2, v0
	v_subrev_u32_e32 v0, s2, v0
	s_mul_i32 s2, s6, s43
	v_mul_hi_i32 v1, v0, s28
	v_mul_lo_u32 v0, v0, s28
	v_mul_lo_u32 v2, v18, s48
	s_ashr_i32 s3, s2, 31
	v_ashrrev_i32_e32 v3, 31, v2
	v_lshlrev_b64 v[0:1], 2, v[0:1]
	s_lshl_b64 s[6:7], s[2:3], 2
	s_movk_i32 s2, 0x1080
	v_mov_b32_e32 v97, 0x100
	v_writelane_b32 v109, s4, 9
	s_waitcnt lgkmcnt(0)
	v_lshl_add_u64 v[4:5], s[0:1], 0, v[0:1]
	v_lshlrev_b64 v[2:3], 2, v[2:3]
	v_mad_u32_u24 v6, v17, s2, v97
	s_mul_hi_i32 s3, s29, s4
	v_writelane_b32 v109, s28, 10
	s_mul_i32 s2, s29, s4
	v_lshl_add_u64 v[4:5], v[4:5], 0, v[2:3]
	s_lshl_b64 s[2:3], s[2:3], 2
	v_lshl_add_u64 v[18:19], v[4:5], 0, s[6:7]
	v_writelane_b32 v109, s29, 11
	v_mul_hi_i32 v5, s44, v92
	v_mul_lo_u32 v4, s44, v92
	s_add_u32 s2, s8, s2
	v_writelane_b32 v109, s30, 12
	v_lshlrev_b64 v[4:5], 3, v[4:5]
	s_addc_u32 s3, s9, s3
	v_writelane_b32 v109, s31, 13
	v_lshl_add_u64 v[20:21], s[2:3], 0, v[4:5]
	s_lshl_b32 s2, s44, 3
	v_writelane_b32 v109, s2, 14
	s_mul_i32 s2, s44, 6
	v_writelane_b32 v109, s2, 15
	s_lshl_b32 s2, s44, 4
	v_writelane_b32 v109, s2, 16
	s_mul_i32 s2, s44, 10
	v_lshl_add_u64 v[0:1], v[0:1], 0, s[6:7]
	v_writelane_b32 v109, s2, 17
	s_mul_i32 s2, s44, 12
	v_lshl_add_u64 v[0:1], v[0:1], 0, v[2:3]
	v_writelane_b32 v109, s2, 18
	v_lshl_add_u64 v[0:1], s[0:1], 0, v[0:1]
	s_mul_i32 s0, s44, 26
	v_writelane_b32 v109, s0, 19
	s_mul_i32 s0, s44, 24
	v_writelane_b32 v109, s0, 20
	;; [unrolled: 2-line block ×6, first 2 shown]
	s_lshl_b32 s0, s44, 1
	v_writelane_b32 v109, s0, 25
	s_mul_i32 s0, s43, 3
	v_writelane_b32 v109, s0, 26
	s_mul_i32 s0, s43, 5
	;; [unrolled: 2-line block ×4, first 2 shown]
	v_lshrrev_b32_e32 v5, 1, v16
	v_writelane_b32 v109, s0, 29
	s_mul_i32 s0, s43, 9
	v_mul_u32_u24_e32 v4, 0x108, v95
	v_and_b32_e32 v5, 0x1f8, v5
	v_writelane_b32 v109, s0, 30
	s_mul_i32 s0, s43, 10
	v_add3_u32 v99, v6, v4, v5
	v_or_b32_e32 v26, 1, v92
	v_add_u32_e32 v27, 2, v92
	s_lshl_b32 s42, s44, 2
	v_add_u32_e32 v28, 3, v92
	v_add_u32_e32 v29, 4, v92
	;; [unrolled: 1-line block ×11, first 2 shown]
	s_ashr_i32 s3, s43, 31
	s_mov_b32 s2, s43
	v_lshlrev_b32_e32 v4, 1, v16
	v_lshlrev_b32_e32 v22, 2, v96
	v_mov_b32_e32 v23, 0
	v_writelane_b32 v109, s0, 31
	s_mul_i32 s0, s43, 11
	v_lshl_add_u32 v98, v16, 2, v6
	v_lshl_add_u32 v100, v17, 7, v4
	s_lshl_b64 s[2:3], s[2:3], 2
	v_lshl_add_u64 v[24:25], v[0:1], 0, v[22:23]
	s_lshl_b32 s66, s43, 1
	s_lshl_b32 s68, s43, 2
	;; [unrolled: 1-line block ×3, first 2 shown]
	v_writelane_b32 v109, s0, 32
	s_mul_i32 s76, s43, 12
	s_mul_i32 s77, s43, 13
	s_mul_i32 s78, s43, 14
	s_mul_i32 s79, s43, 15
	s_lshl_b32 s80, s43, 4
	s_mul_i32 s81, s43, 17
	s_mul_i32 s82, s43, 18
	;; [unrolled: 1-line block ×15, first 2 shown]
	s_lshl_b32 s96, s43, 5
	s_mul_i32 s97, s43, 33
	s_mul_i32 s98, s43, 34
	;; [unrolled: 1-line block ×10, first 2 shown]
	v_cmp_gt_i32_e64 s[0:1], s41, v92
	s_mul_i32 s60, s43, 43
	s_mul_i32 s61, s43, 44
	v_mov_b32_e32 v12, 0
	v_mov_b32_e32 v13, v23
	;; [unrolled: 1-line block ×16, first 2 shown]
	s_mul_i32 s62, s43, 45
	s_mul_i32 s63, s43, 46
	;; [unrolled: 1-line block ×19, first 2 shown]
	s_mov_b32 s73, 0x7f800000
	s_movk_i32 s74, 0x7fff
	s_mov_b32 s75, 0x7060302
	v_cmp_gt_i32_e64 s[6:7], s41, v26
	v_cmp_gt_i32_e64 s[8:9], s41, v27
	;; [unrolled: 1-line block ×13, first 2 shown]
	s_mov_b32 s41, s42
	s_mov_b64 s[42:43], 0
	s_mov_b64 s[52:53], 0x800
	s_branch .LBB145_33
.LBB145_32:                             ;   in Loop: Header=BB145_33 Depth=1
	s_or_b64 exec, exec, s[56:57]
	v_perm_b32 v22, v90, v22, s75
	v_add_u32_e32 v90, 0xc00, v98
	ds_write2_b32 v90, v22, v23 offset0:106 offset1:172
	ds_write_b32 v98, v23 offset:4024
	ds_read2_b64 v[102:105], v99 offset0:8 offset1:12
	v_add_u32_e32 v96, 0x200, v96
	v_cmp_le_i32_e32 vcc, s40, v96
	v_add_u32_e32 v100, 0x400, v100
	s_waitcnt lgkmcnt(0)
	v_mfma_f32_16x16x16_bf16 v[4:7], v[58:59], v[102:103], v[4:7]
	v_lshl_add_u64 v[24:25], v[24:25], 0, s[52:53]
	s_or_b64 s[42:43], vcc, s[42:43]
	v_mfma_f32_16x16x16_bf16 v[8:11], v[42:43], v[102:103], v[8:11]
	v_mfma_f32_16x16x16_bf16 v[0:3], v[74:75], v[102:103], v[0:3]
	v_mfma_f32_16x16x16_bf16 v[12:15], v[88:89], v[102:103], v[12:15]
	v_mfma_f32_16x16x16_bf16 v[4:7], v[56:57], v[104:105], v[4:7]
	ds_read2_b64 v[56:59], v99 offset0:16 offset1:20
	v_mfma_f32_16x16x16_bf16 v[8:11], v[38:39], v[104:105], v[8:11]
	v_mfma_f32_16x16x16_bf16 v[0:3], v[72:73], v[104:105], v[0:3]
	v_mfma_f32_16x16x16_bf16 v[12:15], v[86:87], v[104:105], v[12:15]
	s_waitcnt lgkmcnt(0)
	v_mfma_f32_16x16x16_bf16 v[8:11], v[36:37], v[56:57], v[8:11]
	v_mfma_f32_16x16x16_bf16 v[4:7], v[52:53], v[56:57], v[4:7]
	v_mfma_f32_16x16x16_bf16 v[0:3], v[70:71], v[56:57], v[0:3]
	v_mfma_f32_16x16x16_bf16 v[12:15], v[82:83], v[56:57], v[12:15]
	v_mfma_f32_16x16x16_bf16 v[8:11], v[34:35], v[58:59], v[8:11]
	ds_read2_b64 v[34:37], v99 offset0:24 offset1:28
	v_mfma_f32_16x16x16_bf16 v[4:7], v[50:51], v[58:59], v[4:7]
	v_mfma_f32_16x16x16_bf16 v[0:3], v[68:69], v[58:59], v[0:3]
	v_mfma_f32_16x16x16_bf16 v[12:15], v[78:79], v[58:59], v[12:15]
	s_waitcnt lgkmcnt(0)
	v_mfma_f32_16x16x16_bf16 v[8:11], v[32:33], v[34:35], v[8:11]
	;; [unrolled: 10-line block ×3, first 2 shown]
	v_mfma_f32_16x16x16_bf16 v[4:7], v[44:45], v[30:31], v[4:7]
	v_mfma_f32_16x16x16_bf16 v[0:3], v[60:61], v[30:31], v[0:3]
	;; [unrolled: 1-line block ×7, first 2 shown]
	s_andn2_b64 exec, exec, s[42:43]
	s_cbranch_execz .LBB145_187
.LBB145_33:                             ; =>This Inner Loop Header: Depth=1
	v_readlane_b32 s56, v109, 26
	v_lshl_add_u64 v[26:27], v[24:25], 0, s[2:3]
	global_load_dword v22, v[24:25], off
	global_load_dword v52, v[26:27], off
	v_add_u32_e32 v28, s56, v96
	v_readlane_b32 s56, v109, 27
	v_add_u32_e32 v26, s66, v96
	v_ashrrev_i32_e32 v27, 31, v26
	v_add_u32_e32 v32, s56, v96
	v_readlane_b32 s56, v109, 28
	v_add_u32_e32 v30, s68, v96
	v_lshl_add_u64 v[26:27], v[26:27], 2, v[18:19]
	v_add_u32_e32 v34, s56, v96
	v_readlane_b32 s56, v109, 29
	v_ashrrev_i32_e32 v29, 31, v28
	v_ashrrev_i32_e32 v31, 31, v30
	v_add_u32_e32 v36, s56, v96
	v_ashrrev_i32_e32 v33, 31, v32
	v_ashrrev_i32_e32 v35, 31, v34
	;; [unrolled: 1-line block ×3, first 2 shown]
	v_lshl_add_u64 v[28:29], v[28:29], 2, v[18:19]
	v_lshl_add_u64 v[30:31], v[30:31], 2, v[18:19]
	;; [unrolled: 1-line block ×5, first 2 shown]
	global_load_dword v53, v[26:27], off
	global_load_dword v54, v[28:29], off
	;; [unrolled: 1-line block ×6, first 2 shown]
	v_readlane_b32 s56, v109, 30
	v_add_u32_e32 v26, s72, v96
	v_add_u32_e32 v44, s81, v96
	v_add_u32_e32 v28, s56, v96
	v_readlane_b32 s56, v109, 31
	v_add_u32_e32 v34, s76, v96
	v_add_u32_e32 v36, s77, v96
	v_add_u32_e32 v30, s56, v96
	;; [unrolled: 4-line block ×3, first 2 shown]
	v_add_u32_e32 v42, s80, v96
	v_ashrrev_i32_e32 v27, 31, v26
	v_ashrrev_i32_e32 v45, 31, v44
	;; [unrolled: 1-line block ×10, first 2 shown]
	v_lshl_add_u64 v[26:27], v[26:27], 2, v[18:19]
	v_lshl_add_u64 v[44:45], v[44:45], 2, v[18:19]
	v_add_u32_e32 v46, s82, v96
	v_add_u32_e32 v48, s83, v96
	;; [unrolled: 1-line block ×3, first 2 shown]
	v_lshl_add_u64 v[28:29], v[28:29], 2, v[18:19]
	v_lshl_add_u64 v[30:31], v[30:31], 2, v[18:19]
	v_lshl_add_u64 v[32:33], v[32:33], 2, v[18:19]
	v_lshl_add_u64 v[34:35], v[34:35], 2, v[18:19]
	v_lshl_add_u64 v[36:37], v[36:37], 2, v[18:19]
	v_lshl_add_u64 v[38:39], v[38:39], 2, v[18:19]
	v_lshl_add_u64 v[40:41], v[40:41], 2, v[18:19]
	v_lshl_add_u64 v[42:43], v[42:43], 2, v[18:19]
	global_load_dword v59, v[26:27], off
	global_load_dword v60, v[28:29], off
	;; [unrolled: 1-line block ×9, first 2 shown]
	s_nop 0
	global_load_dword v44, v[44:45], off
	v_add_u32_e32 v26, s85, v96
	v_ashrrev_i32_e32 v47, 31, v46
	v_ashrrev_i32_e32 v49, 31, v48
	;; [unrolled: 1-line block ×4, first 2 shown]
	v_add_u32_e32 v28, s86, v96
	v_add_u32_e32 v30, s87, v96
	;; [unrolled: 1-line block ×4, first 2 shown]
	v_lshl_add_u64 v[46:47], v[46:47], 2, v[18:19]
	v_lshl_add_u64 v[48:49], v[48:49], 2, v[18:19]
	;; [unrolled: 1-line block ×4, first 2 shown]
	v_ashrrev_i32_e32 v29, 31, v28
	v_ashrrev_i32_e32 v31, 31, v30
	;; [unrolled: 1-line block ×4, first 2 shown]
	v_lshl_add_u64 v[28:29], v[28:29], 2, v[18:19]
	v_lshl_add_u64 v[30:31], v[30:31], 2, v[18:19]
	;; [unrolled: 1-line block ×4, first 2 shown]
	v_add_u32_e32 v36, s95, v96
	v_add_u32_e32 v38, s96, v96
	s_waitcnt vmcnt(17)
	ds_write_b32 v98, v22 offset:64
	s_waitcnt vmcnt(16)
	ds_write_b32 v98, v52 offset:328
	;; [unrolled: 2-line block ×8, first 2 shown]
	global_load_dword v22, v[46:47], off
	global_load_dword v45, v[48:49], off
	s_nop 0
	global_load_dword v46, v[50:51], off
	global_load_dword v47, v[26:27], off
	;; [unrolled: 1-line block ×4, first 2 shown]
	s_nop 0
	global_load_dword v50, v[32:33], off
	global_load_dword v51, v[34:35], off
	v_add_u32_e32 v26, s90, v96
	v_ashrrev_i32_e32 v27, 31, v26
	v_add_u32_e32 v28, s91, v96
	v_add_u32_e32 v30, s92, v96
	v_add_u32_e32 v32, s93, v96
	v_add_u32_e32 v34, s94, v96
	v_add_u32_e32 v40, s97, v96
	v_lshl_add_u64 v[26:27], v[26:27], 2, v[18:19]
	v_ashrrev_i32_e32 v29, 31, v28
	v_ashrrev_i32_e32 v31, 31, v30
	v_ashrrev_i32_e32 v33, 31, v32
	v_ashrrev_i32_e32 v35, 31, v34
	v_ashrrev_i32_e32 v37, 31, v36
	v_ashrrev_i32_e32 v39, 31, v38
	v_ashrrev_i32_e32 v41, 31, v40
	v_lshl_add_u64 v[28:29], v[28:29], 2, v[18:19]
	v_lshl_add_u64 v[30:31], v[30:31], 2, v[18:19]
	v_lshl_add_u64 v[32:33], v[32:33], 2, v[18:19]
	v_lshl_add_u64 v[34:35], v[34:35], 2, v[18:19]
	v_lshl_add_u64 v[36:37], v[36:37], 2, v[18:19]
	v_lshl_add_u64 v[38:39], v[38:39], 2, v[18:19]
	v_lshl_add_u64 v[40:41], v[40:41], 2, v[18:19]
	global_load_dword v52, v[26:27], off
	global_load_dword v53, v[28:29], off
	global_load_dword v54, v[30:31], off
	global_load_dword v55, v[32:33], off
	global_load_dword v56, v[34:35], off
	global_load_dword v57, v[36:37], off
	global_load_dword v68, v[38:39], off
	global_load_dword v69, v[40:41], off
	v_add_u32_e32 v26, s98, v96
	v_ashrrev_i32_e32 v27, 31, v26
	v_add_u32_e32 v28, s99, v96
	v_add_u32_e32 v30, s38, v96
	v_add_u32_e32 v32, s39, v96
	v_add_u32_e32 v34, s5, v96
	v_add_u32_e32 v36, s54, v96
	v_add_u32_e32 v38, s51, v96
	v_add_u32_e32 v40, s58, v96
	v_lshl_add_u64 v[26:27], v[26:27], 2, v[18:19]
	v_ashrrev_i32_e32 v29, 31, v28
	v_ashrrev_i32_e32 v31, 31, v30
	v_ashrrev_i32_e32 v33, 31, v32
	v_ashrrev_i32_e32 v35, 31, v34
	v_ashrrev_i32_e32 v37, 31, v36
	v_ashrrev_i32_e32 v39, 31, v38
	v_ashrrev_i32_e32 v41, 31, v40
	v_lshl_add_u64 v[28:29], v[28:29], 2, v[18:19]
	v_lshl_add_u64 v[30:31], v[30:31], 2, v[18:19]
	v_lshl_add_u64 v[32:33], v[32:33], 2, v[18:19]
	v_lshl_add_u64 v[34:35], v[34:35], 2, v[18:19]
	v_lshl_add_u64 v[36:37], v[36:37], 2, v[18:19]
	v_lshl_add_u64 v[38:39], v[38:39], 2, v[18:19]
	v_lshl_add_u64 v[40:41], v[40:41], 2, v[18:19]
	global_load_dword v70, v[26:27], off
	global_load_dword v71, v[28:29], off
	global_load_dword v72, v[30:31], off
	global_load_dword v73, v[32:33], off
	global_load_dword v74, v[34:35], off
	global_load_dword v75, v[36:37], off
	global_load_dword v76, v[38:39], off
	global_load_dword v77, v[40:41], off
	v_add_u32_e32 v26, s59, v96
	v_ashrrev_i32_e32 v27, 31, v26
	v_add_u32_e32 v28, s60, v96
	v_add_u32_e32 v30, s61, v96
	;; [unrolled: 32-line block ×4, first 2 shown]
	v_add_u32_e32 v32, s69, v96
	v_add_u32_e32 v34, s70, v96
	;; [unrolled: 1-line block ×3, first 2 shown]
	v_lshl_add_u64 v[26:27], v[26:27], 2, v[18:19]
	v_ashrrev_i32_e32 v29, 31, v28
	v_ashrrev_i32_e32 v31, 31, v30
	;; [unrolled: 1-line block ×5, first 2 shown]
	v_lshl_add_u64 v[28:29], v[28:29], 2, v[18:19]
	v_lshl_add_u64 v[30:31], v[30:31], 2, v[18:19]
	v_lshl_add_u64 v[32:33], v[32:33], 2, v[18:19]
	v_lshl_add_u64 v[34:35], v[34:35], 2, v[18:19]
	v_lshl_add_u64 v[36:37], v[36:37], 2, v[18:19]
	global_load_dword v103, v[26:27], off
	global_load_dword v104, v[28:29], off
	;; [unrolled: 1-line block ×6, first 2 shown]
	s_waitcnt vmcnt(55)
	ds_write_b32 v98, v59 offset:2176
	s_waitcnt vmcnt(54)
	ds_write_b32 v98, v60 offset:2440
	s_waitcnt vmcnt(53)
	ds_write_b32 v98, v61 offset:2704
	s_waitcnt vmcnt(52)
	ds_write_b32 v98, v62 offset:2968
	s_waitcnt vmcnt(51)
	ds_write_b32 v98, v63 offset:3232
	s_waitcnt vmcnt(50)
	ds_write_b32 v98, v64 offset:3496
	s_waitcnt vmcnt(49)
	ds_write_b32 v98, v65 offset:3760
	s_waitcnt vmcnt(48)
	ds_write_b32 v98, v66 offset:4024
	ds_read_b64 v[42:43], v99 offset:64
	ds_read_b64 v[38:39], v99 offset:96
	ds_read_b64 v[36:37], v99 offset:128
	ds_read_b64 v[34:35], v99 offset:160
	ds_read_b64 v[32:33], v99 offset:192
	ds_read_b64 v[30:31], v99 offset:224
	ds_read_b64 v[28:29], v99 offset:256
	ds_read_b64 v[26:27], v99 offset:288
	s_waitcnt vmcnt(47)
	ds_write_b32 v98, v67 offset:64
	s_waitcnt vmcnt(46)
	ds_write_b32 v98, v44 offset:328
	s_waitcnt vmcnt(45)
	ds_write_b32 v98, v22 offset:592
	s_waitcnt vmcnt(44)
	ds_write_b32 v98, v45 offset:856
	s_waitcnt vmcnt(43)
	ds_write_b32 v98, v46 offset:1120
	s_waitcnt vmcnt(42)
	ds_write_b32 v98, v47 offset:1384
	s_waitcnt vmcnt(41)
	ds_write_b32 v98, v48 offset:1648
	s_waitcnt vmcnt(40)
	ds_write_b32 v98, v49 offset:1912
	s_waitcnt vmcnt(39)
	ds_write_b32 v98, v50 offset:2176
	s_waitcnt vmcnt(38)
	ds_write_b32 v98, v51 offset:2440
	s_waitcnt vmcnt(37)
	ds_write_b32 v98, v52 offset:2704
	s_waitcnt vmcnt(36)
	ds_write_b32 v98, v53 offset:2968
	s_waitcnt vmcnt(35)
	ds_write_b32 v98, v54 offset:3232
	s_waitcnt vmcnt(34)
	ds_write_b32 v98, v55 offset:3496
	s_waitcnt vmcnt(33)
	ds_write_b32 v98, v56 offset:3760
	s_waitcnt vmcnt(32)
	ds_write_b32 v98, v57 offset:4024
	ds_read_b64 v[58:59], v99 offset:64
	ds_read_b64 v[56:57], v99 offset:96
	ds_read_b64 v[52:53], v99 offset:128
	ds_read_b64 v[50:51], v99 offset:160
	ds_read_b64 v[48:49], v99 offset:192
	ds_read_b64 v[46:47], v99 offset:224
	ds_read_b64 v[44:45], v99 offset:256
	ds_read_b64 v[40:41], v99 offset:288
	s_waitcnt vmcnt(31)
	ds_write_b32 v98, v68 offset:64
	s_waitcnt vmcnt(30)
	ds_write_b32 v98, v69 offset:328
	s_waitcnt vmcnt(29)
	ds_write_b32 v98, v70 offset:592
	s_waitcnt vmcnt(28)
	ds_write_b32 v98, v71 offset:856
	s_waitcnt vmcnt(27)
	ds_write_b32 v98, v72 offset:1120
	s_waitcnt vmcnt(26)
	ds_write_b32 v98, v73 offset:1384
	s_waitcnt vmcnt(25)
	ds_write_b32 v98, v74 offset:1648
	s_waitcnt vmcnt(24)
	ds_write_b32 v98, v75 offset:1912
	;; [unrolled: 40-line block ×3, first 2 shown]
	s_waitcnt vmcnt(7)
	ds_write_b32 v98, v101 offset:2176
	s_waitcnt vmcnt(6)
	ds_write_b32 v98, v102 offset:2440
	;; [unrolled: 2-line block ×8, first 2 shown]
	ds_read_b64 v[88:89], v99 offset:64
	ds_read_b64 v[86:87], v99 offset:96
	;; [unrolled: 1-line block ×8, first 2 shown]
	s_andn2_b64 vcc, exec, s[0:1]
	v_mov_b32_e32 v90, 0
	v_mov_b32_e32 v91, 0
	s_cbranch_vccnz .LBB145_36
; %bb.34:                               ;   in Loop: Header=BB145_33 Depth=1
	ds_read_b32 v22, v97
	v_mov_b32_e32 v91, 0
	v_mov_b32_e32 v90, 0
	s_waitcnt lgkmcnt(0)
	v_cmp_gt_i32_e32 vcc, 0, v22
	s_cbranch_vccnz .LBB145_36
; %bb.35:                               ;   in Loop: Header=BB145_33 Depth=1
	v_mul_lo_u32 v22, v22, s49
	v_add_u32_e32 v90, v100, v22
	v_ashrrev_i32_e32 v91, 31, v90
	v_lshl_add_u64 v[90:91], v[90:91], 2, v[20:21]
	global_load_dwordx2 v[90:91], v[90:91], off
.LBB145_36:                             ;   in Loop: Header=BB145_33 Depth=1
	s_waitcnt vmcnt(0)
	v_and_b32_e32 v22, 0x7f800000, v90
	v_cmp_ne_u32_e32 vcc, s73, v22
                                        ; implicit-def: $vgpr22
	s_and_saveexec_b64 s[56:57], vcc
	s_xor_b64 s[56:57], exec, s[56:57]
; %bb.37:                               ;   in Loop: Header=BB145_33 Depth=1
	v_bfe_u32 v22, v90, 16, 1
	v_add3_u32 v22, v90, v22, s74
; %bb.38:                               ;   in Loop: Header=BB145_33 Depth=1
	s_andn2_saveexec_b64 s[56:57], s[56:57]
; %bb.39:                               ;   in Loop: Header=BB145_33 Depth=1
	v_or_b32_e32 v22, 0x10000, v90
	v_cmp_eq_u32_sdwa vcc, v90, v23 src0_sel:WORD_0 src1_sel:DWORD
	s_nop 1
	v_cndmask_b32_e32 v22, v22, v90, vcc
; %bb.40:                               ;   in Loop: Header=BB145_33 Depth=1
	s_or_b64 exec, exec, s[56:57]
	v_and_b32_e32 v90, 0x7f800000, v91
	v_cmp_ne_u32_e32 vcc, s73, v90
                                        ; implicit-def: $vgpr90
	s_and_saveexec_b64 s[56:57], vcc
	s_xor_b64 s[56:57], exec, s[56:57]
; %bb.41:                               ;   in Loop: Header=BB145_33 Depth=1
	v_bfe_u32 v90, v91, 16, 1
	v_add3_u32 v90, v91, v90, s74
                                        ; implicit-def: $vgpr91
; %bb.42:                               ;   in Loop: Header=BB145_33 Depth=1
	s_andn2_saveexec_b64 s[56:57], s[56:57]
; %bb.43:                               ;   in Loop: Header=BB145_33 Depth=1
	v_or_b32_e32 v90, 0x10000, v91
	v_cmp_eq_u32_sdwa vcc, v91, v23 src0_sel:WORD_0 src1_sel:DWORD
	s_nop 1
	v_cndmask_b32_e32 v90, v90, v91, vcc
; %bb.44:                               ;   in Loop: Header=BB145_33 Depth=1
	s_or_b64 exec, exec, s[56:57]
	v_perm_b32 v22, v90, v22, s75
	s_andn2_b64 vcc, exec, s[6:7]
	v_mov_b32_e32 v90, 0
	v_mov_b32_e32 v91, 0
	ds_write_b32 v98, v22 offset:64
	s_cbranch_vccnz .LBB145_47
; %bb.45:                               ;   in Loop: Header=BB145_33 Depth=1
	ds_read_b32 v22, v97 offset:4
	v_mov_b32_e32 v91, 0
	v_mov_b32_e32 v90, 0
	s_waitcnt lgkmcnt(0)
	v_cmp_gt_i32_e32 vcc, 0, v22
	s_cbranch_vccnz .LBB145_47
; %bb.46:                               ;   in Loop: Header=BB145_33 Depth=1
	v_mul_lo_u32 v22, v22, s49
	v_readlane_b32 s56, v109, 25
	s_nop 1
	v_add_u32_e32 v22, s56, v22
	v_add_u32_e32 v90, v22, v100
	v_ashrrev_i32_e32 v91, 31, v90
	v_lshl_add_u64 v[90:91], v[90:91], 2, v[20:21]
	global_load_dwordx2 v[90:91], v[90:91], off
.LBB145_47:                             ;   in Loop: Header=BB145_33 Depth=1
	s_waitcnt vmcnt(0)
	v_and_b32_e32 v22, 0x7f800000, v90
	v_cmp_ne_u32_e32 vcc, s73, v22
                                        ; implicit-def: $vgpr22
	s_and_saveexec_b64 s[56:57], vcc
	s_xor_b64 s[56:57], exec, s[56:57]
; %bb.48:                               ;   in Loop: Header=BB145_33 Depth=1
	v_bfe_u32 v22, v90, 16, 1
	v_add3_u32 v22, v90, v22, s74
; %bb.49:                               ;   in Loop: Header=BB145_33 Depth=1
	s_andn2_saveexec_b64 s[56:57], s[56:57]
; %bb.50:                               ;   in Loop: Header=BB145_33 Depth=1
	v_or_b32_e32 v22, 0x10000, v90
	v_cmp_eq_u32_sdwa vcc, v90, v23 src0_sel:WORD_0 src1_sel:DWORD
	s_nop 1
	v_cndmask_b32_e32 v22, v22, v90, vcc
; %bb.51:                               ;   in Loop: Header=BB145_33 Depth=1
	s_or_b64 exec, exec, s[56:57]
	v_and_b32_e32 v90, 0x7f800000, v91
	v_cmp_ne_u32_e32 vcc, s73, v90
                                        ; implicit-def: $vgpr90
	s_and_saveexec_b64 s[56:57], vcc
	s_xor_b64 s[56:57], exec, s[56:57]
; %bb.52:                               ;   in Loop: Header=BB145_33 Depth=1
	v_bfe_u32 v90, v91, 16, 1
	v_add3_u32 v90, v91, v90, s74
                                        ; implicit-def: $vgpr91
; %bb.53:                               ;   in Loop: Header=BB145_33 Depth=1
	s_andn2_saveexec_b64 s[56:57], s[56:57]
; %bb.54:                               ;   in Loop: Header=BB145_33 Depth=1
	v_or_b32_e32 v90, 0x10000, v91
	v_cmp_eq_u32_sdwa vcc, v91, v23 src0_sel:WORD_0 src1_sel:DWORD
	s_nop 1
	v_cndmask_b32_e32 v90, v90, v91, vcc
; %bb.55:                               ;   in Loop: Header=BB145_33 Depth=1
	s_or_b64 exec, exec, s[56:57]
	v_perm_b32 v22, v90, v22, s75
	s_andn2_b64 vcc, exec, s[8:9]
	v_mov_b32_e32 v90, 0
	v_mov_b32_e32 v91, 0
	ds_write_b32 v98, v22 offset:328
	s_cbranch_vccnz .LBB145_58
; %bb.56:                               ;   in Loop: Header=BB145_33 Depth=1
	ds_read_b32 v22, v97 offset:8
	v_mov_b32_e32 v91, 0
	v_mov_b32_e32 v90, 0
	s_waitcnt lgkmcnt(0)
	v_cmp_gt_i32_e32 vcc, 0, v22
	s_cbranch_vccnz .LBB145_58
; %bb.57:                               ;   in Loop: Header=BB145_33 Depth=1
	v_mul_lo_u32 v22, v22, s49
	v_add_u32_e32 v22, s41, v22
	v_add_u32_e32 v90, v22, v100
	v_ashrrev_i32_e32 v91, 31, v90
	v_lshl_add_u64 v[90:91], v[90:91], 2, v[20:21]
	global_load_dwordx2 v[90:91], v[90:91], off
.LBB145_58:                             ;   in Loop: Header=BB145_33 Depth=1
	s_waitcnt vmcnt(0)
	v_and_b32_e32 v22, 0x7f800000, v90
	v_cmp_ne_u32_e32 vcc, s73, v22
                                        ; implicit-def: $vgpr22
	s_and_saveexec_b64 s[56:57], vcc
	s_xor_b64 s[56:57], exec, s[56:57]
; %bb.59:                               ;   in Loop: Header=BB145_33 Depth=1
	v_bfe_u32 v22, v90, 16, 1
	v_add3_u32 v22, v90, v22, s74
; %bb.60:                               ;   in Loop: Header=BB145_33 Depth=1
	s_andn2_saveexec_b64 s[56:57], s[56:57]
; %bb.61:                               ;   in Loop: Header=BB145_33 Depth=1
	v_or_b32_e32 v22, 0x10000, v90
	v_cmp_eq_u32_sdwa vcc, v90, v23 src0_sel:WORD_0 src1_sel:DWORD
	s_nop 1
	v_cndmask_b32_e32 v22, v22, v90, vcc
; %bb.62:                               ;   in Loop: Header=BB145_33 Depth=1
	s_or_b64 exec, exec, s[56:57]
	v_and_b32_e32 v90, 0x7f800000, v91
	v_cmp_ne_u32_e32 vcc, s73, v90
                                        ; implicit-def: $vgpr90
	s_and_saveexec_b64 s[56:57], vcc
	s_xor_b64 s[56:57], exec, s[56:57]
; %bb.63:                               ;   in Loop: Header=BB145_33 Depth=1
	v_bfe_u32 v90, v91, 16, 1
	v_add3_u32 v90, v91, v90, s74
                                        ; implicit-def: $vgpr91
; %bb.64:                               ;   in Loop: Header=BB145_33 Depth=1
	s_andn2_saveexec_b64 s[56:57], s[56:57]
; %bb.65:                               ;   in Loop: Header=BB145_33 Depth=1
	v_or_b32_e32 v90, 0x10000, v91
	v_cmp_eq_u32_sdwa vcc, v91, v23 src0_sel:WORD_0 src1_sel:DWORD
	s_nop 1
	v_cndmask_b32_e32 v90, v90, v91, vcc
; %bb.66:                               ;   in Loop: Header=BB145_33 Depth=1
	s_or_b64 exec, exec, s[56:57]
	v_perm_b32 v22, v90, v22, s75
	s_andn2_b64 vcc, exec, s[10:11]
	v_mov_b32_e32 v90, 0
	v_mov_b32_e32 v91, 0
	ds_write_b32 v98, v22 offset:592
	s_cbranch_vccnz .LBB145_69
; %bb.67:                               ;   in Loop: Header=BB145_33 Depth=1
	ds_read_b32 v22, v97 offset:12
	v_mov_b32_e32 v91, 0
	v_mov_b32_e32 v90, 0
	s_waitcnt lgkmcnt(0)
	v_cmp_gt_i32_e32 vcc, 0, v22
	s_cbranch_vccnz .LBB145_69
; %bb.68:                               ;   in Loop: Header=BB145_33 Depth=1
	v_mul_lo_u32 v22, v22, s49
	v_readlane_b32 s56, v109, 15
	s_nop 1
	v_add_u32_e32 v22, s56, v22
	v_add_u32_e32 v90, v22, v100
	v_ashrrev_i32_e32 v91, 31, v90
	v_lshl_add_u64 v[90:91], v[90:91], 2, v[20:21]
	global_load_dwordx2 v[90:91], v[90:91], off
.LBB145_69:                             ;   in Loop: Header=BB145_33 Depth=1
	s_waitcnt vmcnt(0)
	v_and_b32_e32 v22, 0x7f800000, v90
	v_cmp_ne_u32_e32 vcc, s73, v22
                                        ; implicit-def: $vgpr22
	s_and_saveexec_b64 s[56:57], vcc
	s_xor_b64 s[56:57], exec, s[56:57]
; %bb.70:                               ;   in Loop: Header=BB145_33 Depth=1
	v_bfe_u32 v22, v90, 16, 1
	v_add3_u32 v22, v90, v22, s74
; %bb.71:                               ;   in Loop: Header=BB145_33 Depth=1
	s_andn2_saveexec_b64 s[56:57], s[56:57]
; %bb.72:                               ;   in Loop: Header=BB145_33 Depth=1
	v_or_b32_e32 v22, 0x10000, v90
	v_cmp_eq_u32_sdwa vcc, v90, v23 src0_sel:WORD_0 src1_sel:DWORD
	s_nop 1
	v_cndmask_b32_e32 v22, v22, v90, vcc
; %bb.73:                               ;   in Loop: Header=BB145_33 Depth=1
	s_or_b64 exec, exec, s[56:57]
	v_and_b32_e32 v90, 0x7f800000, v91
	v_cmp_ne_u32_e32 vcc, s73, v90
                                        ; implicit-def: $vgpr90
	s_and_saveexec_b64 s[56:57], vcc
	s_xor_b64 s[56:57], exec, s[56:57]
; %bb.74:                               ;   in Loop: Header=BB145_33 Depth=1
	v_bfe_u32 v90, v91, 16, 1
	v_add3_u32 v90, v91, v90, s74
                                        ; implicit-def: $vgpr91
; %bb.75:                               ;   in Loop: Header=BB145_33 Depth=1
	s_andn2_saveexec_b64 s[56:57], s[56:57]
; %bb.76:                               ;   in Loop: Header=BB145_33 Depth=1
	v_or_b32_e32 v90, 0x10000, v91
	v_cmp_eq_u32_sdwa vcc, v91, v23 src0_sel:WORD_0 src1_sel:DWORD
	s_nop 1
	v_cndmask_b32_e32 v90, v90, v91, vcc
; %bb.77:                               ;   in Loop: Header=BB145_33 Depth=1
	s_or_b64 exec, exec, s[56:57]
	v_perm_b32 v22, v90, v22, s75
	s_andn2_b64 vcc, exec, s[12:13]
	v_mov_b32_e32 v90, 0
	v_mov_b32_e32 v91, 0
	ds_write_b32 v98, v22 offset:856
	s_cbranch_vccnz .LBB145_80
; %bb.78:                               ;   in Loop: Header=BB145_33 Depth=1
	ds_read_b32 v22, v97 offset:16
	v_mov_b32_e32 v91, 0
	v_mov_b32_e32 v90, 0
	s_waitcnt lgkmcnt(0)
	v_cmp_gt_i32_e32 vcc, 0, v22
	s_cbranch_vccnz .LBB145_80
; %bb.79:                               ;   in Loop: Header=BB145_33 Depth=1
	v_mul_lo_u32 v22, v22, s49
	v_readlane_b32 s56, v109, 14
	s_nop 1
	v_add_u32_e32 v22, s56, v22
	v_add_u32_e32 v90, v22, v100
	v_ashrrev_i32_e32 v91, 31, v90
	v_lshl_add_u64 v[90:91], v[90:91], 2, v[20:21]
	global_load_dwordx2 v[90:91], v[90:91], off
.LBB145_80:                             ;   in Loop: Header=BB145_33 Depth=1
	;; [unrolled: 59-line block ×3, first 2 shown]
	s_waitcnt vmcnt(0)
	v_and_b32_e32 v22, 0x7f800000, v90
	v_cmp_ne_u32_e32 vcc, s73, v22
                                        ; implicit-def: $vgpr22
	s_and_saveexec_b64 s[56:57], vcc
	s_xor_b64 s[56:57], exec, s[56:57]
; %bb.92:                               ;   in Loop: Header=BB145_33 Depth=1
	v_bfe_u32 v22, v90, 16, 1
	v_add3_u32 v22, v90, v22, s74
; %bb.93:                               ;   in Loop: Header=BB145_33 Depth=1
	s_andn2_saveexec_b64 s[56:57], s[56:57]
; %bb.94:                               ;   in Loop: Header=BB145_33 Depth=1
	v_or_b32_e32 v22, 0x10000, v90
	v_cmp_eq_u32_sdwa vcc, v90, v23 src0_sel:WORD_0 src1_sel:DWORD
	s_nop 1
	v_cndmask_b32_e32 v22, v22, v90, vcc
; %bb.95:                               ;   in Loop: Header=BB145_33 Depth=1
	s_or_b64 exec, exec, s[56:57]
	v_and_b32_e32 v90, 0x7f800000, v91
	v_cmp_ne_u32_e32 vcc, s73, v90
                                        ; implicit-def: $vgpr90
	s_and_saveexec_b64 s[56:57], vcc
	s_xor_b64 s[56:57], exec, s[56:57]
; %bb.96:                               ;   in Loop: Header=BB145_33 Depth=1
	v_bfe_u32 v90, v91, 16, 1
	v_add3_u32 v90, v91, v90, s74
                                        ; implicit-def: $vgpr91
; %bb.97:                               ;   in Loop: Header=BB145_33 Depth=1
	s_andn2_saveexec_b64 s[56:57], s[56:57]
; %bb.98:                               ;   in Loop: Header=BB145_33 Depth=1
	v_or_b32_e32 v90, 0x10000, v91
	v_cmp_eq_u32_sdwa vcc, v91, v23 src0_sel:WORD_0 src1_sel:DWORD
	s_nop 1
	v_cndmask_b32_e32 v90, v90, v91, vcc
; %bb.99:                               ;   in Loop: Header=BB145_33 Depth=1
	s_or_b64 exec, exec, s[56:57]
	v_perm_b32 v22, v90, v22, s75
	s_andn2_b64 vcc, exec, s[16:17]
	v_mov_b32_e32 v90, 0
	v_mov_b32_e32 v91, 0
	ds_write_b32 v98, v22 offset:1384
	s_cbranch_vccnz .LBB145_102
; %bb.100:                              ;   in Loop: Header=BB145_33 Depth=1
	ds_read_b32 v22, v97 offset:24
	v_mov_b32_e32 v91, 0
	v_mov_b32_e32 v90, 0
	s_waitcnt lgkmcnt(0)
	v_cmp_gt_i32_e32 vcc, 0, v22
	s_cbranch_vccnz .LBB145_102
; %bb.101:                              ;   in Loop: Header=BB145_33 Depth=1
	v_mul_lo_u32 v22, v22, s49
	v_readlane_b32 s56, v109, 18
	s_nop 1
	v_add_u32_e32 v22, s56, v22
	v_add_u32_e32 v90, v22, v100
	v_ashrrev_i32_e32 v91, 31, v90
	v_lshl_add_u64 v[90:91], v[90:91], 2, v[20:21]
	global_load_dwordx2 v[90:91], v[90:91], off
.LBB145_102:                            ;   in Loop: Header=BB145_33 Depth=1
	s_waitcnt vmcnt(0)
	v_and_b32_e32 v22, 0x7f800000, v90
	v_cmp_ne_u32_e32 vcc, s73, v22
                                        ; implicit-def: $vgpr22
	s_and_saveexec_b64 s[56:57], vcc
	s_xor_b64 s[56:57], exec, s[56:57]
; %bb.103:                              ;   in Loop: Header=BB145_33 Depth=1
	v_bfe_u32 v22, v90, 16, 1
	v_add3_u32 v22, v90, v22, s74
; %bb.104:                              ;   in Loop: Header=BB145_33 Depth=1
	s_andn2_saveexec_b64 s[56:57], s[56:57]
; %bb.105:                              ;   in Loop: Header=BB145_33 Depth=1
	v_or_b32_e32 v22, 0x10000, v90
	v_cmp_eq_u32_sdwa vcc, v90, v23 src0_sel:WORD_0 src1_sel:DWORD
	s_nop 1
	v_cndmask_b32_e32 v22, v22, v90, vcc
; %bb.106:                              ;   in Loop: Header=BB145_33 Depth=1
	s_or_b64 exec, exec, s[56:57]
	v_and_b32_e32 v90, 0x7f800000, v91
	v_cmp_ne_u32_e32 vcc, s73, v90
                                        ; implicit-def: $vgpr90
	s_and_saveexec_b64 s[56:57], vcc
	s_xor_b64 s[56:57], exec, s[56:57]
; %bb.107:                              ;   in Loop: Header=BB145_33 Depth=1
	v_bfe_u32 v90, v91, 16, 1
	v_add3_u32 v90, v91, v90, s74
                                        ; implicit-def: $vgpr91
; %bb.108:                              ;   in Loop: Header=BB145_33 Depth=1
	s_andn2_saveexec_b64 s[56:57], s[56:57]
; %bb.109:                              ;   in Loop: Header=BB145_33 Depth=1
	v_or_b32_e32 v90, 0x10000, v91
	v_cmp_eq_u32_sdwa vcc, v91, v23 src0_sel:WORD_0 src1_sel:DWORD
	s_nop 1
	v_cndmask_b32_e32 v90, v90, v91, vcc
; %bb.110:                              ;   in Loop: Header=BB145_33 Depth=1
	s_or_b64 exec, exec, s[56:57]
	v_perm_b32 v22, v90, v22, s75
	s_andn2_b64 vcc, exec, s[18:19]
	v_mov_b32_e32 v90, 0
	v_mov_b32_e32 v91, 0
	ds_write_b32 v98, v22 offset:1648
	s_cbranch_vccnz .LBB145_113
; %bb.111:                              ;   in Loop: Header=BB145_33 Depth=1
	ds_read_b32 v22, v97 offset:28
	v_mov_b32_e32 v91, 0
	v_mov_b32_e32 v90, 0
	s_waitcnt lgkmcnt(0)
	v_cmp_gt_i32_e32 vcc, 0, v22
	s_cbranch_vccnz .LBB145_113
; %bb.112:                              ;   in Loop: Header=BB145_33 Depth=1
	v_mul_lo_u32 v22, v22, s49
	v_readlane_b32 s56, v109, 24
	s_nop 1
	v_add_u32_e32 v22, s56, v22
	v_add_u32_e32 v90, v22, v100
	v_ashrrev_i32_e32 v91, 31, v90
	v_lshl_add_u64 v[90:91], v[90:91], 2, v[20:21]
	global_load_dwordx2 v[90:91], v[90:91], off
.LBB145_113:                            ;   in Loop: Header=BB145_33 Depth=1
	s_waitcnt vmcnt(0)
	v_and_b32_e32 v22, 0x7f800000, v90
	v_cmp_ne_u32_e32 vcc, s73, v22
                                        ; implicit-def: $vgpr22
	s_and_saveexec_b64 s[56:57], vcc
	s_xor_b64 s[56:57], exec, s[56:57]
; %bb.114:                              ;   in Loop: Header=BB145_33 Depth=1
	v_bfe_u32 v22, v90, 16, 1
	v_add3_u32 v22, v90, v22, s74
; %bb.115:                              ;   in Loop: Header=BB145_33 Depth=1
	s_andn2_saveexec_b64 s[56:57], s[56:57]
; %bb.116:                              ;   in Loop: Header=BB145_33 Depth=1
	v_or_b32_e32 v22, 0x10000, v90
	v_cmp_eq_u32_sdwa vcc, v90, v23 src0_sel:WORD_0 src1_sel:DWORD
	s_nop 1
	v_cndmask_b32_e32 v22, v22, v90, vcc
; %bb.117:                              ;   in Loop: Header=BB145_33 Depth=1
	s_or_b64 exec, exec, s[56:57]
	v_and_b32_e32 v90, 0x7f800000, v91
	v_cmp_ne_u32_e32 vcc, s73, v90
                                        ; implicit-def: $vgpr90
	s_and_saveexec_b64 s[56:57], vcc
	s_xor_b64 s[56:57], exec, s[56:57]
; %bb.118:                              ;   in Loop: Header=BB145_33 Depth=1
	v_bfe_u32 v90, v91, 16, 1
	v_add3_u32 v90, v91, v90, s74
                                        ; implicit-def: $vgpr91
; %bb.119:                              ;   in Loop: Header=BB145_33 Depth=1
	s_andn2_saveexec_b64 s[56:57], s[56:57]
; %bb.120:                              ;   in Loop: Header=BB145_33 Depth=1
	v_or_b32_e32 v90, 0x10000, v91
	v_cmp_eq_u32_sdwa vcc, v91, v23 src0_sel:WORD_0 src1_sel:DWORD
	s_nop 1
	v_cndmask_b32_e32 v90, v90, v91, vcc
; %bb.121:                              ;   in Loop: Header=BB145_33 Depth=1
	;; [unrolled: 59-line block ×7, first 2 shown]
	s_or_b64 exec, exec, s[56:57]
	v_perm_b32 v22, v90, v22, s75
	s_andn2_b64 vcc, exec, s[30:31]
	v_mov_b32_e32 v90, 0
	v_mov_b32_e32 v91, 0
	ds_write_b32 v98, v22 offset:3232
	s_cbranch_vccnz .LBB145_179
; %bb.177:                              ;   in Loop: Header=BB145_33 Depth=1
	ds_read_b32 v22, v97 offset:52
	v_mov_b32_e32 v91, 0
	v_mov_b32_e32 v90, 0
	s_waitcnt lgkmcnt(0)
	v_cmp_gt_i32_e32 vcc, 0, v22
	s_cbranch_vccnz .LBB145_179
; %bb.178:                              ;   in Loop: Header=BB145_33 Depth=1
	v_mul_lo_u32 v22, v22, s49
	v_readlane_b32 s56, v109, 19
	s_nop 1
	v_add_u32_e32 v22, s56, v22
	v_add_u32_e32 v90, v22, v100
	v_ashrrev_i32_e32 v91, 31, v90
	v_lshl_add_u64 v[90:91], v[90:91], 2, v[20:21]
	global_load_dwordx2 v[90:91], v[90:91], off
.LBB145_179:                            ;   in Loop: Header=BB145_33 Depth=1
	s_waitcnt vmcnt(0)
	v_and_b32_e32 v22, 0x7f800000, v90
	v_cmp_ne_u32_e32 vcc, s73, v22
                                        ; implicit-def: $vgpr22
	s_and_saveexec_b64 s[56:57], vcc
	s_xor_b64 s[56:57], exec, s[56:57]
; %bb.180:                              ;   in Loop: Header=BB145_33 Depth=1
	v_bfe_u32 v22, v90, 16, 1
	v_add3_u32 v22, v90, v22, s74
; %bb.181:                              ;   in Loop: Header=BB145_33 Depth=1
	s_andn2_saveexec_b64 s[56:57], s[56:57]
; %bb.182:                              ;   in Loop: Header=BB145_33 Depth=1
	v_or_b32_e32 v22, 0x10000, v90
	v_cmp_eq_u32_sdwa vcc, v90, v23 src0_sel:WORD_0 src1_sel:DWORD
	s_nop 1
	v_cndmask_b32_e32 v22, v22, v90, vcc
; %bb.183:                              ;   in Loop: Header=BB145_33 Depth=1
	s_or_b64 exec, exec, s[56:57]
	v_and_b32_e32 v90, 0x7f800000, v91
	v_cmp_ne_u32_e32 vcc, s73, v90
                                        ; implicit-def: $vgpr90
	s_and_saveexec_b64 s[56:57], vcc
	s_xor_b64 s[56:57], exec, s[56:57]
; %bb.184:                              ;   in Loop: Header=BB145_33 Depth=1
	v_bfe_u32 v90, v91, 16, 1
	v_add3_u32 v90, v91, v90, s74
                                        ; implicit-def: $vgpr91
; %bb.185:                              ;   in Loop: Header=BB145_33 Depth=1
	s_andn2_saveexec_b64 s[56:57], s[56:57]
	s_cbranch_execz .LBB145_32
; %bb.186:                              ;   in Loop: Header=BB145_33 Depth=1
	v_or_b32_e32 v90, 0x10000, v91
	v_cmp_eq_u32_sdwa vcc, v91, v23 src0_sel:WORD_0 src1_sel:DWORD
	s_nop 1
	v_cndmask_b32_e32 v90, v90, v91, vcc
	s_branch .LBB145_32
.LBB145_187:
	s_or_b64 exec, exec, s[42:43]
	v_readlane_b32 s24, v109, 6
	v_readlane_b32 s28, v109, 10
	v_readlane_b32 s4, v109, 9
	v_readlane_b32 s25, v109, 7
	v_readlane_b32 s30, v109, 12
	v_readlane_b32 s6, v109, 8
	v_readlane_b32 s29, v109, 11
	v_readlane_b32 s31, v109, 13
.LBB145_188:
	s_waitcnt lgkmcnt(0)
	v_readlane_b32 s0, v109, 4
	v_readlane_b32 s1, v109, 5
	s_or_b64 exec, exec, s[0:1]
	v_mul_u32_u24_e32 v18, 0x808, v95
	s_movk_i32 s1, 0x100
	v_lshlrev_b32_e32 v19, 2, v94
	v_add3_u32 v18, s1, v18, v19
	v_and_b32_e32 v20, 0x3f0, v16
	v_add_u32_e32 v21, v18, v20
	s_barrier
	v_add_u32_e32 v19, 64, v18
	ds_write2_b32 v21, v8, v9 offset0:16 offset1:17
	v_or_b32_e32 v9, 12, v16
	v_add_u32_e32 v8, v19, v20
	v_and_b32_e32 v9, 0x3fc, v9
	ds_write_b32 v8, v10 offset:8
	v_add_u32_e32 v10, v18, v9
	ds_write_b32 v10, v11 offset:64
	ds_write2_b32 v8, v4, v5 offset0:16 offset1:17
	ds_write_b32 v8, v6 offset:72
	v_add_u32_e32 v4, v19, v9
	ds_write_b32 v4, v7 offset:64
	ds_write2_b32 v8, v0, v1 offset0:32 offset1:33
	ds_write_b32 v8, v2 offset:136
	ds_write_b32 v4, v3 offset:128
	ds_write2_b32 v8, v12, v13 offset0:48 offset1:49
	ds_write_b32 v8, v14 offset:200
	ds_write_b32 v4, v15 offset:192
	v_mov_b32_e32 v0, 0x100
	s_movk_i32 s0, 0x808
	v_lshl_add_u32 v11, v16, 2, v0
	v_mad_u32_u24 v1, v17, s0, v11
	s_waitcnt lgkmcnt(0)
	s_barrier
	ds_read2_b32 v[8:9], v1 offset0:16 offset1:80
	ds_read2_b32 v[4:5], v1 offset0:144 offset1:208
	v_add_u32_e32 v1, 64, v1
	ds_read2st64_b32 v[6:7], v1 offset0:4 offset1:5
	ds_read2st64_b32 v[2:3], v1 offset0:6 offset1:7
	v_cmp_gt_u32_e32 vcc, 14, v17
	v_mov_b32_e32 v12, -1
	s_and_saveexec_b64 s[0:1], vcc
	s_cbranch_execz .LBB145_190
; %bb.189:
	v_lshl_add_u32 v0, v17, 2, v0
	ds_read_b32 v12, v0
.LBB145_190:
	s_or_b64 exec, exec, s[0:1]
	s_mul_hi_i32 s1, s30, s4
	s_mul_i32 s0, s30, s4
	s_lshl_b64 s[0:1], s[0:1], 2
	v_readlane_b32 s2, v109, 2
	v_mul_hi_i32 v1, v92, s45
	v_mul_lo_u32 v0, v92, s45
	v_readlane_b32 s3, v109, 3
	s_add_u32 s0, s2, s0
	s_addc_u32 s1, s3, s1
	v_lshlrev_b64 v[0:1], 2, v[0:1]
	s_waitcnt lgkmcnt(0)
	v_cmp_lt_i32_e32 vcc, -1, v12
	v_add_u32_e32 v10, s6, v16
	v_lshl_add_u64 v[0:1], s[0:1], 0, v[0:1]
	s_and_b64 s[2:3], vcc, s[24:25]
	s_and_saveexec_b64 s[0:1], s[2:3]
	s_cbranch_execz .LBB145_192
; %bb.191:
	v_add_f32_e32 v8, 0, v8
	v_add_f32_e32 v8, v8, v9
	v_add_f32_e32 v4, v8, v4
	v_add_f32_e32 v4, v4, v5
	v_add_f32_e32 v4, v4, v6
	v_add_f32_e32 v4, v4, v7
	v_add_f32_e32 v2, v4, v2
	v_add_f32_e32 v4, v2, v3
	v_mul_lo_u32 v2, v12, s50
	v_mul_lo_u32 v3, v17, s45
	v_add3_u32 v2, v10, v3, v2
	v_mov_b32_e32 v3, 0
	v_lshl_add_u64 v[2:3], v[2:3], 2, v[0:1]
	global_store_dword v[2:3], v4, off
.LBB145_192:
	s_or_b64 exec, exec, s[0:1]
	v_cmp_gt_u32_e32 vcc, 6, v17
	s_and_saveexec_b64 s[0:1], vcc
	s_cbranch_execz .LBB145_195
; %bb.193:
	v_mov_b32_e32 v2, 0x100
	v_lshl_add_u32 v2, v17, 2, v2
	ds_read_b32 v2, v2 offset:32
	v_readlane_b32 s0, v109, 0
	v_readlane_b32 s1, v109, 1
	s_waitcnt lgkmcnt(0)
	v_cmp_lt_i32_e32 vcc, -1, v2
	s_and_b64 s[0:1], vcc, s[0:1]
	s_and_b64 exec, exec, s[0:1]
	s_cbranch_execz .LBB145_195
; %bb.194:
	v_mul_u32_u24_e32 v3, 0x808, v17
	v_add_u32_e32 v3, v3, v11
	v_add_u32_e32 v8, 0x80, v3
	ds_read2st64_b32 v[4:5], v8 offset0:64 offset1:65
	v_mul_lo_u32 v11, v2, s50
	ds_read2st64_b32 v[2:3], v8 offset0:66 offset1:67
	ds_read2st64_b32 v[6:7], v8 offset0:68 offset1:69
	;; [unrolled: 1-line block ×3, first 2 shown]
	s_waitcnt lgkmcnt(3)
	v_add_f32_e32 v4, 0, v4
	v_add_f32_e32 v4, v4, v5
	s_waitcnt lgkmcnt(2)
	v_add_f32_e32 v2, v4, v2
	v_add_f32_e32 v2, v2, v3
	;; [unrolled: 3-line block ×4, first 2 shown]
	v_mul_lo_u32 v2, v93, s45
	v_add3_u32 v2, v10, v2, v11
	v_mov_b32_e32 v3, 0
	v_lshl_add_u64 v[0:1], v[2:3], 2, v[0:1]
	global_store_dword v[0:1], v4, off
.LBB145_195:
	s_endpgm
	.section	.rodata,"a",@progbits
	.p2align	6, 0x0
	.amdhsa_kernel _ZL9mul_mat_fI15__hip_bfloat162Li64ELi14ELi8ELb1EEvPKT_PKfPKiPfiiiiiiiiiiiiiiii
		.amdhsa_group_segment_fixed_size 256
		.amdhsa_private_segment_fixed_size 0
		.amdhsa_kernarg_size 352
		.amdhsa_user_sgpr_count 2
		.amdhsa_user_sgpr_dispatch_ptr 0
		.amdhsa_user_sgpr_queue_ptr 0
		.amdhsa_user_sgpr_kernarg_segment_ptr 1
		.amdhsa_user_sgpr_dispatch_id 0
		.amdhsa_user_sgpr_kernarg_preload_length 0
		.amdhsa_user_sgpr_kernarg_preload_offset 0
		.amdhsa_user_sgpr_private_segment_size 0
		.amdhsa_uses_dynamic_stack 0
		.amdhsa_enable_private_segment 0
		.amdhsa_system_sgpr_workgroup_id_x 1
		.amdhsa_system_sgpr_workgroup_id_y 1
		.amdhsa_system_sgpr_workgroup_id_z 1
		.amdhsa_system_sgpr_workgroup_info 0
		.amdhsa_system_vgpr_workitem_id 2
		.amdhsa_next_free_vgpr 110
		.amdhsa_next_free_sgpr 100
		.amdhsa_accum_offset 112
		.amdhsa_reserve_vcc 1
		.amdhsa_float_round_mode_32 0
		.amdhsa_float_round_mode_16_64 0
		.amdhsa_float_denorm_mode_32 3
		.amdhsa_float_denorm_mode_16_64 3
		.amdhsa_dx10_clamp 1
		.amdhsa_ieee_mode 1
		.amdhsa_fp16_overflow 0
		.amdhsa_tg_split 0
		.amdhsa_exception_fp_ieee_invalid_op 0
		.amdhsa_exception_fp_denorm_src 0
		.amdhsa_exception_fp_ieee_div_zero 0
		.amdhsa_exception_fp_ieee_overflow 0
		.amdhsa_exception_fp_ieee_underflow 0
		.amdhsa_exception_fp_ieee_inexact 0
		.amdhsa_exception_int_div_zero 0
	.end_amdhsa_kernel
	.section	.text._ZL9mul_mat_fI15__hip_bfloat162Li64ELi14ELi8ELb1EEvPKT_PKfPKiPfiiiiiiiiiiiiiiii,"axG",@progbits,_ZL9mul_mat_fI15__hip_bfloat162Li64ELi14ELi8ELb1EEvPKT_PKfPKiPfiiiiiiiiiiiiiiii,comdat
.Lfunc_end145:
	.size	_ZL9mul_mat_fI15__hip_bfloat162Li64ELi14ELi8ELb1EEvPKT_PKfPKiPfiiiiiiiiiiiiiiii, .Lfunc_end145-_ZL9mul_mat_fI15__hip_bfloat162Li64ELi14ELi8ELb1EEvPKT_PKfPKiPfiiiiiiiiiiiiiiii
                                        ; -- End function
	.section	.AMDGPU.csdata,"",@progbits
; Kernel info:
; codeLenInByte = 9804
; NumSgprs: 106
; NumVgprs: 110
; NumAgprs: 0
; TotalNumVgprs: 110
; ScratchSize: 0
; MemoryBound: 0
; FloatMode: 240
; IeeeMode: 1
; LDSByteSize: 256 bytes/workgroup (compile time only)
; SGPRBlocks: 13
; VGPRBlocks: 13
; NumSGPRsForWavesPerEU: 106
; NumVGPRsForWavesPerEU: 110
; AccumOffset: 112
; Occupancy: 4
; WaveLimiterHint : 0
; COMPUTE_PGM_RSRC2:SCRATCH_EN: 0
; COMPUTE_PGM_RSRC2:USER_SGPR: 2
; COMPUTE_PGM_RSRC2:TRAP_HANDLER: 0
; COMPUTE_PGM_RSRC2:TGID_X_EN: 1
; COMPUTE_PGM_RSRC2:TGID_Y_EN: 1
; COMPUTE_PGM_RSRC2:TGID_Z_EN: 1
; COMPUTE_PGM_RSRC2:TIDIG_COMP_CNT: 2
; COMPUTE_PGM_RSRC3_GFX90A:ACCUM_OFFSET: 27
; COMPUTE_PGM_RSRC3_GFX90A:TG_SPLIT: 0
	.section	.text._ZL9mul_mat_fI15__hip_bfloat162Li64ELi14ELi8ELb0EEvPKT_PKfPKiPfiiiiiiiiiiiiiiii,"axG",@progbits,_ZL9mul_mat_fI15__hip_bfloat162Li64ELi14ELi8ELb0EEvPKT_PKfPKiPfiiiiiiiiiiiiiiii,comdat
	.globl	_ZL9mul_mat_fI15__hip_bfloat162Li64ELi14ELi8ELb0EEvPKT_PKfPKiPfiiiiiiiiiiiiiiii ; -- Begin function _ZL9mul_mat_fI15__hip_bfloat162Li64ELi14ELi8ELb0EEvPKT_PKfPKiPfiiiiiiiiiiiiiiii
	.p2align	8
	.type	_ZL9mul_mat_fI15__hip_bfloat162Li64ELi14ELi8ELb0EEvPKT_PKfPKiPfiiiiiiiiiiiiiiii,@function
_ZL9mul_mat_fI15__hip_bfloat162Li64ELi14ELi8ELb0EEvPKT_PKfPKiPfiiiiiiiiiiiiiiii: ; @_ZL9mul_mat_fI15__hip_bfloat162Li64ELi14ELi8ELb0EEvPKT_PKfPKiPfiiiiiiiiiiiiiiii
; %bb.0:
	s_load_dword s5, s[0:1], 0x20
	s_load_dwordx4 s[16:19], s[0:1], 0x2c
	v_bfe_u32 v90, v0, 10, 10
	v_lshlrev_b32_e32 v92, 6, v90
	v_and_b32_e32 v91, 0x3ff, v0
	v_add_u32_e32 v94, v92, v91
	s_mov_b32 s20, 0
	s_waitcnt lgkmcnt(0)
	s_ashr_i32 s19, s4, 31
	v_cmp_le_i32_e32 vcc, s5, v94
	v_and_b32_e32 v93, 15, v91
	s_and_saveexec_b64 s[6:7], vcc
	s_xor_b64 s[6:7], exec, s[6:7]
; %bb.1:
	v_and_b32_e32 v93, 15, v91
                                        ; implicit-def: $vgpr94
; %bb.2:
	s_or_saveexec_b64 s[24:25], s[6:7]
	s_load_dwordx8 s[8:15], s[0:1], 0x40
	s_load_dwordx2 s[6:7], s[0:1], 0x18
	s_lshl_b32 s27, s2, 6
	v_mov_b32_e32 v11, s20
	v_mov_b32_e32 v10, s20
	;; [unrolled: 1-line block ×16, first 2 shown]
	s_xor_b64 exec, exec, s[24:25]
	s_cbranch_execz .LBB146_118
; %bb.3:
	s_waitcnt lgkmcnt(0)
	s_abs_i32 s2, s8
	v_cvt_f32_u32_e32 v0, s2
                                        ; implicit-def: $vgpr106 : SGPR spill to VGPR lane
	s_abs_i32 s26, s4
	v_writelane_b32 v106, s6, 0
	v_lshrrev_b32_e32 v7, 1, v91
	v_rcp_iflag_f32_e32 v0, v0
	v_writelane_b32 v106, s7, 1
	s_abs_i32 s6, s12
	v_cvt_f32_u32_e32 v1, s6
	v_mul_f32_e32 v0, 0x4f7ffffe, v0
	v_cvt_u32_f32_e32 v0, v0
	s_sub_i32 s7, 0, s2
	v_rcp_iflag_f32_e32 v1, v1
	s_sub_i32 s20, 0, s6
	v_mul_lo_u32 v2, s7, v0
	v_mul_hi_u32 v2, v0, v2
	v_mul_f32_e32 v1, 0x4f7ffffe, v1
	v_cvt_u32_f32_e32 v1, v1
	s_abs_i32 s7, s3
	v_add_u32_e32 v0, v0, v2
	v_mul_hi_u32 v0, s7, v0
	v_mul_lo_u32 v3, s20, v1
	v_mul_lo_u32 v2, v0, s2
	v_mul_hi_u32 v3, v1, v3
	v_sub_u32_e32 v2, s7, v2
	v_add_u32_e32 v1, v1, v3
	v_add_u32_e32 v3, 1, v0
	v_subrev_u32_e32 v4, s2, v2
	v_cmp_le_u32_e32 vcc, s2, v2
	s_load_dwordx4 s[20:23], s[0:1], 0x0
	s_ashr_i32 s0, s3, 31
	v_cndmask_b32_e32 v0, v0, v3, vcc
	v_cndmask_b32_e32 v2, v2, v4, vcc
	s_ashr_i32 s1, s8, 31
	v_add_u32_e32 v3, 1, v0
	v_cmp_le_u32_e32 vcc, s2, v2
	s_xor_b32 s0, s0, s1
	v_mul_hi_u32 v1, s26, v1
	v_cndmask_b32_e32 v0, v0, v3, vcc
	v_xor_b32_e32 v0, s0, v0
	v_subrev_u32_e32 v2, s0, v0
	v_mul_lo_u32 v0, v1, s6
	v_sub_u32_e32 v0, s26, v0
	v_add_u32_e32 v3, 1, v1
	v_subrev_u32_e32 v4, s6, v0
	v_cmp_le_u32_e32 vcc, s6, v0
	s_ashr_i32 s8, s12, 31
	s_xor_b32 s0, s19, s8
	v_cndmask_b32_e32 v1, v1, v3, vcc
	v_cndmask_b32_e32 v0, v0, v4, vcc
	v_add_u32_e32 v3, 1, v1
	v_cmp_le_u32_e32 vcc, s6, v0
	v_mul_lo_u32 v2, v2, s9
	s_mul_i32 s8, s3, s10
	v_cndmask_b32_e32 v0, v1, v3, vcc
	v_xor_b32_e32 v0, s0, v0
	v_subrev_u32_e32 v0, s0, v0
	s_mul_i32 s0, s27, s16
	v_mul_hi_i32 v1, v0, s13
	v_mul_lo_u32 v0, v0, s13
	v_ashrrev_i32_e32 v3, 31, v2
	s_ashr_i32 s1, s0, 31
	v_lshlrev_b64 v[0:1], 2, v[0:1]
	s_lshl_b64 s[0:1], s[0:1], 2
	v_lshlrev_b64 v[2:3], 2, v[2:3]
	s_waitcnt lgkmcnt(0)
	v_lshl_add_u64 v[4:5], s[20:21], 0, v[0:1]
	s_mul_hi_i32 s7, s14, s4
	s_mul_i32 s6, s14, s4
	v_lshl_add_u64 v[2:3], v[2:3], 0, s[0:1]
	s_ashr_i32 s9, s8, 31
	s_movk_i32 s2, 0x1080
	v_lshl_add_u64 v[16:17], v[2:3], 0, v[4:5]
	s_lshl_b64 s[6:7], s[6:7], 2
	s_lshl_b64 s[0:1], s[8:9], 2
	v_mad_u32_u24 v5, v90, s2, 0
	v_lshlrev_b32_e32 v4, 2, v91
	v_mul_u32_u24_e32 v6, 0x108, v93
	v_and_b32_e32 v7, 0x1f8, v7
	v_lshlrev_b32_e32 v18, 8, v90
	v_mov_b32_e32 v19, 0
	v_lshl_add_u64 v[0:1], v[2:3], 0, v[0:1]
	s_add_u32 s22, s22, s0
	v_add_u32_e32 v95, v5, v4
	v_add3_u32 v96, v5, v6, v7
	v_lshl_add_u64 v[0:1], v[0:1], 0, v[18:19]
	v_mov_b32_e32 v5, v19
	s_addc_u32 s23, s23, s1
	v_lshl_add_u64 v[0:1], v[0:1], 0, v[4:5]
	v_lshlrev_b32_e32 v18, 9, v90
	s_add_u32 s0, s22, s6
	v_lshl_add_u64 v[20:21], s[20:21], 0, v[0:1]
	v_lshl_add_u64 v[0:1], s[6:7], 0, v[18:19]
	v_lshlrev_b32_e32 v18, 3, v91
	s_addc_u32 s1, s23, s7
	s_ashr_i32 s9, s16, 31
	s_mov_b32 s8, s16
	s_ashr_i32 s13, s17, 31
	s_mov_b32 s12, s17
	v_lshl_add_u64 v[0:1], v[0:1], 0, v[18:19]
	s_lshl_b64 s[8:9], s[8:9], 2
	s_lshl_b64 s[12:13], s[12:13], 3
	v_lshl_add_u64 v[22:23], s[22:23], 0, v[0:1]
	s_mul_i32 s10, s16, 63
	s_lshl_b32 s14, s17, 1
	s_mul_i32 s19, s17, 3
	s_lshl_b32 s28, s17, 2
	s_mul_i32 s29, s17, 5
	s_mul_i32 s30, s17, 6
	;; [unrolled: 1-line block ×3, first 2 shown]
	s_lshl_b32 s33, s17, 3
	s_mul_i32 s34, s17, 9
	s_mul_i32 s35, s17, 10
	;; [unrolled: 1-line block ×5, first 2 shown]
	s_lshl_b32 s39, s16, 1
	s_mul_i32 s40, s16, 3
	s_lshl_b32 s41, s16, 2
	s_mul_i32 s42, s16, 5
	s_mul_i32 s43, s16, 6
	;; [unrolled: 1-line block ×3, first 2 shown]
	s_lshl_b32 s45, s16, 3
	s_mul_i32 s46, s16, 9
	s_mul_i32 s47, s16, 10
	;; [unrolled: 1-line block ×7, first 2 shown]
	s_lshl_b32 s53, s16, 4
	s_mul_i32 s54, s16, 17
	s_mul_i32 s55, s16, 18
	;; [unrolled: 1-line block ×15, first 2 shown]
	s_lshl_b32 s69, s16, 5
	s_mul_i32 s70, s16, 33
	s_mul_i32 s71, s16, 34
	;; [unrolled: 1-line block ×11, first 2 shown]
	v_mov_b32_e32 v12, 0
	v_mov_b32_e32 v13, v19
	;; [unrolled: 1-line block ×15, first 2 shown]
	s_mul_i32 s81, s16, 44
	s_mul_i32 s82, s16, 45
	;; [unrolled: 1-line block ×19, first 2 shown]
	s_mov_b32 s6, 0x7f800000
	s_movk_i32 s7, 0x7fff
	s_mov_b32 s2, 0x7060302
	s_mov_b64 s[16:17], 0
	s_mov_b64 s[20:21], 0x800
	s_mov_b64 s[22:23], 0x1000
	v_writelane_b32 v106, s27, 2
	s_branch .LBB146_5
.LBB146_4:                              ;   in Loop: Header=BB146_5 Depth=1
	s_or_b64 exec, exec, s[26:27]
	v_perm_b32 v18, v97, v18, s2
	v_add_u32_e32 v88, 0xc00, v95
	ds_write2_b32 v88, v18, v19 offset0:90 offset1:156
	ds_write_b32 v95, v19 offset:3960
	ds_read2_b64 v[98:101], v96 offset1:4
	v_add_u32_e32 v94, 0x200, v94
	v_cmp_le_i32_e32 vcc, s5, v94
	v_lshl_add_u64 v[20:21], v[20:21], 0, s[20:21]
	s_waitcnt lgkmcnt(0)
	v_mfma_f32_16x16x16_bf16 v[0:3], v[72:73], v[98:99], v[0:3]
	v_lshl_add_u64 v[22:23], v[22:23], 0, s[22:23]
	s_or_b64 s[16:17], vcc, s[16:17]
	v_mfma_f32_16x16x16_bf16 v[8:11], v[40:41], v[98:99], v[8:11]
	v_mfma_f32_16x16x16_bf16 v[4:7], v[58:59], v[98:99], v[4:7]
	v_mfma_f32_16x16x16_bf16 v[12:15], v[86:87], v[98:99], v[12:15]
	v_mfma_f32_16x16x16_bf16 v[0:3], v[70:71], v[100:101], v[0:3]
	ds_read2_b64 v[70:73], v96 offset0:8 offset1:12
	v_mfma_f32_16x16x16_bf16 v[8:11], v[36:37], v[100:101], v[8:11]
	v_mfma_f32_16x16x16_bf16 v[4:7], v[54:55], v[100:101], v[4:7]
	v_mfma_f32_16x16x16_bf16 v[12:15], v[84:85], v[100:101], v[12:15]
	s_waitcnt lgkmcnt(0)
	v_mfma_f32_16x16x16_bf16 v[8:11], v[34:35], v[70:71], v[8:11]
	v_mfma_f32_16x16x16_bf16 v[4:7], v[50:51], v[70:71], v[4:7]
	v_mfma_f32_16x16x16_bf16 v[0:3], v[68:69], v[70:71], v[0:3]
	v_mfma_f32_16x16x16_bf16 v[12:15], v[82:83], v[70:71], v[12:15]
	v_mfma_f32_16x16x16_bf16 v[8:11], v[32:33], v[72:73], v[8:11]
	ds_read2_b64 v[32:35], v96 offset0:16 offset1:20
	v_mfma_f32_16x16x16_bf16 v[4:7], v[48:49], v[72:73], v[4:7]
	v_mfma_f32_16x16x16_bf16 v[0:3], v[66:67], v[72:73], v[0:3]
	v_mfma_f32_16x16x16_bf16 v[12:15], v[80:81], v[72:73], v[12:15]
	s_waitcnt lgkmcnt(0)
	v_mfma_f32_16x16x16_bf16 v[8:11], v[30:31], v[32:33], v[8:11]
	;; [unrolled: 10-line block ×3, first 2 shown]
	v_mfma_f32_16x16x16_bf16 v[4:7], v[42:43], v[28:29], v[4:7]
	v_mfma_f32_16x16x16_bf16 v[0:3], v[60:61], v[28:29], v[0:3]
	;; [unrolled: 1-line block ×7, first 2 shown]
	s_andn2_b64 exec, exec, s[16:17]
	s_cbranch_execz .LBB146_117
.LBB146_5:                              ; =>This Inner Loop Header: Depth=1
	v_lshl_add_u64 v[24:25], v[20:21], 0, s[8:9]
	global_load_dword v18, v[20:21], off
	global_load_dword v48, v[24:25], off
	v_add_u32_e32 v24, s39, v94
	v_ashrrev_i32_e32 v25, 31, v24
	v_add_u32_e32 v26, s40, v94
	v_add_u32_e32 v28, s41, v94
	;; [unrolled: 1-line block ×6, first 2 shown]
	v_lshl_add_u64 v[24:25], v[24:25], 2, v[16:17]
	v_ashrrev_i32_e32 v27, 31, v26
	v_ashrrev_i32_e32 v29, 31, v28
	;; [unrolled: 1-line block ×6, first 2 shown]
	v_lshl_add_u64 v[26:27], v[26:27], 2, v[16:17]
	v_lshl_add_u64 v[28:29], v[28:29], 2, v[16:17]
	v_lshl_add_u64 v[30:31], v[30:31], 2, v[16:17]
	v_lshl_add_u64 v[32:33], v[32:33], 2, v[16:17]
	v_lshl_add_u64 v[34:35], v[34:35], 2, v[16:17]
	v_lshl_add_u64 v[36:37], v[36:37], 2, v[16:17]
	global_load_dword v49, v[24:25], off
	global_load_dword v50, v[26:27], off
	;; [unrolled: 1-line block ×7, first 2 shown]
	v_add_u32_e32 v24, s46, v94
	v_add_u32_e32 v26, s47, v94
	;; [unrolled: 1-line block ×9, first 2 shown]
	v_ashrrev_i32_e32 v25, 31, v24
	v_ashrrev_i32_e32 v27, 31, v26
	;; [unrolled: 1-line block ×9, first 2 shown]
	v_lshl_add_u64 v[24:25], v[24:25], 2, v[16:17]
	v_lshl_add_u64 v[26:27], v[26:27], 2, v[16:17]
	;; [unrolled: 1-line block ×9, first 2 shown]
	global_load_dword v56, v[24:25], off
	global_load_dword v57, v[26:27], off
	;; [unrolled: 1-line block ×9, first 2 shown]
	v_add_u32_e32 v42, s55, v94
	v_add_u32_e32 v44, s56, v94
	;; [unrolled: 1-line block ×3, first 2 shown]
	v_ashrrev_i32_e32 v43, 31, v42
	v_ashrrev_i32_e32 v45, 31, v44
	;; [unrolled: 1-line block ×3, first 2 shown]
	v_add_u32_e32 v26, s58, v94
	v_add_u32_e32 v28, s59, v94
	;; [unrolled: 1-line block ×5, first 2 shown]
	v_lshl_add_u64 v[42:43], v[42:43], 2, v[16:17]
	v_lshl_add_u64 v[44:45], v[44:45], 2, v[16:17]
	;; [unrolled: 1-line block ×3, first 2 shown]
	v_ashrrev_i32_e32 v27, 31, v26
	v_ashrrev_i32_e32 v29, 31, v28
	;; [unrolled: 1-line block ×5, first 2 shown]
	v_lshl_add_u64 v[26:27], v[26:27], 2, v[16:17]
	v_lshl_add_u64 v[28:29], v[28:29], 2, v[16:17]
	;; [unrolled: 1-line block ×5, first 2 shown]
	v_add_u32_e32 v36, s69, v94
	v_add_u32_e32 v38, s70, v94
	v_ashrrev_i32_e32 v37, 31, v36
	v_ashrrev_i32_e32 v39, 31, v38
	v_lshl_add_u64 v[36:37], v[36:37], 2, v[16:17]
	v_lshl_add_u64 v[38:39], v[38:39], 2, v[16:17]
	s_waitcnt vmcnt(17)
	ds_write_b32 v95, v18
	s_waitcnt vmcnt(16)
	ds_write_b32 v95, v48 offset:264
	s_waitcnt vmcnt(15)
	ds_write_b32 v95, v49 offset:528
	;; [unrolled: 2-line block ×8, first 2 shown]
	global_load_dword v18, v[42:43], off
	s_nop 0
	global_load_dword v42, v[44:45], off
	global_load_dword v43, v[24:25], off
	s_nop 0
	global_load_dword v44, v[26:27], off
	global_load_dword v45, v[28:29], off
	;; [unrolled: 1-line block ×5, first 2 shown]
	v_add_u32_e32 v24, s63, v94
	v_ashrrev_i32_e32 v25, 31, v24
	v_add_u32_e32 v26, s64, v94
	v_add_u32_e32 v28, s65, v94
	;; [unrolled: 1-line block ×5, first 2 shown]
	v_lshl_add_u64 v[24:25], v[24:25], 2, v[16:17]
	v_ashrrev_i32_e32 v27, 31, v26
	v_ashrrev_i32_e32 v29, 31, v28
	;; [unrolled: 1-line block ×5, first 2 shown]
	v_lshl_add_u64 v[26:27], v[26:27], 2, v[16:17]
	v_lshl_add_u64 v[28:29], v[28:29], 2, v[16:17]
	v_lshl_add_u64 v[30:31], v[30:31], 2, v[16:17]
	v_lshl_add_u64 v[32:33], v[32:33], 2, v[16:17]
	v_lshl_add_u64 v[34:35], v[34:35], 2, v[16:17]
	global_load_dword v49, v[24:25], off
	global_load_dword v50, v[26:27], off
	global_load_dword v51, v[28:29], off
	global_load_dword v52, v[30:31], off
	global_load_dword v53, v[32:33], off
	global_load_dword v54, v[34:35], off
	global_load_dword v65, v[36:37], off
	global_load_dword v66, v[38:39], off
	v_add_u32_e32 v24, s71, v94
	v_ashrrev_i32_e32 v25, 31, v24
	v_add_u32_e32 v26, s72, v94
	v_add_u32_e32 v28, s73, v94
	v_add_u32_e32 v30, s74, v94
	v_add_u32_e32 v32, s75, v94
	v_add_u32_e32 v34, s76, v94
	v_add_u32_e32 v36, s77, v94
	v_add_u32_e32 v38, s78, v94
	v_lshl_add_u64 v[24:25], v[24:25], 2, v[16:17]
	v_ashrrev_i32_e32 v27, 31, v26
	v_ashrrev_i32_e32 v29, 31, v28
	v_ashrrev_i32_e32 v31, 31, v30
	v_ashrrev_i32_e32 v33, 31, v32
	v_ashrrev_i32_e32 v35, 31, v34
	v_ashrrev_i32_e32 v37, 31, v36
	v_ashrrev_i32_e32 v39, 31, v38
	v_lshl_add_u64 v[26:27], v[26:27], 2, v[16:17]
	v_lshl_add_u64 v[28:29], v[28:29], 2, v[16:17]
	v_lshl_add_u64 v[30:31], v[30:31], 2, v[16:17]
	v_lshl_add_u64 v[32:33], v[32:33], 2, v[16:17]
	v_lshl_add_u64 v[34:35], v[34:35], 2, v[16:17]
	v_lshl_add_u64 v[36:37], v[36:37], 2, v[16:17]
	v_lshl_add_u64 v[38:39], v[38:39], 2, v[16:17]
	global_load_dword v67, v[24:25], off
	global_load_dword v68, v[26:27], off
	global_load_dword v69, v[28:29], off
	global_load_dword v70, v[30:31], off
	global_load_dword v71, v[32:33], off
	global_load_dword v72, v[34:35], off
	global_load_dword v73, v[36:37], off
	global_load_dword v74, v[38:39], off
	v_add_u32_e32 v24, s79, v94
	v_ashrrev_i32_e32 v25, 31, v24
	v_add_u32_e32 v26, s80, v94
	v_add_u32_e32 v28, s81, v94
	v_add_u32_e32 v30, s82, v94
	v_add_u32_e32 v32, s83, v94
	v_add_u32_e32 v34, s84, v94
	v_add_u32_e32 v36, s85, v94
	v_add_u32_e32 v38, s86, v94
	v_lshl_add_u64 v[24:25], v[24:25], 2, v[16:17]
	v_ashrrev_i32_e32 v27, 31, v26
	v_ashrrev_i32_e32 v29, 31, v28
	v_ashrrev_i32_e32 v31, 31, v30
	v_ashrrev_i32_e32 v33, 31, v32
	v_ashrrev_i32_e32 v35, 31, v34
	v_ashrrev_i32_e32 v37, 31, v36
	v_ashrrev_i32_e32 v39, 31, v38
	v_lshl_add_u64 v[26:27], v[26:27], 2, v[16:17]
	v_lshl_add_u64 v[28:29], v[28:29], 2, v[16:17]
	;; [unrolled: 32-line block ×3, first 2 shown]
	v_lshl_add_u64 v[30:31], v[30:31], 2, v[16:17]
	v_lshl_add_u64 v[32:33], v[32:33], 2, v[16:17]
	;; [unrolled: 1-line block ×5, first 2 shown]
	global_load_dword v83, v[24:25], off
	global_load_dword v84, v[26:27], off
	;; [unrolled: 1-line block ×8, first 2 shown]
	v_add_u32_e32 v24, s95, v94
	v_ashrrev_i32_e32 v25, 31, v24
	v_add_u32_e32 v26, s96, v94
	v_add_u32_e32 v28, s97, v94
	;; [unrolled: 1-line block ×5, first 2 shown]
	v_lshl_add_u64 v[24:25], v[24:25], 2, v[16:17]
	v_ashrrev_i32_e32 v27, 31, v26
	v_ashrrev_i32_e32 v29, 31, v28
	;; [unrolled: 1-line block ×5, first 2 shown]
	v_lshl_add_u64 v[26:27], v[26:27], 2, v[16:17]
	v_lshl_add_u64 v[28:29], v[28:29], 2, v[16:17]
	;; [unrolled: 1-line block ×5, first 2 shown]
	global_load_dword v100, v[24:25], off
	global_load_dword v101, v[26:27], off
	;; [unrolled: 1-line block ×6, first 2 shown]
	s_waitcnt vmcnt(54)
	ds_write_b32 v95, v56 offset:2376
	s_waitcnt vmcnt(53)
	ds_write_b32 v95, v57 offset:2640
	;; [unrolled: 2-line block ×7, first 2 shown]
	global_load_dwordx2 v[88:89], v[22:23], off
	ds_read_b64 v[40:41], v96
	ds_read_b64 v[36:37], v96 offset:32
	ds_read_b64 v[34:35], v96 offset:64
	ds_read_b64 v[32:33], v96 offset:96
	ds_read_b64 v[30:31], v96 offset:128
	ds_read_b64 v[28:29], v96 offset:160
	ds_read_b64 v[26:27], v96 offset:192
	ds_read_b64 v[24:25], v96 offset:224
	s_waitcnt vmcnt(48)
	ds_write_b32 v95, v63
	s_waitcnt vmcnt(47)
	ds_write_b32 v95, v64 offset:264
	s_waitcnt vmcnt(46)
	ds_write_b32 v95, v18 offset:528
	s_waitcnt vmcnt(45)
	ds_write_b32 v95, v42 offset:792
	s_waitcnt vmcnt(44)
	ds_write_b32 v95, v43 offset:1056
	s_waitcnt vmcnt(43)
	ds_write_b32 v95, v44 offset:1320
	s_waitcnt vmcnt(42)
	ds_write_b32 v95, v45 offset:1584
	s_waitcnt vmcnt(41)
	ds_write_b32 v95, v46 offset:1848
	s_waitcnt vmcnt(40)
	ds_write_b32 v95, v47 offset:2112
	s_waitcnt vmcnt(39)
	ds_write_b32 v95, v48 offset:2376
	s_waitcnt vmcnt(38)
	ds_write_b32 v95, v49 offset:2640
	s_waitcnt vmcnt(37)
	ds_write_b32 v95, v50 offset:2904
	s_waitcnt vmcnt(36)
	ds_write_b32 v95, v51 offset:3168
	s_waitcnt vmcnt(35)
	ds_write_b32 v95, v52 offset:3432
	s_waitcnt vmcnt(34)
	ds_write_b32 v95, v53 offset:3696
	s_waitcnt vmcnt(33)
	ds_write_b32 v95, v54 offset:3960
	ds_read_b64 v[58:59], v96
	ds_read_b64 v[54:55], v96 offset:32
	ds_read_b64 v[50:51], v96 offset:64
	ds_read_b64 v[48:49], v96 offset:96
	ds_read_b64 v[46:47], v96 offset:128
	ds_read_b64 v[44:45], v96 offset:160
	ds_read_b64 v[42:43], v96 offset:192
	ds_read_b64 v[38:39], v96 offset:224
	s_waitcnt vmcnt(32)
	ds_write_b32 v95, v65
	s_waitcnt vmcnt(31)
	ds_write_b32 v95, v66 offset:264
	s_waitcnt vmcnt(30)
	ds_write_b32 v95, v67 offset:528
	s_waitcnt vmcnt(29)
	ds_write_b32 v95, v68 offset:792
	s_waitcnt vmcnt(28)
	ds_write_b32 v95, v69 offset:1056
	s_waitcnt vmcnt(27)
	ds_write_b32 v95, v70 offset:1320
	s_waitcnt vmcnt(26)
	ds_write_b32 v95, v71 offset:1584
	s_waitcnt vmcnt(25)
	ds_write_b32 v95, v72 offset:1848
	s_waitcnt vmcnt(24)
	ds_write_b32 v95, v73 offset:2112
	s_waitcnt vmcnt(23)
	ds_write_b32 v95, v74 offset:2376
	s_waitcnt vmcnt(22)
	ds_write_b32 v95, v75 offset:2640
	s_waitcnt vmcnt(21)
	ds_write_b32 v95, v76 offset:2904
	s_waitcnt vmcnt(20)
	ds_write_b32 v95, v77 offset:3168
	s_waitcnt vmcnt(19)
	ds_write_b32 v95, v78 offset:3432
	s_waitcnt vmcnt(18)
	ds_write_b32 v95, v79 offset:3696
	s_waitcnt vmcnt(17)
	ds_write_b32 v95, v80 offset:3960
	;; [unrolled: 40-line block ×3, first 2 shown]
	ds_read_b64 v[86:87], v96
	ds_read_b64 v[84:85], v96 offset:32
	ds_read_b64 v[82:83], v96 offset:64
	;; [unrolled: 1-line block ×7, first 2 shown]
	s_waitcnt vmcnt(0)
	v_and_b32_e32 v18, 0x7f800000, v88
	v_cmp_ne_u32_e32 vcc, s6, v18
                                        ; implicit-def: $vgpr18
	s_and_saveexec_b64 s[26:27], vcc
	s_xor_b64 s[26:27], exec, s[26:27]
; %bb.6:                                ;   in Loop: Header=BB146_5 Depth=1
	v_bfe_u32 v18, v88, 16, 1
	v_add3_u32 v18, v88, v18, s7
; %bb.7:                                ;   in Loop: Header=BB146_5 Depth=1
	s_andn2_saveexec_b64 s[26:27], s[26:27]
; %bb.8:                                ;   in Loop: Header=BB146_5 Depth=1
	v_or_b32_e32 v18, 0x10000, v88
	v_cmp_eq_u32_sdwa vcc, v88, v19 src0_sel:WORD_0 src1_sel:DWORD
	s_nop 1
	v_cndmask_b32_e32 v18, v18, v88, vcc
; %bb.9:                                ;   in Loop: Header=BB146_5 Depth=1
	s_or_b64 exec, exec, s[26:27]
	v_and_b32_e32 v88, 0x7f800000, v89
	v_cmp_ne_u32_e32 vcc, s6, v88
                                        ; implicit-def: $vgpr97
	s_and_saveexec_b64 s[26:27], vcc
	s_xor_b64 s[26:27], exec, s[26:27]
; %bb.10:                               ;   in Loop: Header=BB146_5 Depth=1
	v_bfe_u32 v88, v89, 16, 1
	v_add3_u32 v97, v89, v88, s7
                                        ; implicit-def: $vgpr88_vgpr89
; %bb.11:                               ;   in Loop: Header=BB146_5 Depth=1
	s_andn2_saveexec_b64 s[26:27], s[26:27]
; %bb.12:                               ;   in Loop: Header=BB146_5 Depth=1
	v_or_b32_e32 v88, 0x10000, v89
	v_cmp_eq_u32_sdwa vcc, v89, v19 src0_sel:WORD_0 src1_sel:DWORD
	s_nop 1
	v_cndmask_b32_e32 v97, v88, v89, vcc
; %bb.13:                               ;   in Loop: Header=BB146_5 Depth=1
	s_or_b64 exec, exec, s[26:27]
	v_lshl_add_u64 v[88:89], v[22:23], 0, s[12:13]
	global_load_dwordx2 v[88:89], v[88:89], off
	v_perm_b32 v18, v97, v18, s2
	ds_write_b32 v95, v18
	s_waitcnt vmcnt(0)
	v_and_b32_e32 v18, 0x7f800000, v88
	v_cmp_ne_u32_e32 vcc, s6, v18
                                        ; implicit-def: $vgpr18
	s_and_saveexec_b64 s[26:27], vcc
	s_xor_b64 s[26:27], exec, s[26:27]
; %bb.14:                               ;   in Loop: Header=BB146_5 Depth=1
	v_bfe_u32 v18, v88, 16, 1
	v_add3_u32 v18, v88, v18, s7
; %bb.15:                               ;   in Loop: Header=BB146_5 Depth=1
	s_andn2_saveexec_b64 s[26:27], s[26:27]
; %bb.16:                               ;   in Loop: Header=BB146_5 Depth=1
	v_or_b32_e32 v18, 0x10000, v88
	v_cmp_eq_u32_sdwa vcc, v88, v19 src0_sel:WORD_0 src1_sel:DWORD
	s_nop 1
	v_cndmask_b32_e32 v18, v18, v88, vcc
; %bb.17:                               ;   in Loop: Header=BB146_5 Depth=1
	s_or_b64 exec, exec, s[26:27]
	v_and_b32_e32 v88, 0x7f800000, v89
	v_cmp_ne_u32_e32 vcc, s6, v88
                                        ; implicit-def: $vgpr97
	s_and_saveexec_b64 s[26:27], vcc
	s_xor_b64 s[26:27], exec, s[26:27]
; %bb.18:                               ;   in Loop: Header=BB146_5 Depth=1
	v_bfe_u32 v88, v89, 16, 1
	v_add3_u32 v97, v89, v88, s7
                                        ; implicit-def: $vgpr88_vgpr89
; %bb.19:                               ;   in Loop: Header=BB146_5 Depth=1
	s_andn2_saveexec_b64 s[26:27], s[26:27]
; %bb.20:                               ;   in Loop: Header=BB146_5 Depth=1
	v_or_b32_e32 v88, 0x10000, v89
	v_cmp_eq_u32_sdwa vcc, v89, v19 src0_sel:WORD_0 src1_sel:DWORD
	s_nop 1
	v_cndmask_b32_e32 v97, v88, v89, vcc
; %bb.21:                               ;   in Loop: Header=BB146_5 Depth=1
	s_or_b64 exec, exec, s[26:27]
	v_add_u32_e32 v88, s14, v94
	v_ashrrev_i32_e32 v89, 31, v88
	v_lshl_add_u64 v[88:89], v[88:89], 3, s[0:1]
	global_load_dwordx2 v[88:89], v[88:89], off
	v_perm_b32 v18, v97, v18, s2
	ds_write_b32 v95, v18 offset:264
	s_waitcnt vmcnt(0)
	v_and_b32_e32 v18, 0x7f800000, v88
	v_cmp_ne_u32_e32 vcc, s6, v18
                                        ; implicit-def: $vgpr18
	s_and_saveexec_b64 s[26:27], vcc
	s_xor_b64 s[26:27], exec, s[26:27]
; %bb.22:                               ;   in Loop: Header=BB146_5 Depth=1
	v_bfe_u32 v18, v88, 16, 1
	v_add3_u32 v18, v88, v18, s7
; %bb.23:                               ;   in Loop: Header=BB146_5 Depth=1
	s_andn2_saveexec_b64 s[26:27], s[26:27]
; %bb.24:                               ;   in Loop: Header=BB146_5 Depth=1
	v_or_b32_e32 v18, 0x10000, v88
	v_cmp_eq_u32_sdwa vcc, v88, v19 src0_sel:WORD_0 src1_sel:DWORD
	s_nop 1
	v_cndmask_b32_e32 v18, v18, v88, vcc
; %bb.25:                               ;   in Loop: Header=BB146_5 Depth=1
	s_or_b64 exec, exec, s[26:27]
	v_and_b32_e32 v88, 0x7f800000, v89
	v_cmp_ne_u32_e32 vcc, s6, v88
                                        ; implicit-def: $vgpr97
	s_and_saveexec_b64 s[26:27], vcc
	s_xor_b64 s[26:27], exec, s[26:27]
; %bb.26:                               ;   in Loop: Header=BB146_5 Depth=1
	v_bfe_u32 v88, v89, 16, 1
	v_add3_u32 v97, v89, v88, s7
                                        ; implicit-def: $vgpr88_vgpr89
; %bb.27:                               ;   in Loop: Header=BB146_5 Depth=1
	s_andn2_saveexec_b64 s[26:27], s[26:27]
; %bb.28:                               ;   in Loop: Header=BB146_5 Depth=1
	v_or_b32_e32 v88, 0x10000, v89
	v_cmp_eq_u32_sdwa vcc, v89, v19 src0_sel:WORD_0 src1_sel:DWORD
	s_nop 1
	v_cndmask_b32_e32 v97, v88, v89, vcc
; %bb.29:                               ;   in Loop: Header=BB146_5 Depth=1
	s_or_b64 exec, exec, s[26:27]
	v_add_u32_e32 v88, s19, v94
	v_ashrrev_i32_e32 v89, 31, v88
	v_lshl_add_u64 v[88:89], v[88:89], 3, s[0:1]
	global_load_dwordx2 v[88:89], v[88:89], off
	v_perm_b32 v18, v97, v18, s2
	ds_write_b32 v95, v18 offset:528
	;; [unrolled: 42-line block ×10, first 2 shown]
	s_waitcnt vmcnt(0)
	v_and_b32_e32 v18, 0x7f800000, v88
	v_cmp_ne_u32_e32 vcc, s6, v18
                                        ; implicit-def: $vgpr18
	s_and_saveexec_b64 s[26:27], vcc
	s_xor_b64 s[26:27], exec, s[26:27]
; %bb.94:                               ;   in Loop: Header=BB146_5 Depth=1
	v_bfe_u32 v18, v88, 16, 1
	v_add3_u32 v18, v88, v18, s7
; %bb.95:                               ;   in Loop: Header=BB146_5 Depth=1
	s_andn2_saveexec_b64 s[26:27], s[26:27]
; %bb.96:                               ;   in Loop: Header=BB146_5 Depth=1
	v_or_b32_e32 v18, 0x10000, v88
	v_cmp_eq_u32_sdwa vcc, v88, v19 src0_sel:WORD_0 src1_sel:DWORD
	s_nop 1
	v_cndmask_b32_e32 v18, v18, v88, vcc
; %bb.97:                               ;   in Loop: Header=BB146_5 Depth=1
	s_or_b64 exec, exec, s[26:27]
	v_and_b32_e32 v88, 0x7f800000, v89
	v_cmp_ne_u32_e32 vcc, s6, v88
                                        ; implicit-def: $vgpr97
	s_and_saveexec_b64 s[26:27], vcc
	s_xor_b64 s[26:27], exec, s[26:27]
; %bb.98:                               ;   in Loop: Header=BB146_5 Depth=1
	v_bfe_u32 v88, v89, 16, 1
	v_add3_u32 v97, v89, v88, s7
                                        ; implicit-def: $vgpr88_vgpr89
; %bb.99:                               ;   in Loop: Header=BB146_5 Depth=1
	s_andn2_saveexec_b64 s[26:27], s[26:27]
; %bb.100:                              ;   in Loop: Header=BB146_5 Depth=1
	v_or_b32_e32 v88, 0x10000, v89
	v_cmp_eq_u32_sdwa vcc, v89, v19 src0_sel:WORD_0 src1_sel:DWORD
	s_nop 1
	v_cndmask_b32_e32 v97, v88, v89, vcc
; %bb.101:                              ;   in Loop: Header=BB146_5 Depth=1
	s_or_b64 exec, exec, s[26:27]
	v_add_u32_e32 v88, s37, v94
	v_ashrrev_i32_e32 v89, 31, v88
	v_lshl_add_u64 v[88:89], v[88:89], 3, s[0:1]
	global_load_dwordx2 v[88:89], v[88:89], off
	v_perm_b32 v18, v97, v18, s2
	ds_write_b32 v95, v18 offset:2904
	s_waitcnt vmcnt(0)
	v_and_b32_e32 v18, 0x7f800000, v88
	v_cmp_ne_u32_e32 vcc, s6, v18
                                        ; implicit-def: $vgpr18
	s_and_saveexec_b64 s[26:27], vcc
	s_xor_b64 s[26:27], exec, s[26:27]
; %bb.102:                              ;   in Loop: Header=BB146_5 Depth=1
	v_bfe_u32 v18, v88, 16, 1
	v_add3_u32 v18, v88, v18, s7
; %bb.103:                              ;   in Loop: Header=BB146_5 Depth=1
	s_andn2_saveexec_b64 s[26:27], s[26:27]
; %bb.104:                              ;   in Loop: Header=BB146_5 Depth=1
	v_or_b32_e32 v18, 0x10000, v88
	v_cmp_eq_u32_sdwa vcc, v88, v19 src0_sel:WORD_0 src1_sel:DWORD
	s_nop 1
	v_cndmask_b32_e32 v18, v18, v88, vcc
; %bb.105:                              ;   in Loop: Header=BB146_5 Depth=1
	s_or_b64 exec, exec, s[26:27]
	v_and_b32_e32 v88, 0x7f800000, v89
	v_cmp_ne_u32_e32 vcc, s6, v88
                                        ; implicit-def: $vgpr97
	s_and_saveexec_b64 s[26:27], vcc
	s_xor_b64 s[26:27], exec, s[26:27]
; %bb.106:                              ;   in Loop: Header=BB146_5 Depth=1
	v_bfe_u32 v88, v89, 16, 1
	v_add3_u32 v97, v89, v88, s7
                                        ; implicit-def: $vgpr88_vgpr89
; %bb.107:                              ;   in Loop: Header=BB146_5 Depth=1
	s_andn2_saveexec_b64 s[26:27], s[26:27]
; %bb.108:                              ;   in Loop: Header=BB146_5 Depth=1
	v_or_b32_e32 v88, 0x10000, v89
	v_cmp_eq_u32_sdwa vcc, v89, v19 src0_sel:WORD_0 src1_sel:DWORD
	s_nop 1
	v_cndmask_b32_e32 v97, v88, v89, vcc
; %bb.109:                              ;   in Loop: Header=BB146_5 Depth=1
	s_or_b64 exec, exec, s[26:27]
	v_add_u32_e32 v88, s38, v94
	v_ashrrev_i32_e32 v89, 31, v88
	v_lshl_add_u64 v[88:89], v[88:89], 3, s[0:1]
	global_load_dwordx2 v[88:89], v[88:89], off
	v_perm_b32 v18, v97, v18, s2
	ds_write_b32 v95, v18 offset:3168
	s_waitcnt vmcnt(0)
	v_and_b32_e32 v18, 0x7f800000, v88
	v_cmp_ne_u32_e32 vcc, s6, v18
                                        ; implicit-def: $vgpr18
	s_and_saveexec_b64 s[26:27], vcc
	s_xor_b64 s[26:27], exec, s[26:27]
; %bb.110:                              ;   in Loop: Header=BB146_5 Depth=1
	v_bfe_u32 v18, v88, 16, 1
	v_add3_u32 v18, v88, v18, s7
; %bb.111:                              ;   in Loop: Header=BB146_5 Depth=1
	s_andn2_saveexec_b64 s[26:27], s[26:27]
; %bb.112:                              ;   in Loop: Header=BB146_5 Depth=1
	v_or_b32_e32 v18, 0x10000, v88
	v_cmp_eq_u32_sdwa vcc, v88, v19 src0_sel:WORD_0 src1_sel:DWORD
	s_nop 1
	v_cndmask_b32_e32 v18, v18, v88, vcc
; %bb.113:                              ;   in Loop: Header=BB146_5 Depth=1
	s_or_b64 exec, exec, s[26:27]
	v_and_b32_e32 v88, 0x7f800000, v89
	v_cmp_ne_u32_e32 vcc, s6, v88
                                        ; implicit-def: $vgpr97
	s_and_saveexec_b64 s[26:27], vcc
	s_xor_b64 s[26:27], exec, s[26:27]
; %bb.114:                              ;   in Loop: Header=BB146_5 Depth=1
	v_bfe_u32 v88, v89, 16, 1
	v_add3_u32 v97, v89, v88, s7
                                        ; implicit-def: $vgpr88_vgpr89
; %bb.115:                              ;   in Loop: Header=BB146_5 Depth=1
	s_andn2_saveexec_b64 s[26:27], s[26:27]
	s_cbranch_execz .LBB146_4
; %bb.116:                              ;   in Loop: Header=BB146_5 Depth=1
	v_or_b32_e32 v88, 0x10000, v89
	v_cmp_eq_u32_sdwa vcc, v89, v19 src0_sel:WORD_0 src1_sel:DWORD
	s_nop 1
	v_cndmask_b32_e32 v97, v88, v89, vcc
	s_branch .LBB146_4
.LBB146_117:
	s_or_b64 exec, exec, s[16:17]
	v_readlane_b32 s6, v106, 0
	v_readlane_b32 s27, v106, 2
	;; [unrolled: 1-line block ×3, first 2 shown]
.LBB146_118:
	s_or_b64 exec, exec, s[24:25]
	v_mul_u32_u24_e32 v16, 0x808, v93
	v_lshlrev_b32_e32 v17, 2, v92
	v_add3_u32 v16, 0, v16, v17
	v_and_b32_e32 v17, 0x3f0, v91
	s_waitcnt lgkmcnt(0)
	s_mul_hi_i32 s1, s15, s4
	s_mul_i32 s0, s15, s4
	v_add_u32_e32 v17, v16, v17
	s_lshl_b64 s[0:1], s[0:1], 2
	s_barrier
	ds_write2_b32 v17, v8, v9 offset1:1
	ds_write_b32 v17, v10 offset:8
	v_or_b32_e32 v8, 12, v91
	s_mul_i32 s2, s3, s11
	s_add_u32 s4, s6, s0
	v_and_b32_e32 v8, 0x3fc, v8
	s_addc_u32 s5, s7, s1
	s_ashr_i32 s3, s2, 31
	v_add_u32_e32 v8, v16, v8
	s_lshl_b64 s[0:1], s[2:3], 2
	s_movk_i32 s2, 0x808
	ds_write_b32 v8, v11
	ds_write2_b32 v17, v4, v5 offset0:16 offset1:17
	ds_write_b32 v17, v6 offset:72
	ds_write_b32 v8, v7 offset:64
	ds_write2_b32 v17, v0, v1 offset0:32 offset1:33
	ds_write_b32 v17, v2 offset:136
	ds_write_b32 v8, v3 offset:128
	;; [unrolled: 3-line block ×3, first 2 shown]
	v_lshl_add_u32 v1, v91, 2, 0
	v_mad_u32_u24 v8, v90, s2, v1
	s_waitcnt lgkmcnt(0)
	s_barrier
	ds_read2st64_b32 v[2:3], v8 offset1:1
	ds_read2st64_b32 v[4:5], v8 offset0:2 offset1:3
	ds_read2st64_b32 v[6:7], v8 offset0:4 offset1:5
	ds_read2st64_b32 v[8:9], v8 offset0:6 offset1:7
	s_add_u32 s0, s4, s0
	v_add_u32_e32 v0, s27, v91
	s_addc_u32 s1, s5, s1
	s_waitcnt lgkmcnt(3)
	v_add_f32_e32 v2, 0, v2
	v_add_f32_e32 v2, v2, v3
	s_waitcnt lgkmcnt(2)
	v_add_f32_e32 v2, v2, v4
	v_add_f32_e32 v2, v2, v5
	;; [unrolled: 3-line block ×4, first 2 shown]
	v_mad_u64_u32 v[2:3], s[4:5], v90, s18, v[0:1]
	v_mov_b32_e32 v3, 0
	v_lshl_add_u64 v[4:5], v[2:3], 2, s[0:1]
	v_cmp_gt_u32_e32 vcc, 6, v90
	global_store_dword v[4:5], v6, off
	s_and_saveexec_b64 s[4:5], vcc
	s_cbranch_execz .LBB146_120
; %bb.119:
	v_or_b32_e32 v2, 8, v90
	v_mad_u32_u24 v1, v2, s2, v1
	ds_read2st64_b32 v[4:5], v1 offset1:1
	ds_read2st64_b32 v[6:7], v1 offset0:2 offset1:3
	ds_read2st64_b32 v[8:9], v1 offset0:4 offset1:5
	;; [unrolled: 1-line block ×3, first 2 shown]
	s_waitcnt lgkmcnt(3)
	v_add_f32_e32 v1, 0, v4
	v_add_f32_e32 v1, v1, v5
	s_waitcnt lgkmcnt(2)
	v_add_f32_e32 v1, v1, v6
	v_add_f32_e32 v1, v1, v7
	;; [unrolled: 3-line block ×4, first 2 shown]
	v_mad_u64_u32 v[0:1], s[2:3], v2, s18, v[0:1]
	v_mov_b32_e32 v1, v3
	v_lshl_add_u64 v[0:1], v[0:1], 2, s[0:1]
	global_store_dword v[0:1], v4, off
.LBB146_120:
	s_endpgm
	.section	.rodata,"a",@progbits
	.p2align	6, 0x0
	.amdhsa_kernel _ZL9mul_mat_fI15__hip_bfloat162Li64ELi14ELi8ELb0EEvPKT_PKfPKiPfiiiiiiiiiiiiiiii
		.amdhsa_group_segment_fixed_size 0
		.amdhsa_private_segment_fixed_size 0
		.amdhsa_kernarg_size 96
		.amdhsa_user_sgpr_count 2
		.amdhsa_user_sgpr_dispatch_ptr 0
		.amdhsa_user_sgpr_queue_ptr 0
		.amdhsa_user_sgpr_kernarg_segment_ptr 1
		.amdhsa_user_sgpr_dispatch_id 0
		.amdhsa_user_sgpr_kernarg_preload_length 0
		.amdhsa_user_sgpr_kernarg_preload_offset 0
		.amdhsa_user_sgpr_private_segment_size 0
		.amdhsa_uses_dynamic_stack 0
		.amdhsa_enable_private_segment 0
		.amdhsa_system_sgpr_workgroup_id_x 1
		.amdhsa_system_sgpr_workgroup_id_y 1
		.amdhsa_system_sgpr_workgroup_id_z 1
		.amdhsa_system_sgpr_workgroup_info 0
		.amdhsa_system_vgpr_workitem_id 1
		.amdhsa_next_free_vgpr 107
		.amdhsa_next_free_sgpr 100
		.amdhsa_accum_offset 108
		.amdhsa_reserve_vcc 1
		.amdhsa_float_round_mode_32 0
		.amdhsa_float_round_mode_16_64 0
		.amdhsa_float_denorm_mode_32 3
		.amdhsa_float_denorm_mode_16_64 3
		.amdhsa_dx10_clamp 1
		.amdhsa_ieee_mode 1
		.amdhsa_fp16_overflow 0
		.amdhsa_tg_split 0
		.amdhsa_exception_fp_ieee_invalid_op 0
		.amdhsa_exception_fp_denorm_src 0
		.amdhsa_exception_fp_ieee_div_zero 0
		.amdhsa_exception_fp_ieee_overflow 0
		.amdhsa_exception_fp_ieee_underflow 0
		.amdhsa_exception_fp_ieee_inexact 0
		.amdhsa_exception_int_div_zero 0
	.end_amdhsa_kernel
	.section	.text._ZL9mul_mat_fI15__hip_bfloat162Li64ELi14ELi8ELb0EEvPKT_PKfPKiPfiiiiiiiiiiiiiiii,"axG",@progbits,_ZL9mul_mat_fI15__hip_bfloat162Li64ELi14ELi8ELb0EEvPKT_PKfPKiPfiiiiiiiiiiiiiiii,comdat
.Lfunc_end146:
	.size	_ZL9mul_mat_fI15__hip_bfloat162Li64ELi14ELi8ELb0EEvPKT_PKfPKiPfiiiiiiiiiiiiiiii, .Lfunc_end146-_ZL9mul_mat_fI15__hip_bfloat162Li64ELi14ELi8ELb0EEvPKT_PKfPKiPfiiiiiiiiiiiiiiii
                                        ; -- End function
	.section	.AMDGPU.csdata,"",@progbits
; Kernel info:
; codeLenInByte = 7028
; NumSgprs: 106
; NumVgprs: 107
; NumAgprs: 0
; TotalNumVgprs: 107
; ScratchSize: 0
; MemoryBound: 0
; FloatMode: 240
; IeeeMode: 1
; LDSByteSize: 0 bytes/workgroup (compile time only)
; SGPRBlocks: 13
; VGPRBlocks: 13
; NumSGPRsForWavesPerEU: 106
; NumVGPRsForWavesPerEU: 107
; AccumOffset: 108
; Occupancy: 4
; WaveLimiterHint : 0
; COMPUTE_PGM_RSRC2:SCRATCH_EN: 0
; COMPUTE_PGM_RSRC2:USER_SGPR: 2
; COMPUTE_PGM_RSRC2:TRAP_HANDLER: 0
; COMPUTE_PGM_RSRC2:TGID_X_EN: 1
; COMPUTE_PGM_RSRC2:TGID_Y_EN: 1
; COMPUTE_PGM_RSRC2:TGID_Z_EN: 1
; COMPUTE_PGM_RSRC2:TIDIG_COMP_CNT: 1
; COMPUTE_PGM_RSRC3_GFX90A:ACCUM_OFFSET: 26
; COMPUTE_PGM_RSRC3_GFX90A:TG_SPLIT: 0
	.text
	.p2alignl 6, 3212836864
	.fill 256, 4, 3212836864
	.type	.str,@object                    ; @.str
	.section	.rodata.str1.1,"aMS",@progbits,1
.str:
	.asciz	"/root/src/amdgpu-assembly/repos/ggml-org__llama.cpp/ggml/src/ggml-cuda/template-instances/../mmf.cuh"
	.size	.str, 101

	.type	__FUNCTION__._ZL13mul_mat_f_idsIfLi32ELi14ELi1EEvPKT_PKfPKiS6_S6_Pfiiiiiiiiiiiiii15HIP_vector_typeIjLj3EES9_,@object ; @__FUNCTION__._ZL13mul_mat_f_idsIfLi32ELi14ELi1EEvPKT_PKfPKiS6_S6_Pfiiiiiiiiiiiiii15HIP_vector_typeIjLj3EES9_
__FUNCTION__._ZL13mul_mat_f_idsIfLi32ELi14ELi1EEvPKT_PKfPKiS6_S6_Pfiiiiiiiiiiiiii15HIP_vector_typeIjLj3EES9_:
	.asciz	"mul_mat_f_ids"
	.size	__FUNCTION__._ZL13mul_mat_f_idsIfLi32ELi14ELi1EEvPKT_PKfPKiS6_S6_Pfiiiiiiiiiiiiii15HIP_vector_typeIjLj3EES9_, 14

	.type	.str.2,@object                  ; @.str.2
.str.2:
	.asciz	"%s:%d: ERROR: HIP kernel %s has no device code compatible with HIP arch %d.\n"
	.size	.str.2, 77

	.type	__FUNCTION__._ZL9mul_mat_fIfLi32ELi14ELi1ELb1EEvPKT_PKfPKiPfiiiiiiiiiiiiiiii,@object ; @__FUNCTION__._ZL9mul_mat_fIfLi32ELi14ELi1ELb1EEvPKT_PKfPKiPfiiiiiiiiiiiiiiii
__FUNCTION__._ZL9mul_mat_fIfLi32ELi14ELi1ELb1EEvPKT_PKfPKiPfiiiiiiiiiiiiiiii:
	.asciz	"mul_mat_f"
	.size	__FUNCTION__._ZL9mul_mat_fIfLi32ELi14ELi1ELb1EEvPKT_PKfPKiPfiiiiiiiiiiiiiiii, 10

	.type	__hip_cuid_800abced257d844b,@object ; @__hip_cuid_800abced257d844b
	.section	.bss,"aw",@nobits
	.globl	__hip_cuid_800abced257d844b
__hip_cuid_800abced257d844b:
	.byte	0                               ; 0x0
	.size	__hip_cuid_800abced257d844b, 1

	.ident	"AMD clang version 19.0.0git (https://github.com/RadeonOpenCompute/llvm-project roc-6.4.0 25133 c7fe45cf4b819c5991fe208aaa96edf142730f1d)"
	.section	".note.GNU-stack","",@progbits
	.addrsig
	.addrsig_sym __hip_cuid_800abced257d844b
	.amdgpu_metadata
---
amdhsa.kernels:
  - .agpr_count:     0
    .args:
      - .actual_access:  read_only
        .address_space:  global
        .offset:         0
        .size:           8
        .value_kind:     global_buffer
      - .actual_access:  read_only
        .address_space:  global
        .offset:         8
        .size:           8
        .value_kind:     global_buffer
      - .actual_access:  read_only
        .address_space:  global
        .offset:         16
        .size:           8
        .value_kind:     global_buffer
      - .actual_access:  read_only
        .address_space:  global
        .offset:         24
        .size:           8
        .value_kind:     global_buffer
      - .actual_access:  read_only
        .address_space:  global
        .offset:         32
        .size:           8
        .value_kind:     global_buffer
      - .actual_access:  read_only
        .address_space:  global
        .offset:         40
        .size:           8
        .value_kind:     global_buffer
      - .offset:         48
        .size:           4
        .value_kind:     by_value
      - .offset:         52
        .size:           4
        .value_kind:     by_value
      - .offset:         56
        .size:           4
        .value_kind:     by_value
      - .offset:         60
        .size:           4
        .value_kind:     by_value
      - .offset:         64
        .size:           4
        .value_kind:     by_value
      - .offset:         68
        .size:           4
        .value_kind:     by_value
      - .offset:         72
        .size:           4
        .value_kind:     by_value
      - .offset:         76
        .size:           4
        .value_kind:     by_value
      - .offset:         80
        .size:           4
        .value_kind:     by_value
      - .offset:         84
        .size:           4
        .value_kind:     by_value
      - .offset:         88
        .size:           4
        .value_kind:     by_value
      - .offset:         92
        .size:           4
        .value_kind:     by_value
      - .offset:         96
        .size:           4
        .value_kind:     by_value
      - .offset:         100
        .size:           4
        .value_kind:     by_value
      - .offset:         104
        .size:           12
        .value_kind:     by_value
      - .offset:         116
        .size:           12
        .value_kind:     by_value
      - .offset:         128
        .size:           4
        .value_kind:     hidden_block_count_x
      - .offset:         132
        .size:           4
        .value_kind:     hidden_block_count_y
      - .offset:         136
        .size:           4
        .value_kind:     hidden_block_count_z
      - .offset:         140
        .size:           2
        .value_kind:     hidden_group_size_x
      - .offset:         142
        .size:           2
        .value_kind:     hidden_group_size_y
      - .offset:         144
        .size:           2
        .value_kind:     hidden_group_size_z
      - .offset:         146
        .size:           2
        .value_kind:     hidden_remainder_x
      - .offset:         148
        .size:           2
        .value_kind:     hidden_remainder_y
      - .offset:         150
        .size:           2
        .value_kind:     hidden_remainder_z
      - .offset:         168
        .size:           8
        .value_kind:     hidden_global_offset_x
      - .offset:         176
        .size:           8
        .value_kind:     hidden_global_offset_y
      - .offset:         184
        .size:           8
        .value_kind:     hidden_global_offset_z
      - .offset:         192
        .size:           2
        .value_kind:     hidden_grid_dims
      - .offset:         208
        .size:           8
        .value_kind:     hidden_hostcall_buffer
    .group_segment_fixed_size: 0
    .kernarg_segment_align: 8
    .kernarg_segment_size: 384
    .language:       OpenCL C
    .language_version:
      - 2
      - 0
    .max_flat_workgroup_size: 64
    .name:           _ZL13mul_mat_f_idsIfLi32ELi14ELi1EEvPKT_PKfPKiS6_S6_Pfiiiiiiiiiiiiii15HIP_vector_typeIjLj3EES9_
    .private_segment_fixed_size: 16
    .sgpr_count:     40
    .sgpr_spill_count: 0
    .symbol:         _ZL13mul_mat_f_idsIfLi32ELi14ELi1EEvPKT_PKfPKiS6_S6_Pfiiiiiiiiiiiiii15HIP_vector_typeIjLj3EES9_.kd
    .uniform_work_group_size: 1
    .uses_dynamic_stack: false
    .vgpr_count:     41
    .vgpr_spill_count: 0
    .wavefront_size: 64
  - .agpr_count:     0
    .args:
      - .actual_access:  read_only
        .address_space:  global
        .offset:         0
        .size:           8
        .value_kind:     global_buffer
      - .actual_access:  read_only
        .address_space:  global
        .offset:         8
        .size:           8
        .value_kind:     global_buffer
      - .actual_access:  read_only
        .address_space:  global
        .offset:         16
        .size:           8
        .value_kind:     global_buffer
      - .actual_access:  read_only
        .address_space:  global
        .offset:         24
        .size:           8
        .value_kind:     global_buffer
      - .offset:         32
        .size:           4
        .value_kind:     by_value
      - .offset:         36
        .size:           4
        .value_kind:     by_value
      - .offset:         40
        .size:           4
        .value_kind:     by_value
      - .offset:         44
        .size:           4
        .value_kind:     by_value
      - .offset:         48
        .size:           4
        .value_kind:     by_value
      - .offset:         52
        .size:           4
        .value_kind:     by_value
      - .offset:         56
        .size:           4
        .value_kind:     by_value
      - .offset:         60
        .size:           4
        .value_kind:     by_value
      - .offset:         64
        .size:           4
        .value_kind:     by_value
      - .offset:         68
        .size:           4
        .value_kind:     by_value
      - .offset:         72
        .size:           4
        .value_kind:     by_value
      - .offset:         76
        .size:           4
        .value_kind:     by_value
      - .offset:         80
        .size:           4
        .value_kind:     by_value
      - .offset:         84
        .size:           4
        .value_kind:     by_value
      - .offset:         88
        .size:           4
        .value_kind:     by_value
      - .offset:         92
        .size:           4
        .value_kind:     by_value
      - .offset:         96
        .size:           4
        .value_kind:     hidden_block_count_x
      - .offset:         100
        .size:           4
        .value_kind:     hidden_block_count_y
      - .offset:         104
        .size:           4
        .value_kind:     hidden_block_count_z
      - .offset:         108
        .size:           2
        .value_kind:     hidden_group_size_x
      - .offset:         110
        .size:           2
        .value_kind:     hidden_group_size_y
      - .offset:         112
        .size:           2
        .value_kind:     hidden_group_size_z
      - .offset:         114
        .size:           2
        .value_kind:     hidden_remainder_x
      - .offset:         116
        .size:           2
        .value_kind:     hidden_remainder_y
      - .offset:         118
        .size:           2
        .value_kind:     hidden_remainder_z
      - .offset:         136
        .size:           8
        .value_kind:     hidden_global_offset_x
      - .offset:         144
        .size:           8
        .value_kind:     hidden_global_offset_y
      - .offset:         152
        .size:           8
        .value_kind:     hidden_global_offset_z
      - .offset:         160
        .size:           2
        .value_kind:     hidden_grid_dims
      - .offset:         176
        .size:           8
        .value_kind:     hidden_hostcall_buffer
    .group_segment_fixed_size: 0
    .kernarg_segment_align: 8
    .kernarg_segment_size: 352
    .language:       OpenCL C
    .language_version:
      - 2
      - 0
    .max_flat_workgroup_size: 64
    .name:           _ZL9mul_mat_fIfLi32ELi14ELi1ELb1EEvPKT_PKfPKiPfiiiiiiiiiiiiiiii
    .private_segment_fixed_size: 16
    .sgpr_count:     40
    .sgpr_spill_count: 0
    .symbol:         _ZL9mul_mat_fIfLi32ELi14ELi1ELb1EEvPKT_PKfPKiPfiiiiiiiiiiiiiiii.kd
    .uniform_work_group_size: 1
    .uses_dynamic_stack: false
    .vgpr_count:     41
    .vgpr_spill_count: 0
    .wavefront_size: 64
  - .agpr_count:     0
    .args:
      - .actual_access:  read_only
        .address_space:  global
        .offset:         0
        .size:           8
        .value_kind:     global_buffer
      - .actual_access:  read_only
        .address_space:  global
        .offset:         8
        .size:           8
        .value_kind:     global_buffer
      - .actual_access:  read_only
        .address_space:  global
        .offset:         16
        .size:           8
        .value_kind:     global_buffer
      - .actual_access:  read_only
        .address_space:  global
        .offset:         24
        .size:           8
        .value_kind:     global_buffer
      - .offset:         32
        .size:           4
        .value_kind:     by_value
      - .offset:         36
        .size:           4
        .value_kind:     by_value
      - .offset:         40
        .size:           4
        .value_kind:     by_value
      - .offset:         44
        .size:           4
        .value_kind:     by_value
      - .offset:         48
        .size:           4
        .value_kind:     by_value
      - .offset:         52
        .size:           4
        .value_kind:     by_value
      - .offset:         56
        .size:           4
        .value_kind:     by_value
      - .offset:         60
        .size:           4
        .value_kind:     by_value
      - .offset:         64
        .size:           4
        .value_kind:     by_value
      - .offset:         68
        .size:           4
        .value_kind:     by_value
      - .offset:         72
        .size:           4
        .value_kind:     by_value
      - .offset:         76
        .size:           4
        .value_kind:     by_value
      - .offset:         80
        .size:           4
        .value_kind:     by_value
      - .offset:         84
        .size:           4
        .value_kind:     by_value
      - .offset:         88
        .size:           4
        .value_kind:     by_value
      - .offset:         92
        .size:           4
        .value_kind:     by_value
      - .offset:         96
        .size:           4
        .value_kind:     hidden_block_count_x
      - .offset:         100
        .size:           4
        .value_kind:     hidden_block_count_y
      - .offset:         104
        .size:           4
        .value_kind:     hidden_block_count_z
      - .offset:         108
        .size:           2
        .value_kind:     hidden_group_size_x
      - .offset:         110
        .size:           2
        .value_kind:     hidden_group_size_y
      - .offset:         112
        .size:           2
        .value_kind:     hidden_group_size_z
      - .offset:         114
        .size:           2
        .value_kind:     hidden_remainder_x
      - .offset:         116
        .size:           2
        .value_kind:     hidden_remainder_y
      - .offset:         118
        .size:           2
        .value_kind:     hidden_remainder_z
      - .offset:         136
        .size:           8
        .value_kind:     hidden_global_offset_x
      - .offset:         144
        .size:           8
        .value_kind:     hidden_global_offset_y
      - .offset:         152
        .size:           8
        .value_kind:     hidden_global_offset_z
      - .offset:         160
        .size:           2
        .value_kind:     hidden_grid_dims
      - .offset:         176
        .size:           8
        .value_kind:     hidden_hostcall_buffer
    .group_segment_fixed_size: 0
    .kernarg_segment_align: 8
    .kernarg_segment_size: 352
    .language:       OpenCL C
    .language_version:
      - 2
      - 0
    .max_flat_workgroup_size: 64
    .name:           _ZL9mul_mat_fIfLi32ELi14ELi1ELb0EEvPKT_PKfPKiPfiiiiiiiiiiiiiiii
    .private_segment_fixed_size: 16
    .sgpr_count:     40
    .sgpr_spill_count: 0
    .symbol:         _ZL9mul_mat_fIfLi32ELi14ELi1ELb0EEvPKT_PKfPKiPfiiiiiiiiiiiiiiii.kd
    .uniform_work_group_size: 1
    .uses_dynamic_stack: false
    .vgpr_count:     41
    .vgpr_spill_count: 0
    .wavefront_size: 64
  - .agpr_count:     0
    .args:
      - .actual_access:  read_only
        .address_space:  global
        .offset:         0
        .size:           8
        .value_kind:     global_buffer
      - .actual_access:  read_only
        .address_space:  global
        .offset:         8
        .size:           8
        .value_kind:     global_buffer
      - .actual_access:  read_only
        .address_space:  global
        .offset:         16
        .size:           8
        .value_kind:     global_buffer
      - .actual_access:  read_only
        .address_space:  global
        .offset:         24
        .size:           8
        .value_kind:     global_buffer
      - .actual_access:  read_only
        .address_space:  global
        .offset:         32
        .size:           8
        .value_kind:     global_buffer
      - .actual_access:  read_only
        .address_space:  global
        .offset:         40
        .size:           8
        .value_kind:     global_buffer
      - .offset:         48
        .size:           4
        .value_kind:     by_value
      - .offset:         52
        .size:           4
        .value_kind:     by_value
      - .offset:         56
        .size:           4
        .value_kind:     by_value
      - .offset:         60
        .size:           4
        .value_kind:     by_value
      - .offset:         64
        .size:           4
        .value_kind:     by_value
      - .offset:         68
        .size:           4
        .value_kind:     by_value
      - .offset:         72
        .size:           4
        .value_kind:     by_value
      - .offset:         76
        .size:           4
        .value_kind:     by_value
      - .offset:         80
        .size:           4
        .value_kind:     by_value
      - .offset:         84
        .size:           4
        .value_kind:     by_value
      - .offset:         88
        .size:           4
        .value_kind:     by_value
      - .offset:         92
        .size:           4
        .value_kind:     by_value
      - .offset:         96
        .size:           4
        .value_kind:     by_value
      - .offset:         100
        .size:           4
        .value_kind:     by_value
      - .offset:         104
        .size:           12
        .value_kind:     by_value
      - .offset:         116
        .size:           12
        .value_kind:     by_value
      - .offset:         128
        .size:           4
        .value_kind:     hidden_block_count_x
      - .offset:         132
        .size:           4
        .value_kind:     hidden_block_count_y
      - .offset:         136
        .size:           4
        .value_kind:     hidden_block_count_z
      - .offset:         140
        .size:           2
        .value_kind:     hidden_group_size_x
      - .offset:         142
        .size:           2
        .value_kind:     hidden_group_size_y
      - .offset:         144
        .size:           2
        .value_kind:     hidden_group_size_z
      - .offset:         146
        .size:           2
        .value_kind:     hidden_remainder_x
      - .offset:         148
        .size:           2
        .value_kind:     hidden_remainder_y
      - .offset:         150
        .size:           2
        .value_kind:     hidden_remainder_z
      - .offset:         168
        .size:           8
        .value_kind:     hidden_global_offset_x
      - .offset:         176
        .size:           8
        .value_kind:     hidden_global_offset_y
      - .offset:         184
        .size:           8
        .value_kind:     hidden_global_offset_z
      - .offset:         192
        .size:           2
        .value_kind:     hidden_grid_dims
      - .offset:         208
        .size:           8
        .value_kind:     hidden_hostcall_buffer
    .group_segment_fixed_size: 0
    .kernarg_segment_align: 8
    .kernarg_segment_size: 384
    .language:       OpenCL C
    .language_version:
      - 2
      - 0
    .max_flat_workgroup_size: 128
    .name:           _ZL13mul_mat_f_idsIfLi32ELi14ELi2EEvPKT_PKfPKiS6_S6_Pfiiiiiiiiiiiiii15HIP_vector_typeIjLj3EES9_
    .private_segment_fixed_size: 16
    .sgpr_count:     40
    .sgpr_spill_count: 0
    .symbol:         _ZL13mul_mat_f_idsIfLi32ELi14ELi2EEvPKT_PKfPKiS6_S6_Pfiiiiiiiiiiiiii15HIP_vector_typeIjLj3EES9_.kd
    .uniform_work_group_size: 1
    .uses_dynamic_stack: false
    .vgpr_count:     41
    .vgpr_spill_count: 0
    .wavefront_size: 64
  - .agpr_count:     0
    .args:
      - .actual_access:  read_only
        .address_space:  global
        .offset:         0
        .size:           8
        .value_kind:     global_buffer
      - .actual_access:  read_only
        .address_space:  global
        .offset:         8
        .size:           8
        .value_kind:     global_buffer
      - .actual_access:  read_only
        .address_space:  global
        .offset:         16
        .size:           8
        .value_kind:     global_buffer
      - .actual_access:  read_only
        .address_space:  global
        .offset:         24
        .size:           8
        .value_kind:     global_buffer
      - .offset:         32
        .size:           4
        .value_kind:     by_value
      - .offset:         36
        .size:           4
        .value_kind:     by_value
      - .offset:         40
        .size:           4
        .value_kind:     by_value
      - .offset:         44
        .size:           4
        .value_kind:     by_value
      - .offset:         48
        .size:           4
        .value_kind:     by_value
      - .offset:         52
        .size:           4
        .value_kind:     by_value
      - .offset:         56
        .size:           4
        .value_kind:     by_value
      - .offset:         60
        .size:           4
        .value_kind:     by_value
      - .offset:         64
        .size:           4
        .value_kind:     by_value
      - .offset:         68
        .size:           4
        .value_kind:     by_value
      - .offset:         72
        .size:           4
        .value_kind:     by_value
      - .offset:         76
        .size:           4
        .value_kind:     by_value
      - .offset:         80
        .size:           4
        .value_kind:     by_value
      - .offset:         84
        .size:           4
        .value_kind:     by_value
      - .offset:         88
        .size:           4
        .value_kind:     by_value
      - .offset:         92
        .size:           4
        .value_kind:     by_value
      - .offset:         96
        .size:           4
        .value_kind:     hidden_block_count_x
      - .offset:         100
        .size:           4
        .value_kind:     hidden_block_count_y
      - .offset:         104
        .size:           4
        .value_kind:     hidden_block_count_z
      - .offset:         108
        .size:           2
        .value_kind:     hidden_group_size_x
      - .offset:         110
        .size:           2
        .value_kind:     hidden_group_size_y
      - .offset:         112
        .size:           2
        .value_kind:     hidden_group_size_z
      - .offset:         114
        .size:           2
        .value_kind:     hidden_remainder_x
      - .offset:         116
        .size:           2
        .value_kind:     hidden_remainder_y
      - .offset:         118
        .size:           2
        .value_kind:     hidden_remainder_z
      - .offset:         136
        .size:           8
        .value_kind:     hidden_global_offset_x
      - .offset:         144
        .size:           8
        .value_kind:     hidden_global_offset_y
      - .offset:         152
        .size:           8
        .value_kind:     hidden_global_offset_z
      - .offset:         160
        .size:           2
        .value_kind:     hidden_grid_dims
      - .offset:         176
        .size:           8
        .value_kind:     hidden_hostcall_buffer
    .group_segment_fixed_size: 0
    .kernarg_segment_align: 8
    .kernarg_segment_size: 352
    .language:       OpenCL C
    .language_version:
      - 2
      - 0
    .max_flat_workgroup_size: 128
    .name:           _ZL9mul_mat_fIfLi32ELi14ELi2ELb1EEvPKT_PKfPKiPfiiiiiiiiiiiiiiii
    .private_segment_fixed_size: 16
    .sgpr_count:     40
    .sgpr_spill_count: 0
    .symbol:         _ZL9mul_mat_fIfLi32ELi14ELi2ELb1EEvPKT_PKfPKiPfiiiiiiiiiiiiiiii.kd
    .uniform_work_group_size: 1
    .uses_dynamic_stack: false
    .vgpr_count:     41
    .vgpr_spill_count: 0
    .wavefront_size: 64
  - .agpr_count:     0
    .args:
      - .actual_access:  read_only
        .address_space:  global
        .offset:         0
        .size:           8
        .value_kind:     global_buffer
      - .actual_access:  read_only
        .address_space:  global
        .offset:         8
        .size:           8
        .value_kind:     global_buffer
      - .actual_access:  read_only
        .address_space:  global
        .offset:         16
        .size:           8
        .value_kind:     global_buffer
      - .actual_access:  read_only
        .address_space:  global
        .offset:         24
        .size:           8
        .value_kind:     global_buffer
      - .offset:         32
        .size:           4
        .value_kind:     by_value
      - .offset:         36
        .size:           4
        .value_kind:     by_value
      - .offset:         40
        .size:           4
        .value_kind:     by_value
      - .offset:         44
        .size:           4
        .value_kind:     by_value
      - .offset:         48
        .size:           4
        .value_kind:     by_value
      - .offset:         52
        .size:           4
        .value_kind:     by_value
      - .offset:         56
        .size:           4
        .value_kind:     by_value
      - .offset:         60
        .size:           4
        .value_kind:     by_value
      - .offset:         64
        .size:           4
        .value_kind:     by_value
      - .offset:         68
        .size:           4
        .value_kind:     by_value
      - .offset:         72
        .size:           4
        .value_kind:     by_value
      - .offset:         76
        .size:           4
        .value_kind:     by_value
      - .offset:         80
        .size:           4
        .value_kind:     by_value
      - .offset:         84
        .size:           4
        .value_kind:     by_value
      - .offset:         88
        .size:           4
        .value_kind:     by_value
      - .offset:         92
        .size:           4
        .value_kind:     by_value
      - .offset:         96
        .size:           4
        .value_kind:     hidden_block_count_x
      - .offset:         100
        .size:           4
        .value_kind:     hidden_block_count_y
      - .offset:         104
        .size:           4
        .value_kind:     hidden_block_count_z
      - .offset:         108
        .size:           2
        .value_kind:     hidden_group_size_x
      - .offset:         110
        .size:           2
        .value_kind:     hidden_group_size_y
      - .offset:         112
        .size:           2
        .value_kind:     hidden_group_size_z
      - .offset:         114
        .size:           2
        .value_kind:     hidden_remainder_x
      - .offset:         116
        .size:           2
        .value_kind:     hidden_remainder_y
      - .offset:         118
        .size:           2
        .value_kind:     hidden_remainder_z
      - .offset:         136
        .size:           8
        .value_kind:     hidden_global_offset_x
      - .offset:         144
        .size:           8
        .value_kind:     hidden_global_offset_y
      - .offset:         152
        .size:           8
        .value_kind:     hidden_global_offset_z
      - .offset:         160
        .size:           2
        .value_kind:     hidden_grid_dims
      - .offset:         176
        .size:           8
        .value_kind:     hidden_hostcall_buffer
    .group_segment_fixed_size: 0
    .kernarg_segment_align: 8
    .kernarg_segment_size: 352
    .language:       OpenCL C
    .language_version:
      - 2
      - 0
    .max_flat_workgroup_size: 128
    .name:           _ZL9mul_mat_fIfLi32ELi14ELi2ELb0EEvPKT_PKfPKiPfiiiiiiiiiiiiiiii
    .private_segment_fixed_size: 16
    .sgpr_count:     40
    .sgpr_spill_count: 0
    .symbol:         _ZL9mul_mat_fIfLi32ELi14ELi2ELb0EEvPKT_PKfPKiPfiiiiiiiiiiiiiiii.kd
    .uniform_work_group_size: 1
    .uses_dynamic_stack: false
    .vgpr_count:     41
    .vgpr_spill_count: 0
    .wavefront_size: 64
  - .agpr_count:     0
    .args:
      - .actual_access:  read_only
        .address_space:  global
        .offset:         0
        .size:           8
        .value_kind:     global_buffer
      - .actual_access:  read_only
        .address_space:  global
        .offset:         8
        .size:           8
        .value_kind:     global_buffer
      - .actual_access:  read_only
        .address_space:  global
        .offset:         16
        .size:           8
        .value_kind:     global_buffer
      - .actual_access:  read_only
        .address_space:  global
        .offset:         24
        .size:           8
        .value_kind:     global_buffer
      - .actual_access:  read_only
        .address_space:  global
        .offset:         32
        .size:           8
        .value_kind:     global_buffer
      - .actual_access:  read_only
        .address_space:  global
        .offset:         40
        .size:           8
        .value_kind:     global_buffer
      - .offset:         48
        .size:           4
        .value_kind:     by_value
      - .offset:         52
        .size:           4
        .value_kind:     by_value
      - .offset:         56
        .size:           4
        .value_kind:     by_value
      - .offset:         60
        .size:           4
        .value_kind:     by_value
      - .offset:         64
        .size:           4
        .value_kind:     by_value
      - .offset:         68
        .size:           4
        .value_kind:     by_value
      - .offset:         72
        .size:           4
        .value_kind:     by_value
      - .offset:         76
        .size:           4
        .value_kind:     by_value
      - .offset:         80
        .size:           4
        .value_kind:     by_value
      - .offset:         84
        .size:           4
        .value_kind:     by_value
      - .offset:         88
        .size:           4
        .value_kind:     by_value
      - .offset:         92
        .size:           4
        .value_kind:     by_value
      - .offset:         96
        .size:           4
        .value_kind:     by_value
      - .offset:         100
        .size:           4
        .value_kind:     by_value
      - .offset:         104
        .size:           12
        .value_kind:     by_value
      - .offset:         116
        .size:           12
        .value_kind:     by_value
      - .offset:         128
        .size:           4
        .value_kind:     hidden_block_count_x
      - .offset:         132
        .size:           4
        .value_kind:     hidden_block_count_y
      - .offset:         136
        .size:           4
        .value_kind:     hidden_block_count_z
      - .offset:         140
        .size:           2
        .value_kind:     hidden_group_size_x
      - .offset:         142
        .size:           2
        .value_kind:     hidden_group_size_y
      - .offset:         144
        .size:           2
        .value_kind:     hidden_group_size_z
      - .offset:         146
        .size:           2
        .value_kind:     hidden_remainder_x
      - .offset:         148
        .size:           2
        .value_kind:     hidden_remainder_y
      - .offset:         150
        .size:           2
        .value_kind:     hidden_remainder_z
      - .offset:         168
        .size:           8
        .value_kind:     hidden_global_offset_x
      - .offset:         176
        .size:           8
        .value_kind:     hidden_global_offset_y
      - .offset:         184
        .size:           8
        .value_kind:     hidden_global_offset_z
      - .offset:         192
        .size:           2
        .value_kind:     hidden_grid_dims
      - .offset:         208
        .size:           8
        .value_kind:     hidden_hostcall_buffer
    .group_segment_fixed_size: 0
    .kernarg_segment_align: 8
    .kernarg_segment_size: 384
    .language:       OpenCL C
    .language_version:
      - 2
      - 0
    .max_flat_workgroup_size: 192
    .name:           _ZL13mul_mat_f_idsIfLi32ELi14ELi3EEvPKT_PKfPKiS6_S6_Pfiiiiiiiiiiiiii15HIP_vector_typeIjLj3EES9_
    .private_segment_fixed_size: 16
    .sgpr_count:     40
    .sgpr_spill_count: 0
    .symbol:         _ZL13mul_mat_f_idsIfLi32ELi14ELi3EEvPKT_PKfPKiS6_S6_Pfiiiiiiiiiiiiii15HIP_vector_typeIjLj3EES9_.kd
    .uniform_work_group_size: 1
    .uses_dynamic_stack: false
    .vgpr_count:     41
    .vgpr_spill_count: 0
    .wavefront_size: 64
  - .agpr_count:     0
    .args:
      - .actual_access:  read_only
        .address_space:  global
        .offset:         0
        .size:           8
        .value_kind:     global_buffer
      - .actual_access:  read_only
        .address_space:  global
        .offset:         8
        .size:           8
        .value_kind:     global_buffer
      - .actual_access:  read_only
        .address_space:  global
        .offset:         16
        .size:           8
        .value_kind:     global_buffer
      - .actual_access:  read_only
        .address_space:  global
        .offset:         24
        .size:           8
        .value_kind:     global_buffer
      - .offset:         32
        .size:           4
        .value_kind:     by_value
      - .offset:         36
        .size:           4
        .value_kind:     by_value
      - .offset:         40
        .size:           4
        .value_kind:     by_value
      - .offset:         44
        .size:           4
        .value_kind:     by_value
      - .offset:         48
        .size:           4
        .value_kind:     by_value
      - .offset:         52
        .size:           4
        .value_kind:     by_value
      - .offset:         56
        .size:           4
        .value_kind:     by_value
      - .offset:         60
        .size:           4
        .value_kind:     by_value
      - .offset:         64
        .size:           4
        .value_kind:     by_value
      - .offset:         68
        .size:           4
        .value_kind:     by_value
      - .offset:         72
        .size:           4
        .value_kind:     by_value
      - .offset:         76
        .size:           4
        .value_kind:     by_value
      - .offset:         80
        .size:           4
        .value_kind:     by_value
      - .offset:         84
        .size:           4
        .value_kind:     by_value
      - .offset:         88
        .size:           4
        .value_kind:     by_value
      - .offset:         92
        .size:           4
        .value_kind:     by_value
      - .offset:         96
        .size:           4
        .value_kind:     hidden_block_count_x
      - .offset:         100
        .size:           4
        .value_kind:     hidden_block_count_y
      - .offset:         104
        .size:           4
        .value_kind:     hidden_block_count_z
      - .offset:         108
        .size:           2
        .value_kind:     hidden_group_size_x
      - .offset:         110
        .size:           2
        .value_kind:     hidden_group_size_y
      - .offset:         112
        .size:           2
        .value_kind:     hidden_group_size_z
      - .offset:         114
        .size:           2
        .value_kind:     hidden_remainder_x
      - .offset:         116
        .size:           2
        .value_kind:     hidden_remainder_y
      - .offset:         118
        .size:           2
        .value_kind:     hidden_remainder_z
      - .offset:         136
        .size:           8
        .value_kind:     hidden_global_offset_x
      - .offset:         144
        .size:           8
        .value_kind:     hidden_global_offset_y
      - .offset:         152
        .size:           8
        .value_kind:     hidden_global_offset_z
      - .offset:         160
        .size:           2
        .value_kind:     hidden_grid_dims
      - .offset:         176
        .size:           8
        .value_kind:     hidden_hostcall_buffer
    .group_segment_fixed_size: 0
    .kernarg_segment_align: 8
    .kernarg_segment_size: 352
    .language:       OpenCL C
    .language_version:
      - 2
      - 0
    .max_flat_workgroup_size: 192
    .name:           _ZL9mul_mat_fIfLi32ELi14ELi3ELb1EEvPKT_PKfPKiPfiiiiiiiiiiiiiiii
    .private_segment_fixed_size: 16
    .sgpr_count:     40
    .sgpr_spill_count: 0
    .symbol:         _ZL9mul_mat_fIfLi32ELi14ELi3ELb1EEvPKT_PKfPKiPfiiiiiiiiiiiiiiii.kd
    .uniform_work_group_size: 1
    .uses_dynamic_stack: false
    .vgpr_count:     41
    .vgpr_spill_count: 0
    .wavefront_size: 64
  - .agpr_count:     0
    .args:
      - .actual_access:  read_only
        .address_space:  global
        .offset:         0
        .size:           8
        .value_kind:     global_buffer
      - .actual_access:  read_only
        .address_space:  global
        .offset:         8
        .size:           8
        .value_kind:     global_buffer
      - .actual_access:  read_only
        .address_space:  global
        .offset:         16
        .size:           8
        .value_kind:     global_buffer
      - .actual_access:  read_only
        .address_space:  global
        .offset:         24
        .size:           8
        .value_kind:     global_buffer
      - .offset:         32
        .size:           4
        .value_kind:     by_value
      - .offset:         36
        .size:           4
        .value_kind:     by_value
      - .offset:         40
        .size:           4
        .value_kind:     by_value
      - .offset:         44
        .size:           4
        .value_kind:     by_value
      - .offset:         48
        .size:           4
        .value_kind:     by_value
      - .offset:         52
        .size:           4
        .value_kind:     by_value
      - .offset:         56
        .size:           4
        .value_kind:     by_value
      - .offset:         60
        .size:           4
        .value_kind:     by_value
      - .offset:         64
        .size:           4
        .value_kind:     by_value
      - .offset:         68
        .size:           4
        .value_kind:     by_value
      - .offset:         72
        .size:           4
        .value_kind:     by_value
      - .offset:         76
        .size:           4
        .value_kind:     by_value
      - .offset:         80
        .size:           4
        .value_kind:     by_value
      - .offset:         84
        .size:           4
        .value_kind:     by_value
      - .offset:         88
        .size:           4
        .value_kind:     by_value
      - .offset:         92
        .size:           4
        .value_kind:     by_value
      - .offset:         96
        .size:           4
        .value_kind:     hidden_block_count_x
      - .offset:         100
        .size:           4
        .value_kind:     hidden_block_count_y
      - .offset:         104
        .size:           4
        .value_kind:     hidden_block_count_z
      - .offset:         108
        .size:           2
        .value_kind:     hidden_group_size_x
      - .offset:         110
        .size:           2
        .value_kind:     hidden_group_size_y
      - .offset:         112
        .size:           2
        .value_kind:     hidden_group_size_z
      - .offset:         114
        .size:           2
        .value_kind:     hidden_remainder_x
      - .offset:         116
        .size:           2
        .value_kind:     hidden_remainder_y
      - .offset:         118
        .size:           2
        .value_kind:     hidden_remainder_z
      - .offset:         136
        .size:           8
        .value_kind:     hidden_global_offset_x
      - .offset:         144
        .size:           8
        .value_kind:     hidden_global_offset_y
      - .offset:         152
        .size:           8
        .value_kind:     hidden_global_offset_z
      - .offset:         160
        .size:           2
        .value_kind:     hidden_grid_dims
      - .offset:         176
        .size:           8
        .value_kind:     hidden_hostcall_buffer
    .group_segment_fixed_size: 0
    .kernarg_segment_align: 8
    .kernarg_segment_size: 352
    .language:       OpenCL C
    .language_version:
      - 2
      - 0
    .max_flat_workgroup_size: 192
    .name:           _ZL9mul_mat_fIfLi32ELi14ELi3ELb0EEvPKT_PKfPKiPfiiiiiiiiiiiiiiii
    .private_segment_fixed_size: 16
    .sgpr_count:     40
    .sgpr_spill_count: 0
    .symbol:         _ZL9mul_mat_fIfLi32ELi14ELi3ELb0EEvPKT_PKfPKiPfiiiiiiiiiiiiiiii.kd
    .uniform_work_group_size: 1
    .uses_dynamic_stack: false
    .vgpr_count:     41
    .vgpr_spill_count: 0
    .wavefront_size: 64
  - .agpr_count:     0
    .args:
      - .actual_access:  read_only
        .address_space:  global
        .offset:         0
        .size:           8
        .value_kind:     global_buffer
      - .actual_access:  read_only
        .address_space:  global
        .offset:         8
        .size:           8
        .value_kind:     global_buffer
      - .actual_access:  read_only
        .address_space:  global
        .offset:         16
        .size:           8
        .value_kind:     global_buffer
      - .actual_access:  read_only
        .address_space:  global
        .offset:         24
        .size:           8
        .value_kind:     global_buffer
      - .actual_access:  read_only
        .address_space:  global
        .offset:         32
        .size:           8
        .value_kind:     global_buffer
      - .actual_access:  read_only
        .address_space:  global
        .offset:         40
        .size:           8
        .value_kind:     global_buffer
      - .offset:         48
        .size:           4
        .value_kind:     by_value
      - .offset:         52
        .size:           4
        .value_kind:     by_value
      - .offset:         56
        .size:           4
        .value_kind:     by_value
      - .offset:         60
        .size:           4
        .value_kind:     by_value
      - .offset:         64
        .size:           4
        .value_kind:     by_value
      - .offset:         68
        .size:           4
        .value_kind:     by_value
      - .offset:         72
        .size:           4
        .value_kind:     by_value
      - .offset:         76
        .size:           4
        .value_kind:     by_value
      - .offset:         80
        .size:           4
        .value_kind:     by_value
      - .offset:         84
        .size:           4
        .value_kind:     by_value
      - .offset:         88
        .size:           4
        .value_kind:     by_value
      - .offset:         92
        .size:           4
        .value_kind:     by_value
      - .offset:         96
        .size:           4
        .value_kind:     by_value
      - .offset:         100
        .size:           4
        .value_kind:     by_value
      - .offset:         104
        .size:           12
        .value_kind:     by_value
      - .offset:         116
        .size:           12
        .value_kind:     by_value
      - .offset:         128
        .size:           4
        .value_kind:     hidden_block_count_x
      - .offset:         132
        .size:           4
        .value_kind:     hidden_block_count_y
      - .offset:         136
        .size:           4
        .value_kind:     hidden_block_count_z
      - .offset:         140
        .size:           2
        .value_kind:     hidden_group_size_x
      - .offset:         142
        .size:           2
        .value_kind:     hidden_group_size_y
      - .offset:         144
        .size:           2
        .value_kind:     hidden_group_size_z
      - .offset:         146
        .size:           2
        .value_kind:     hidden_remainder_x
      - .offset:         148
        .size:           2
        .value_kind:     hidden_remainder_y
      - .offset:         150
        .size:           2
        .value_kind:     hidden_remainder_z
      - .offset:         168
        .size:           8
        .value_kind:     hidden_global_offset_x
      - .offset:         176
        .size:           8
        .value_kind:     hidden_global_offset_y
      - .offset:         184
        .size:           8
        .value_kind:     hidden_global_offset_z
      - .offset:         192
        .size:           2
        .value_kind:     hidden_grid_dims
      - .offset:         208
        .size:           8
        .value_kind:     hidden_hostcall_buffer
    .group_segment_fixed_size: 0
    .kernarg_segment_align: 8
    .kernarg_segment_size: 384
    .language:       OpenCL C
    .language_version:
      - 2
      - 0
    .max_flat_workgroup_size: 256
    .name:           _ZL13mul_mat_f_idsIfLi32ELi14ELi4EEvPKT_PKfPKiS6_S6_Pfiiiiiiiiiiiiii15HIP_vector_typeIjLj3EES9_
    .private_segment_fixed_size: 16
    .sgpr_count:     40
    .sgpr_spill_count: 0
    .symbol:         _ZL13mul_mat_f_idsIfLi32ELi14ELi4EEvPKT_PKfPKiS6_S6_Pfiiiiiiiiiiiiii15HIP_vector_typeIjLj3EES9_.kd
    .uniform_work_group_size: 1
    .uses_dynamic_stack: false
    .vgpr_count:     41
    .vgpr_spill_count: 0
    .wavefront_size: 64
  - .agpr_count:     0
    .args:
      - .actual_access:  read_only
        .address_space:  global
        .offset:         0
        .size:           8
        .value_kind:     global_buffer
      - .actual_access:  read_only
        .address_space:  global
        .offset:         8
        .size:           8
        .value_kind:     global_buffer
      - .actual_access:  read_only
        .address_space:  global
        .offset:         16
        .size:           8
        .value_kind:     global_buffer
      - .actual_access:  read_only
        .address_space:  global
        .offset:         24
        .size:           8
        .value_kind:     global_buffer
      - .offset:         32
        .size:           4
        .value_kind:     by_value
      - .offset:         36
        .size:           4
        .value_kind:     by_value
      - .offset:         40
        .size:           4
        .value_kind:     by_value
      - .offset:         44
        .size:           4
        .value_kind:     by_value
      - .offset:         48
        .size:           4
        .value_kind:     by_value
      - .offset:         52
        .size:           4
        .value_kind:     by_value
      - .offset:         56
        .size:           4
        .value_kind:     by_value
      - .offset:         60
        .size:           4
        .value_kind:     by_value
      - .offset:         64
        .size:           4
        .value_kind:     by_value
      - .offset:         68
        .size:           4
        .value_kind:     by_value
      - .offset:         72
        .size:           4
        .value_kind:     by_value
      - .offset:         76
        .size:           4
        .value_kind:     by_value
      - .offset:         80
        .size:           4
        .value_kind:     by_value
      - .offset:         84
        .size:           4
        .value_kind:     by_value
      - .offset:         88
        .size:           4
        .value_kind:     by_value
      - .offset:         92
        .size:           4
        .value_kind:     by_value
      - .offset:         96
        .size:           4
        .value_kind:     hidden_block_count_x
      - .offset:         100
        .size:           4
        .value_kind:     hidden_block_count_y
      - .offset:         104
        .size:           4
        .value_kind:     hidden_block_count_z
      - .offset:         108
        .size:           2
        .value_kind:     hidden_group_size_x
      - .offset:         110
        .size:           2
        .value_kind:     hidden_group_size_y
      - .offset:         112
        .size:           2
        .value_kind:     hidden_group_size_z
      - .offset:         114
        .size:           2
        .value_kind:     hidden_remainder_x
      - .offset:         116
        .size:           2
        .value_kind:     hidden_remainder_y
      - .offset:         118
        .size:           2
        .value_kind:     hidden_remainder_z
      - .offset:         136
        .size:           8
        .value_kind:     hidden_global_offset_x
      - .offset:         144
        .size:           8
        .value_kind:     hidden_global_offset_y
      - .offset:         152
        .size:           8
        .value_kind:     hidden_global_offset_z
      - .offset:         160
        .size:           2
        .value_kind:     hidden_grid_dims
      - .offset:         176
        .size:           8
        .value_kind:     hidden_hostcall_buffer
    .group_segment_fixed_size: 0
    .kernarg_segment_align: 8
    .kernarg_segment_size: 352
    .language:       OpenCL C
    .language_version:
      - 2
      - 0
    .max_flat_workgroup_size: 256
    .name:           _ZL9mul_mat_fIfLi32ELi14ELi4ELb1EEvPKT_PKfPKiPfiiiiiiiiiiiiiiii
    .private_segment_fixed_size: 16
    .sgpr_count:     40
    .sgpr_spill_count: 0
    .symbol:         _ZL9mul_mat_fIfLi32ELi14ELi4ELb1EEvPKT_PKfPKiPfiiiiiiiiiiiiiiii.kd
    .uniform_work_group_size: 1
    .uses_dynamic_stack: false
    .vgpr_count:     41
    .vgpr_spill_count: 0
    .wavefront_size: 64
  - .agpr_count:     0
    .args:
      - .actual_access:  read_only
        .address_space:  global
        .offset:         0
        .size:           8
        .value_kind:     global_buffer
      - .actual_access:  read_only
        .address_space:  global
        .offset:         8
        .size:           8
        .value_kind:     global_buffer
      - .actual_access:  read_only
        .address_space:  global
        .offset:         16
        .size:           8
        .value_kind:     global_buffer
      - .actual_access:  read_only
        .address_space:  global
        .offset:         24
        .size:           8
        .value_kind:     global_buffer
      - .offset:         32
        .size:           4
        .value_kind:     by_value
      - .offset:         36
        .size:           4
        .value_kind:     by_value
      - .offset:         40
        .size:           4
        .value_kind:     by_value
      - .offset:         44
        .size:           4
        .value_kind:     by_value
      - .offset:         48
        .size:           4
        .value_kind:     by_value
      - .offset:         52
        .size:           4
        .value_kind:     by_value
      - .offset:         56
        .size:           4
        .value_kind:     by_value
      - .offset:         60
        .size:           4
        .value_kind:     by_value
      - .offset:         64
        .size:           4
        .value_kind:     by_value
      - .offset:         68
        .size:           4
        .value_kind:     by_value
      - .offset:         72
        .size:           4
        .value_kind:     by_value
      - .offset:         76
        .size:           4
        .value_kind:     by_value
      - .offset:         80
        .size:           4
        .value_kind:     by_value
      - .offset:         84
        .size:           4
        .value_kind:     by_value
      - .offset:         88
        .size:           4
        .value_kind:     by_value
      - .offset:         92
        .size:           4
        .value_kind:     by_value
      - .offset:         96
        .size:           4
        .value_kind:     hidden_block_count_x
      - .offset:         100
        .size:           4
        .value_kind:     hidden_block_count_y
      - .offset:         104
        .size:           4
        .value_kind:     hidden_block_count_z
      - .offset:         108
        .size:           2
        .value_kind:     hidden_group_size_x
      - .offset:         110
        .size:           2
        .value_kind:     hidden_group_size_y
      - .offset:         112
        .size:           2
        .value_kind:     hidden_group_size_z
      - .offset:         114
        .size:           2
        .value_kind:     hidden_remainder_x
      - .offset:         116
        .size:           2
        .value_kind:     hidden_remainder_y
      - .offset:         118
        .size:           2
        .value_kind:     hidden_remainder_z
      - .offset:         136
        .size:           8
        .value_kind:     hidden_global_offset_x
      - .offset:         144
        .size:           8
        .value_kind:     hidden_global_offset_y
      - .offset:         152
        .size:           8
        .value_kind:     hidden_global_offset_z
      - .offset:         160
        .size:           2
        .value_kind:     hidden_grid_dims
      - .offset:         176
        .size:           8
        .value_kind:     hidden_hostcall_buffer
    .group_segment_fixed_size: 0
    .kernarg_segment_align: 8
    .kernarg_segment_size: 352
    .language:       OpenCL C
    .language_version:
      - 2
      - 0
    .max_flat_workgroup_size: 256
    .name:           _ZL9mul_mat_fIfLi32ELi14ELi4ELb0EEvPKT_PKfPKiPfiiiiiiiiiiiiiiii
    .private_segment_fixed_size: 16
    .sgpr_count:     40
    .sgpr_spill_count: 0
    .symbol:         _ZL9mul_mat_fIfLi32ELi14ELi4ELb0EEvPKT_PKfPKiPfiiiiiiiiiiiiiiii.kd
    .uniform_work_group_size: 1
    .uses_dynamic_stack: false
    .vgpr_count:     41
    .vgpr_spill_count: 0
    .wavefront_size: 64
  - .agpr_count:     0
    .args:
      - .actual_access:  read_only
        .address_space:  global
        .offset:         0
        .size:           8
        .value_kind:     global_buffer
      - .actual_access:  read_only
        .address_space:  global
        .offset:         8
        .size:           8
        .value_kind:     global_buffer
      - .actual_access:  read_only
        .address_space:  global
        .offset:         16
        .size:           8
        .value_kind:     global_buffer
      - .actual_access:  read_only
        .address_space:  global
        .offset:         24
        .size:           8
        .value_kind:     global_buffer
      - .actual_access:  read_only
        .address_space:  global
        .offset:         32
        .size:           8
        .value_kind:     global_buffer
      - .actual_access:  read_only
        .address_space:  global
        .offset:         40
        .size:           8
        .value_kind:     global_buffer
      - .offset:         48
        .size:           4
        .value_kind:     by_value
      - .offset:         52
        .size:           4
        .value_kind:     by_value
      - .offset:         56
        .size:           4
        .value_kind:     by_value
      - .offset:         60
        .size:           4
        .value_kind:     by_value
      - .offset:         64
        .size:           4
        .value_kind:     by_value
      - .offset:         68
        .size:           4
        .value_kind:     by_value
      - .offset:         72
        .size:           4
        .value_kind:     by_value
      - .offset:         76
        .size:           4
        .value_kind:     by_value
      - .offset:         80
        .size:           4
        .value_kind:     by_value
      - .offset:         84
        .size:           4
        .value_kind:     by_value
      - .offset:         88
        .size:           4
        .value_kind:     by_value
      - .offset:         92
        .size:           4
        .value_kind:     by_value
      - .offset:         96
        .size:           4
        .value_kind:     by_value
      - .offset:         100
        .size:           4
        .value_kind:     by_value
      - .offset:         104
        .size:           12
        .value_kind:     by_value
      - .offset:         116
        .size:           12
        .value_kind:     by_value
      - .offset:         128
        .size:           4
        .value_kind:     hidden_block_count_x
      - .offset:         132
        .size:           4
        .value_kind:     hidden_block_count_y
      - .offset:         136
        .size:           4
        .value_kind:     hidden_block_count_z
      - .offset:         140
        .size:           2
        .value_kind:     hidden_group_size_x
      - .offset:         142
        .size:           2
        .value_kind:     hidden_group_size_y
      - .offset:         144
        .size:           2
        .value_kind:     hidden_group_size_z
      - .offset:         146
        .size:           2
        .value_kind:     hidden_remainder_x
      - .offset:         148
        .size:           2
        .value_kind:     hidden_remainder_y
      - .offset:         150
        .size:           2
        .value_kind:     hidden_remainder_z
      - .offset:         168
        .size:           8
        .value_kind:     hidden_global_offset_x
      - .offset:         176
        .size:           8
        .value_kind:     hidden_global_offset_y
      - .offset:         184
        .size:           8
        .value_kind:     hidden_global_offset_z
      - .offset:         192
        .size:           2
        .value_kind:     hidden_grid_dims
      - .offset:         208
        .size:           8
        .value_kind:     hidden_hostcall_buffer
    .group_segment_fixed_size: 0
    .kernarg_segment_align: 8
    .kernarg_segment_size: 384
    .language:       OpenCL C
    .language_version:
      - 2
      - 0
    .max_flat_workgroup_size: 320
    .name:           _ZL13mul_mat_f_idsIfLi32ELi14ELi5EEvPKT_PKfPKiS6_S6_Pfiiiiiiiiiiiiii15HIP_vector_typeIjLj3EES9_
    .private_segment_fixed_size: 16
    .sgpr_count:     40
    .sgpr_spill_count: 0
    .symbol:         _ZL13mul_mat_f_idsIfLi32ELi14ELi5EEvPKT_PKfPKiS6_S6_Pfiiiiiiiiiiiiii15HIP_vector_typeIjLj3EES9_.kd
    .uniform_work_group_size: 1
    .uses_dynamic_stack: false
    .vgpr_count:     41
    .vgpr_spill_count: 0
    .wavefront_size: 64
  - .agpr_count:     0
    .args:
      - .actual_access:  read_only
        .address_space:  global
        .offset:         0
        .size:           8
        .value_kind:     global_buffer
      - .actual_access:  read_only
        .address_space:  global
        .offset:         8
        .size:           8
        .value_kind:     global_buffer
      - .actual_access:  read_only
        .address_space:  global
        .offset:         16
        .size:           8
        .value_kind:     global_buffer
      - .actual_access:  read_only
        .address_space:  global
        .offset:         24
        .size:           8
        .value_kind:     global_buffer
      - .offset:         32
        .size:           4
        .value_kind:     by_value
      - .offset:         36
        .size:           4
        .value_kind:     by_value
      - .offset:         40
        .size:           4
        .value_kind:     by_value
      - .offset:         44
        .size:           4
        .value_kind:     by_value
      - .offset:         48
        .size:           4
        .value_kind:     by_value
      - .offset:         52
        .size:           4
        .value_kind:     by_value
      - .offset:         56
        .size:           4
        .value_kind:     by_value
      - .offset:         60
        .size:           4
        .value_kind:     by_value
      - .offset:         64
        .size:           4
        .value_kind:     by_value
      - .offset:         68
        .size:           4
        .value_kind:     by_value
      - .offset:         72
        .size:           4
        .value_kind:     by_value
      - .offset:         76
        .size:           4
        .value_kind:     by_value
      - .offset:         80
        .size:           4
        .value_kind:     by_value
      - .offset:         84
        .size:           4
        .value_kind:     by_value
      - .offset:         88
        .size:           4
        .value_kind:     by_value
      - .offset:         92
        .size:           4
        .value_kind:     by_value
      - .offset:         96
        .size:           4
        .value_kind:     hidden_block_count_x
      - .offset:         100
        .size:           4
        .value_kind:     hidden_block_count_y
      - .offset:         104
        .size:           4
        .value_kind:     hidden_block_count_z
      - .offset:         108
        .size:           2
        .value_kind:     hidden_group_size_x
      - .offset:         110
        .size:           2
        .value_kind:     hidden_group_size_y
      - .offset:         112
        .size:           2
        .value_kind:     hidden_group_size_z
      - .offset:         114
        .size:           2
        .value_kind:     hidden_remainder_x
      - .offset:         116
        .size:           2
        .value_kind:     hidden_remainder_y
      - .offset:         118
        .size:           2
        .value_kind:     hidden_remainder_z
      - .offset:         136
        .size:           8
        .value_kind:     hidden_global_offset_x
      - .offset:         144
        .size:           8
        .value_kind:     hidden_global_offset_y
      - .offset:         152
        .size:           8
        .value_kind:     hidden_global_offset_z
      - .offset:         160
        .size:           2
        .value_kind:     hidden_grid_dims
      - .offset:         176
        .size:           8
        .value_kind:     hidden_hostcall_buffer
    .group_segment_fixed_size: 0
    .kernarg_segment_align: 8
    .kernarg_segment_size: 352
    .language:       OpenCL C
    .language_version:
      - 2
      - 0
    .max_flat_workgroup_size: 320
    .name:           _ZL9mul_mat_fIfLi32ELi14ELi5ELb1EEvPKT_PKfPKiPfiiiiiiiiiiiiiiii
    .private_segment_fixed_size: 16
    .sgpr_count:     40
    .sgpr_spill_count: 0
    .symbol:         _ZL9mul_mat_fIfLi32ELi14ELi5ELb1EEvPKT_PKfPKiPfiiiiiiiiiiiiiiii.kd
    .uniform_work_group_size: 1
    .uses_dynamic_stack: false
    .vgpr_count:     41
    .vgpr_spill_count: 0
    .wavefront_size: 64
  - .agpr_count:     0
    .args:
      - .actual_access:  read_only
        .address_space:  global
        .offset:         0
        .size:           8
        .value_kind:     global_buffer
      - .actual_access:  read_only
        .address_space:  global
        .offset:         8
        .size:           8
        .value_kind:     global_buffer
      - .actual_access:  read_only
        .address_space:  global
        .offset:         16
        .size:           8
        .value_kind:     global_buffer
      - .actual_access:  read_only
        .address_space:  global
        .offset:         24
        .size:           8
        .value_kind:     global_buffer
      - .offset:         32
        .size:           4
        .value_kind:     by_value
      - .offset:         36
        .size:           4
        .value_kind:     by_value
      - .offset:         40
        .size:           4
        .value_kind:     by_value
      - .offset:         44
        .size:           4
        .value_kind:     by_value
      - .offset:         48
        .size:           4
        .value_kind:     by_value
      - .offset:         52
        .size:           4
        .value_kind:     by_value
      - .offset:         56
        .size:           4
        .value_kind:     by_value
      - .offset:         60
        .size:           4
        .value_kind:     by_value
      - .offset:         64
        .size:           4
        .value_kind:     by_value
      - .offset:         68
        .size:           4
        .value_kind:     by_value
      - .offset:         72
        .size:           4
        .value_kind:     by_value
      - .offset:         76
        .size:           4
        .value_kind:     by_value
      - .offset:         80
        .size:           4
        .value_kind:     by_value
      - .offset:         84
        .size:           4
        .value_kind:     by_value
      - .offset:         88
        .size:           4
        .value_kind:     by_value
      - .offset:         92
        .size:           4
        .value_kind:     by_value
      - .offset:         96
        .size:           4
        .value_kind:     hidden_block_count_x
      - .offset:         100
        .size:           4
        .value_kind:     hidden_block_count_y
      - .offset:         104
        .size:           4
        .value_kind:     hidden_block_count_z
      - .offset:         108
        .size:           2
        .value_kind:     hidden_group_size_x
      - .offset:         110
        .size:           2
        .value_kind:     hidden_group_size_y
      - .offset:         112
        .size:           2
        .value_kind:     hidden_group_size_z
      - .offset:         114
        .size:           2
        .value_kind:     hidden_remainder_x
      - .offset:         116
        .size:           2
        .value_kind:     hidden_remainder_y
      - .offset:         118
        .size:           2
        .value_kind:     hidden_remainder_z
      - .offset:         136
        .size:           8
        .value_kind:     hidden_global_offset_x
      - .offset:         144
        .size:           8
        .value_kind:     hidden_global_offset_y
      - .offset:         152
        .size:           8
        .value_kind:     hidden_global_offset_z
      - .offset:         160
        .size:           2
        .value_kind:     hidden_grid_dims
      - .offset:         176
        .size:           8
        .value_kind:     hidden_hostcall_buffer
    .group_segment_fixed_size: 0
    .kernarg_segment_align: 8
    .kernarg_segment_size: 352
    .language:       OpenCL C
    .language_version:
      - 2
      - 0
    .max_flat_workgroup_size: 320
    .name:           _ZL9mul_mat_fIfLi32ELi14ELi5ELb0EEvPKT_PKfPKiPfiiiiiiiiiiiiiiii
    .private_segment_fixed_size: 16
    .sgpr_count:     40
    .sgpr_spill_count: 0
    .symbol:         _ZL9mul_mat_fIfLi32ELi14ELi5ELb0EEvPKT_PKfPKiPfiiiiiiiiiiiiiiii.kd
    .uniform_work_group_size: 1
    .uses_dynamic_stack: false
    .vgpr_count:     41
    .vgpr_spill_count: 0
    .wavefront_size: 64
  - .agpr_count:     0
    .args:
      - .actual_access:  read_only
        .address_space:  global
        .offset:         0
        .size:           8
        .value_kind:     global_buffer
      - .actual_access:  read_only
        .address_space:  global
        .offset:         8
        .size:           8
        .value_kind:     global_buffer
      - .actual_access:  read_only
        .address_space:  global
        .offset:         16
        .size:           8
        .value_kind:     global_buffer
      - .actual_access:  read_only
        .address_space:  global
        .offset:         24
        .size:           8
        .value_kind:     global_buffer
      - .actual_access:  read_only
        .address_space:  global
        .offset:         32
        .size:           8
        .value_kind:     global_buffer
      - .actual_access:  read_only
        .address_space:  global
        .offset:         40
        .size:           8
        .value_kind:     global_buffer
      - .offset:         48
        .size:           4
        .value_kind:     by_value
      - .offset:         52
        .size:           4
        .value_kind:     by_value
      - .offset:         56
        .size:           4
        .value_kind:     by_value
      - .offset:         60
        .size:           4
        .value_kind:     by_value
      - .offset:         64
        .size:           4
        .value_kind:     by_value
      - .offset:         68
        .size:           4
        .value_kind:     by_value
      - .offset:         72
        .size:           4
        .value_kind:     by_value
      - .offset:         76
        .size:           4
        .value_kind:     by_value
      - .offset:         80
        .size:           4
        .value_kind:     by_value
      - .offset:         84
        .size:           4
        .value_kind:     by_value
      - .offset:         88
        .size:           4
        .value_kind:     by_value
      - .offset:         92
        .size:           4
        .value_kind:     by_value
      - .offset:         96
        .size:           4
        .value_kind:     by_value
      - .offset:         100
        .size:           4
        .value_kind:     by_value
      - .offset:         104
        .size:           12
        .value_kind:     by_value
      - .offset:         116
        .size:           12
        .value_kind:     by_value
      - .offset:         128
        .size:           4
        .value_kind:     hidden_block_count_x
      - .offset:         132
        .size:           4
        .value_kind:     hidden_block_count_y
      - .offset:         136
        .size:           4
        .value_kind:     hidden_block_count_z
      - .offset:         140
        .size:           2
        .value_kind:     hidden_group_size_x
      - .offset:         142
        .size:           2
        .value_kind:     hidden_group_size_y
      - .offset:         144
        .size:           2
        .value_kind:     hidden_group_size_z
      - .offset:         146
        .size:           2
        .value_kind:     hidden_remainder_x
      - .offset:         148
        .size:           2
        .value_kind:     hidden_remainder_y
      - .offset:         150
        .size:           2
        .value_kind:     hidden_remainder_z
      - .offset:         168
        .size:           8
        .value_kind:     hidden_global_offset_x
      - .offset:         176
        .size:           8
        .value_kind:     hidden_global_offset_y
      - .offset:         184
        .size:           8
        .value_kind:     hidden_global_offset_z
      - .offset:         192
        .size:           2
        .value_kind:     hidden_grid_dims
      - .offset:         208
        .size:           8
        .value_kind:     hidden_hostcall_buffer
    .group_segment_fixed_size: 0
    .kernarg_segment_align: 8
    .kernarg_segment_size: 384
    .language:       OpenCL C
    .language_version:
      - 2
      - 0
    .max_flat_workgroup_size: 384
    .name:           _ZL13mul_mat_f_idsIfLi32ELi14ELi6EEvPKT_PKfPKiS6_S6_Pfiiiiiiiiiiiiii15HIP_vector_typeIjLj3EES9_
    .private_segment_fixed_size: 16
    .sgpr_count:     40
    .sgpr_spill_count: 0
    .symbol:         _ZL13mul_mat_f_idsIfLi32ELi14ELi6EEvPKT_PKfPKiS6_S6_Pfiiiiiiiiiiiiii15HIP_vector_typeIjLj3EES9_.kd
    .uniform_work_group_size: 1
    .uses_dynamic_stack: false
    .vgpr_count:     41
    .vgpr_spill_count: 0
    .wavefront_size: 64
  - .agpr_count:     0
    .args:
      - .actual_access:  read_only
        .address_space:  global
        .offset:         0
        .size:           8
        .value_kind:     global_buffer
      - .actual_access:  read_only
        .address_space:  global
        .offset:         8
        .size:           8
        .value_kind:     global_buffer
      - .actual_access:  read_only
        .address_space:  global
        .offset:         16
        .size:           8
        .value_kind:     global_buffer
      - .actual_access:  read_only
        .address_space:  global
        .offset:         24
        .size:           8
        .value_kind:     global_buffer
      - .offset:         32
        .size:           4
        .value_kind:     by_value
      - .offset:         36
        .size:           4
        .value_kind:     by_value
      - .offset:         40
        .size:           4
        .value_kind:     by_value
      - .offset:         44
        .size:           4
        .value_kind:     by_value
      - .offset:         48
        .size:           4
        .value_kind:     by_value
      - .offset:         52
        .size:           4
        .value_kind:     by_value
      - .offset:         56
        .size:           4
        .value_kind:     by_value
      - .offset:         60
        .size:           4
        .value_kind:     by_value
      - .offset:         64
        .size:           4
        .value_kind:     by_value
      - .offset:         68
        .size:           4
        .value_kind:     by_value
      - .offset:         72
        .size:           4
        .value_kind:     by_value
      - .offset:         76
        .size:           4
        .value_kind:     by_value
      - .offset:         80
        .size:           4
        .value_kind:     by_value
      - .offset:         84
        .size:           4
        .value_kind:     by_value
      - .offset:         88
        .size:           4
        .value_kind:     by_value
      - .offset:         92
        .size:           4
        .value_kind:     by_value
      - .offset:         96
        .size:           4
        .value_kind:     hidden_block_count_x
      - .offset:         100
        .size:           4
        .value_kind:     hidden_block_count_y
      - .offset:         104
        .size:           4
        .value_kind:     hidden_block_count_z
      - .offset:         108
        .size:           2
        .value_kind:     hidden_group_size_x
      - .offset:         110
        .size:           2
        .value_kind:     hidden_group_size_y
      - .offset:         112
        .size:           2
        .value_kind:     hidden_group_size_z
      - .offset:         114
        .size:           2
        .value_kind:     hidden_remainder_x
      - .offset:         116
        .size:           2
        .value_kind:     hidden_remainder_y
      - .offset:         118
        .size:           2
        .value_kind:     hidden_remainder_z
      - .offset:         136
        .size:           8
        .value_kind:     hidden_global_offset_x
      - .offset:         144
        .size:           8
        .value_kind:     hidden_global_offset_y
      - .offset:         152
        .size:           8
        .value_kind:     hidden_global_offset_z
      - .offset:         160
        .size:           2
        .value_kind:     hidden_grid_dims
      - .offset:         176
        .size:           8
        .value_kind:     hidden_hostcall_buffer
    .group_segment_fixed_size: 0
    .kernarg_segment_align: 8
    .kernarg_segment_size: 352
    .language:       OpenCL C
    .language_version:
      - 2
      - 0
    .max_flat_workgroup_size: 384
    .name:           _ZL9mul_mat_fIfLi32ELi14ELi6ELb1EEvPKT_PKfPKiPfiiiiiiiiiiiiiiii
    .private_segment_fixed_size: 16
    .sgpr_count:     40
    .sgpr_spill_count: 0
    .symbol:         _ZL9mul_mat_fIfLi32ELi14ELi6ELb1EEvPKT_PKfPKiPfiiiiiiiiiiiiiiii.kd
    .uniform_work_group_size: 1
    .uses_dynamic_stack: false
    .vgpr_count:     41
    .vgpr_spill_count: 0
    .wavefront_size: 64
  - .agpr_count:     0
    .args:
      - .actual_access:  read_only
        .address_space:  global
        .offset:         0
        .size:           8
        .value_kind:     global_buffer
      - .actual_access:  read_only
        .address_space:  global
        .offset:         8
        .size:           8
        .value_kind:     global_buffer
      - .actual_access:  read_only
        .address_space:  global
        .offset:         16
        .size:           8
        .value_kind:     global_buffer
      - .actual_access:  read_only
        .address_space:  global
        .offset:         24
        .size:           8
        .value_kind:     global_buffer
      - .offset:         32
        .size:           4
        .value_kind:     by_value
      - .offset:         36
        .size:           4
        .value_kind:     by_value
      - .offset:         40
        .size:           4
        .value_kind:     by_value
      - .offset:         44
        .size:           4
        .value_kind:     by_value
      - .offset:         48
        .size:           4
        .value_kind:     by_value
      - .offset:         52
        .size:           4
        .value_kind:     by_value
      - .offset:         56
        .size:           4
        .value_kind:     by_value
      - .offset:         60
        .size:           4
        .value_kind:     by_value
      - .offset:         64
        .size:           4
        .value_kind:     by_value
      - .offset:         68
        .size:           4
        .value_kind:     by_value
      - .offset:         72
        .size:           4
        .value_kind:     by_value
      - .offset:         76
        .size:           4
        .value_kind:     by_value
      - .offset:         80
        .size:           4
        .value_kind:     by_value
      - .offset:         84
        .size:           4
        .value_kind:     by_value
      - .offset:         88
        .size:           4
        .value_kind:     by_value
      - .offset:         92
        .size:           4
        .value_kind:     by_value
      - .offset:         96
        .size:           4
        .value_kind:     hidden_block_count_x
      - .offset:         100
        .size:           4
        .value_kind:     hidden_block_count_y
      - .offset:         104
        .size:           4
        .value_kind:     hidden_block_count_z
      - .offset:         108
        .size:           2
        .value_kind:     hidden_group_size_x
      - .offset:         110
        .size:           2
        .value_kind:     hidden_group_size_y
      - .offset:         112
        .size:           2
        .value_kind:     hidden_group_size_z
      - .offset:         114
        .size:           2
        .value_kind:     hidden_remainder_x
      - .offset:         116
        .size:           2
        .value_kind:     hidden_remainder_y
      - .offset:         118
        .size:           2
        .value_kind:     hidden_remainder_z
      - .offset:         136
        .size:           8
        .value_kind:     hidden_global_offset_x
      - .offset:         144
        .size:           8
        .value_kind:     hidden_global_offset_y
      - .offset:         152
        .size:           8
        .value_kind:     hidden_global_offset_z
      - .offset:         160
        .size:           2
        .value_kind:     hidden_grid_dims
      - .offset:         176
        .size:           8
        .value_kind:     hidden_hostcall_buffer
    .group_segment_fixed_size: 0
    .kernarg_segment_align: 8
    .kernarg_segment_size: 352
    .language:       OpenCL C
    .language_version:
      - 2
      - 0
    .max_flat_workgroup_size: 384
    .name:           _ZL9mul_mat_fIfLi32ELi14ELi6ELb0EEvPKT_PKfPKiPfiiiiiiiiiiiiiiii
    .private_segment_fixed_size: 16
    .sgpr_count:     40
    .sgpr_spill_count: 0
    .symbol:         _ZL9mul_mat_fIfLi32ELi14ELi6ELb0EEvPKT_PKfPKiPfiiiiiiiiiiiiiiii.kd
    .uniform_work_group_size: 1
    .uses_dynamic_stack: false
    .vgpr_count:     41
    .vgpr_spill_count: 0
    .wavefront_size: 64
  - .agpr_count:     0
    .args:
      - .actual_access:  read_only
        .address_space:  global
        .offset:         0
        .size:           8
        .value_kind:     global_buffer
      - .actual_access:  read_only
        .address_space:  global
        .offset:         8
        .size:           8
        .value_kind:     global_buffer
      - .actual_access:  read_only
        .address_space:  global
        .offset:         16
        .size:           8
        .value_kind:     global_buffer
      - .actual_access:  read_only
        .address_space:  global
        .offset:         24
        .size:           8
        .value_kind:     global_buffer
      - .actual_access:  read_only
        .address_space:  global
        .offset:         32
        .size:           8
        .value_kind:     global_buffer
      - .actual_access:  read_only
        .address_space:  global
        .offset:         40
        .size:           8
        .value_kind:     global_buffer
      - .offset:         48
        .size:           4
        .value_kind:     by_value
      - .offset:         52
        .size:           4
        .value_kind:     by_value
      - .offset:         56
        .size:           4
        .value_kind:     by_value
      - .offset:         60
        .size:           4
        .value_kind:     by_value
      - .offset:         64
        .size:           4
        .value_kind:     by_value
      - .offset:         68
        .size:           4
        .value_kind:     by_value
      - .offset:         72
        .size:           4
        .value_kind:     by_value
      - .offset:         76
        .size:           4
        .value_kind:     by_value
      - .offset:         80
        .size:           4
        .value_kind:     by_value
      - .offset:         84
        .size:           4
        .value_kind:     by_value
      - .offset:         88
        .size:           4
        .value_kind:     by_value
      - .offset:         92
        .size:           4
        .value_kind:     by_value
      - .offset:         96
        .size:           4
        .value_kind:     by_value
      - .offset:         100
        .size:           4
        .value_kind:     by_value
      - .offset:         104
        .size:           12
        .value_kind:     by_value
      - .offset:         116
        .size:           12
        .value_kind:     by_value
      - .offset:         128
        .size:           4
        .value_kind:     hidden_block_count_x
      - .offset:         132
        .size:           4
        .value_kind:     hidden_block_count_y
      - .offset:         136
        .size:           4
        .value_kind:     hidden_block_count_z
      - .offset:         140
        .size:           2
        .value_kind:     hidden_group_size_x
      - .offset:         142
        .size:           2
        .value_kind:     hidden_group_size_y
      - .offset:         144
        .size:           2
        .value_kind:     hidden_group_size_z
      - .offset:         146
        .size:           2
        .value_kind:     hidden_remainder_x
      - .offset:         148
        .size:           2
        .value_kind:     hidden_remainder_y
      - .offset:         150
        .size:           2
        .value_kind:     hidden_remainder_z
      - .offset:         168
        .size:           8
        .value_kind:     hidden_global_offset_x
      - .offset:         176
        .size:           8
        .value_kind:     hidden_global_offset_y
      - .offset:         184
        .size:           8
        .value_kind:     hidden_global_offset_z
      - .offset:         192
        .size:           2
        .value_kind:     hidden_grid_dims
      - .offset:         208
        .size:           8
        .value_kind:     hidden_hostcall_buffer
    .group_segment_fixed_size: 0
    .kernarg_segment_align: 8
    .kernarg_segment_size: 384
    .language:       OpenCL C
    .language_version:
      - 2
      - 0
    .max_flat_workgroup_size: 448
    .name:           _ZL13mul_mat_f_idsIfLi32ELi14ELi7EEvPKT_PKfPKiS6_S6_Pfiiiiiiiiiiiiii15HIP_vector_typeIjLj3EES9_
    .private_segment_fixed_size: 16
    .sgpr_count:     40
    .sgpr_spill_count: 0
    .symbol:         _ZL13mul_mat_f_idsIfLi32ELi14ELi7EEvPKT_PKfPKiS6_S6_Pfiiiiiiiiiiiiii15HIP_vector_typeIjLj3EES9_.kd
    .uniform_work_group_size: 1
    .uses_dynamic_stack: false
    .vgpr_count:     41
    .vgpr_spill_count: 0
    .wavefront_size: 64
  - .agpr_count:     0
    .args:
      - .actual_access:  read_only
        .address_space:  global
        .offset:         0
        .size:           8
        .value_kind:     global_buffer
      - .actual_access:  read_only
        .address_space:  global
        .offset:         8
        .size:           8
        .value_kind:     global_buffer
      - .actual_access:  read_only
        .address_space:  global
        .offset:         16
        .size:           8
        .value_kind:     global_buffer
      - .actual_access:  read_only
        .address_space:  global
        .offset:         24
        .size:           8
        .value_kind:     global_buffer
      - .offset:         32
        .size:           4
        .value_kind:     by_value
      - .offset:         36
        .size:           4
        .value_kind:     by_value
      - .offset:         40
        .size:           4
        .value_kind:     by_value
      - .offset:         44
        .size:           4
        .value_kind:     by_value
      - .offset:         48
        .size:           4
        .value_kind:     by_value
      - .offset:         52
        .size:           4
        .value_kind:     by_value
      - .offset:         56
        .size:           4
        .value_kind:     by_value
      - .offset:         60
        .size:           4
        .value_kind:     by_value
      - .offset:         64
        .size:           4
        .value_kind:     by_value
      - .offset:         68
        .size:           4
        .value_kind:     by_value
      - .offset:         72
        .size:           4
        .value_kind:     by_value
      - .offset:         76
        .size:           4
        .value_kind:     by_value
      - .offset:         80
        .size:           4
        .value_kind:     by_value
      - .offset:         84
        .size:           4
        .value_kind:     by_value
      - .offset:         88
        .size:           4
        .value_kind:     by_value
      - .offset:         92
        .size:           4
        .value_kind:     by_value
      - .offset:         96
        .size:           4
        .value_kind:     hidden_block_count_x
      - .offset:         100
        .size:           4
        .value_kind:     hidden_block_count_y
      - .offset:         104
        .size:           4
        .value_kind:     hidden_block_count_z
      - .offset:         108
        .size:           2
        .value_kind:     hidden_group_size_x
      - .offset:         110
        .size:           2
        .value_kind:     hidden_group_size_y
      - .offset:         112
        .size:           2
        .value_kind:     hidden_group_size_z
      - .offset:         114
        .size:           2
        .value_kind:     hidden_remainder_x
      - .offset:         116
        .size:           2
        .value_kind:     hidden_remainder_y
      - .offset:         118
        .size:           2
        .value_kind:     hidden_remainder_z
      - .offset:         136
        .size:           8
        .value_kind:     hidden_global_offset_x
      - .offset:         144
        .size:           8
        .value_kind:     hidden_global_offset_y
      - .offset:         152
        .size:           8
        .value_kind:     hidden_global_offset_z
      - .offset:         160
        .size:           2
        .value_kind:     hidden_grid_dims
      - .offset:         176
        .size:           8
        .value_kind:     hidden_hostcall_buffer
    .group_segment_fixed_size: 0
    .kernarg_segment_align: 8
    .kernarg_segment_size: 352
    .language:       OpenCL C
    .language_version:
      - 2
      - 0
    .max_flat_workgroup_size: 448
    .name:           _ZL9mul_mat_fIfLi32ELi14ELi7ELb1EEvPKT_PKfPKiPfiiiiiiiiiiiiiiii
    .private_segment_fixed_size: 16
    .sgpr_count:     40
    .sgpr_spill_count: 0
    .symbol:         _ZL9mul_mat_fIfLi32ELi14ELi7ELb1EEvPKT_PKfPKiPfiiiiiiiiiiiiiiii.kd
    .uniform_work_group_size: 1
    .uses_dynamic_stack: false
    .vgpr_count:     41
    .vgpr_spill_count: 0
    .wavefront_size: 64
  - .agpr_count:     0
    .args:
      - .actual_access:  read_only
        .address_space:  global
        .offset:         0
        .size:           8
        .value_kind:     global_buffer
      - .actual_access:  read_only
        .address_space:  global
        .offset:         8
        .size:           8
        .value_kind:     global_buffer
      - .actual_access:  read_only
        .address_space:  global
        .offset:         16
        .size:           8
        .value_kind:     global_buffer
      - .actual_access:  read_only
        .address_space:  global
        .offset:         24
        .size:           8
        .value_kind:     global_buffer
      - .offset:         32
        .size:           4
        .value_kind:     by_value
      - .offset:         36
        .size:           4
        .value_kind:     by_value
      - .offset:         40
        .size:           4
        .value_kind:     by_value
      - .offset:         44
        .size:           4
        .value_kind:     by_value
      - .offset:         48
        .size:           4
        .value_kind:     by_value
      - .offset:         52
        .size:           4
        .value_kind:     by_value
      - .offset:         56
        .size:           4
        .value_kind:     by_value
      - .offset:         60
        .size:           4
        .value_kind:     by_value
      - .offset:         64
        .size:           4
        .value_kind:     by_value
      - .offset:         68
        .size:           4
        .value_kind:     by_value
      - .offset:         72
        .size:           4
        .value_kind:     by_value
      - .offset:         76
        .size:           4
        .value_kind:     by_value
      - .offset:         80
        .size:           4
        .value_kind:     by_value
      - .offset:         84
        .size:           4
        .value_kind:     by_value
      - .offset:         88
        .size:           4
        .value_kind:     by_value
      - .offset:         92
        .size:           4
        .value_kind:     by_value
      - .offset:         96
        .size:           4
        .value_kind:     hidden_block_count_x
      - .offset:         100
        .size:           4
        .value_kind:     hidden_block_count_y
      - .offset:         104
        .size:           4
        .value_kind:     hidden_block_count_z
      - .offset:         108
        .size:           2
        .value_kind:     hidden_group_size_x
      - .offset:         110
        .size:           2
        .value_kind:     hidden_group_size_y
      - .offset:         112
        .size:           2
        .value_kind:     hidden_group_size_z
      - .offset:         114
        .size:           2
        .value_kind:     hidden_remainder_x
      - .offset:         116
        .size:           2
        .value_kind:     hidden_remainder_y
      - .offset:         118
        .size:           2
        .value_kind:     hidden_remainder_z
      - .offset:         136
        .size:           8
        .value_kind:     hidden_global_offset_x
      - .offset:         144
        .size:           8
        .value_kind:     hidden_global_offset_y
      - .offset:         152
        .size:           8
        .value_kind:     hidden_global_offset_z
      - .offset:         160
        .size:           2
        .value_kind:     hidden_grid_dims
      - .offset:         176
        .size:           8
        .value_kind:     hidden_hostcall_buffer
    .group_segment_fixed_size: 0
    .kernarg_segment_align: 8
    .kernarg_segment_size: 352
    .language:       OpenCL C
    .language_version:
      - 2
      - 0
    .max_flat_workgroup_size: 448
    .name:           _ZL9mul_mat_fIfLi32ELi14ELi7ELb0EEvPKT_PKfPKiPfiiiiiiiiiiiiiiii
    .private_segment_fixed_size: 16
    .sgpr_count:     40
    .sgpr_spill_count: 0
    .symbol:         _ZL9mul_mat_fIfLi32ELi14ELi7ELb0EEvPKT_PKfPKiPfiiiiiiiiiiiiiiii.kd
    .uniform_work_group_size: 1
    .uses_dynamic_stack: false
    .vgpr_count:     41
    .vgpr_spill_count: 0
    .wavefront_size: 64
  - .agpr_count:     0
    .args:
      - .actual_access:  read_only
        .address_space:  global
        .offset:         0
        .size:           8
        .value_kind:     global_buffer
      - .actual_access:  read_only
        .address_space:  global
        .offset:         8
        .size:           8
        .value_kind:     global_buffer
      - .actual_access:  read_only
        .address_space:  global
        .offset:         16
        .size:           8
        .value_kind:     global_buffer
      - .actual_access:  read_only
        .address_space:  global
        .offset:         24
        .size:           8
        .value_kind:     global_buffer
      - .actual_access:  read_only
        .address_space:  global
        .offset:         32
        .size:           8
        .value_kind:     global_buffer
      - .actual_access:  read_only
        .address_space:  global
        .offset:         40
        .size:           8
        .value_kind:     global_buffer
      - .offset:         48
        .size:           4
        .value_kind:     by_value
      - .offset:         52
        .size:           4
        .value_kind:     by_value
      - .offset:         56
        .size:           4
        .value_kind:     by_value
      - .offset:         60
        .size:           4
        .value_kind:     by_value
      - .offset:         64
        .size:           4
        .value_kind:     by_value
      - .offset:         68
        .size:           4
        .value_kind:     by_value
      - .offset:         72
        .size:           4
        .value_kind:     by_value
      - .offset:         76
        .size:           4
        .value_kind:     by_value
      - .offset:         80
        .size:           4
        .value_kind:     by_value
      - .offset:         84
        .size:           4
        .value_kind:     by_value
      - .offset:         88
        .size:           4
        .value_kind:     by_value
      - .offset:         92
        .size:           4
        .value_kind:     by_value
      - .offset:         96
        .size:           4
        .value_kind:     by_value
      - .offset:         100
        .size:           4
        .value_kind:     by_value
      - .offset:         104
        .size:           12
        .value_kind:     by_value
      - .offset:         116
        .size:           12
        .value_kind:     by_value
      - .offset:         128
        .size:           4
        .value_kind:     hidden_block_count_x
      - .offset:         132
        .size:           4
        .value_kind:     hidden_block_count_y
      - .offset:         136
        .size:           4
        .value_kind:     hidden_block_count_z
      - .offset:         140
        .size:           2
        .value_kind:     hidden_group_size_x
      - .offset:         142
        .size:           2
        .value_kind:     hidden_group_size_y
      - .offset:         144
        .size:           2
        .value_kind:     hidden_group_size_z
      - .offset:         146
        .size:           2
        .value_kind:     hidden_remainder_x
      - .offset:         148
        .size:           2
        .value_kind:     hidden_remainder_y
      - .offset:         150
        .size:           2
        .value_kind:     hidden_remainder_z
      - .offset:         168
        .size:           8
        .value_kind:     hidden_global_offset_x
      - .offset:         176
        .size:           8
        .value_kind:     hidden_global_offset_y
      - .offset:         184
        .size:           8
        .value_kind:     hidden_global_offset_z
      - .offset:         192
        .size:           2
        .value_kind:     hidden_grid_dims
      - .offset:         208
        .size:           8
        .value_kind:     hidden_hostcall_buffer
    .group_segment_fixed_size: 0
    .kernarg_segment_align: 8
    .kernarg_segment_size: 384
    .language:       OpenCL C
    .language_version:
      - 2
      - 0
    .max_flat_workgroup_size: 512
    .name:           _ZL13mul_mat_f_idsIfLi32ELi14ELi8EEvPKT_PKfPKiS6_S6_Pfiiiiiiiiiiiiii15HIP_vector_typeIjLj3EES9_
    .private_segment_fixed_size: 16
    .sgpr_count:     40
    .sgpr_spill_count: 0
    .symbol:         _ZL13mul_mat_f_idsIfLi32ELi14ELi8EEvPKT_PKfPKiS6_S6_Pfiiiiiiiiiiiiii15HIP_vector_typeIjLj3EES9_.kd
    .uniform_work_group_size: 1
    .uses_dynamic_stack: false
    .vgpr_count:     41
    .vgpr_spill_count: 0
    .wavefront_size: 64
  - .agpr_count:     0
    .args:
      - .actual_access:  read_only
        .address_space:  global
        .offset:         0
        .size:           8
        .value_kind:     global_buffer
      - .actual_access:  read_only
        .address_space:  global
        .offset:         8
        .size:           8
        .value_kind:     global_buffer
      - .actual_access:  read_only
        .address_space:  global
        .offset:         16
        .size:           8
        .value_kind:     global_buffer
      - .actual_access:  read_only
        .address_space:  global
        .offset:         24
        .size:           8
        .value_kind:     global_buffer
      - .offset:         32
        .size:           4
        .value_kind:     by_value
      - .offset:         36
        .size:           4
        .value_kind:     by_value
      - .offset:         40
        .size:           4
        .value_kind:     by_value
      - .offset:         44
        .size:           4
        .value_kind:     by_value
      - .offset:         48
        .size:           4
        .value_kind:     by_value
      - .offset:         52
        .size:           4
        .value_kind:     by_value
      - .offset:         56
        .size:           4
        .value_kind:     by_value
      - .offset:         60
        .size:           4
        .value_kind:     by_value
      - .offset:         64
        .size:           4
        .value_kind:     by_value
      - .offset:         68
        .size:           4
        .value_kind:     by_value
      - .offset:         72
        .size:           4
        .value_kind:     by_value
      - .offset:         76
        .size:           4
        .value_kind:     by_value
      - .offset:         80
        .size:           4
        .value_kind:     by_value
      - .offset:         84
        .size:           4
        .value_kind:     by_value
      - .offset:         88
        .size:           4
        .value_kind:     by_value
      - .offset:         92
        .size:           4
        .value_kind:     by_value
      - .offset:         96
        .size:           4
        .value_kind:     hidden_block_count_x
      - .offset:         100
        .size:           4
        .value_kind:     hidden_block_count_y
      - .offset:         104
        .size:           4
        .value_kind:     hidden_block_count_z
      - .offset:         108
        .size:           2
        .value_kind:     hidden_group_size_x
      - .offset:         110
        .size:           2
        .value_kind:     hidden_group_size_y
      - .offset:         112
        .size:           2
        .value_kind:     hidden_group_size_z
      - .offset:         114
        .size:           2
        .value_kind:     hidden_remainder_x
      - .offset:         116
        .size:           2
        .value_kind:     hidden_remainder_y
      - .offset:         118
        .size:           2
        .value_kind:     hidden_remainder_z
      - .offset:         136
        .size:           8
        .value_kind:     hidden_global_offset_x
      - .offset:         144
        .size:           8
        .value_kind:     hidden_global_offset_y
      - .offset:         152
        .size:           8
        .value_kind:     hidden_global_offset_z
      - .offset:         160
        .size:           2
        .value_kind:     hidden_grid_dims
      - .offset:         176
        .size:           8
        .value_kind:     hidden_hostcall_buffer
    .group_segment_fixed_size: 0
    .kernarg_segment_align: 8
    .kernarg_segment_size: 352
    .language:       OpenCL C
    .language_version:
      - 2
      - 0
    .max_flat_workgroup_size: 512
    .name:           _ZL9mul_mat_fIfLi32ELi14ELi8ELb1EEvPKT_PKfPKiPfiiiiiiiiiiiiiiii
    .private_segment_fixed_size: 16
    .sgpr_count:     40
    .sgpr_spill_count: 0
    .symbol:         _ZL9mul_mat_fIfLi32ELi14ELi8ELb1EEvPKT_PKfPKiPfiiiiiiiiiiiiiiii.kd
    .uniform_work_group_size: 1
    .uses_dynamic_stack: false
    .vgpr_count:     41
    .vgpr_spill_count: 0
    .wavefront_size: 64
  - .agpr_count:     0
    .args:
      - .actual_access:  read_only
        .address_space:  global
        .offset:         0
        .size:           8
        .value_kind:     global_buffer
      - .actual_access:  read_only
        .address_space:  global
        .offset:         8
        .size:           8
        .value_kind:     global_buffer
      - .actual_access:  read_only
        .address_space:  global
        .offset:         16
        .size:           8
        .value_kind:     global_buffer
      - .actual_access:  read_only
        .address_space:  global
        .offset:         24
        .size:           8
        .value_kind:     global_buffer
      - .offset:         32
        .size:           4
        .value_kind:     by_value
      - .offset:         36
        .size:           4
        .value_kind:     by_value
      - .offset:         40
        .size:           4
        .value_kind:     by_value
      - .offset:         44
        .size:           4
        .value_kind:     by_value
      - .offset:         48
        .size:           4
        .value_kind:     by_value
      - .offset:         52
        .size:           4
        .value_kind:     by_value
      - .offset:         56
        .size:           4
        .value_kind:     by_value
      - .offset:         60
        .size:           4
        .value_kind:     by_value
      - .offset:         64
        .size:           4
        .value_kind:     by_value
      - .offset:         68
        .size:           4
        .value_kind:     by_value
      - .offset:         72
        .size:           4
        .value_kind:     by_value
      - .offset:         76
        .size:           4
        .value_kind:     by_value
      - .offset:         80
        .size:           4
        .value_kind:     by_value
      - .offset:         84
        .size:           4
        .value_kind:     by_value
      - .offset:         88
        .size:           4
        .value_kind:     by_value
      - .offset:         92
        .size:           4
        .value_kind:     by_value
      - .offset:         96
        .size:           4
        .value_kind:     hidden_block_count_x
      - .offset:         100
        .size:           4
        .value_kind:     hidden_block_count_y
      - .offset:         104
        .size:           4
        .value_kind:     hidden_block_count_z
      - .offset:         108
        .size:           2
        .value_kind:     hidden_group_size_x
      - .offset:         110
        .size:           2
        .value_kind:     hidden_group_size_y
      - .offset:         112
        .size:           2
        .value_kind:     hidden_group_size_z
      - .offset:         114
        .size:           2
        .value_kind:     hidden_remainder_x
      - .offset:         116
        .size:           2
        .value_kind:     hidden_remainder_y
      - .offset:         118
        .size:           2
        .value_kind:     hidden_remainder_z
      - .offset:         136
        .size:           8
        .value_kind:     hidden_global_offset_x
      - .offset:         144
        .size:           8
        .value_kind:     hidden_global_offset_y
      - .offset:         152
        .size:           8
        .value_kind:     hidden_global_offset_z
      - .offset:         160
        .size:           2
        .value_kind:     hidden_grid_dims
      - .offset:         176
        .size:           8
        .value_kind:     hidden_hostcall_buffer
    .group_segment_fixed_size: 0
    .kernarg_segment_align: 8
    .kernarg_segment_size: 352
    .language:       OpenCL C
    .language_version:
      - 2
      - 0
    .max_flat_workgroup_size: 512
    .name:           _ZL9mul_mat_fIfLi32ELi14ELi8ELb0EEvPKT_PKfPKiPfiiiiiiiiiiiiiiii
    .private_segment_fixed_size: 16
    .sgpr_count:     40
    .sgpr_spill_count: 0
    .symbol:         _ZL9mul_mat_fIfLi32ELi14ELi8ELb0EEvPKT_PKfPKiPfiiiiiiiiiiiiiiii.kd
    .uniform_work_group_size: 1
    .uses_dynamic_stack: false
    .vgpr_count:     41
    .vgpr_spill_count: 0
    .wavefront_size: 64
  - .agpr_count:     0
    .args:
      - .actual_access:  read_only
        .address_space:  global
        .offset:         0
        .size:           8
        .value_kind:     global_buffer
      - .actual_access:  read_only
        .address_space:  global
        .offset:         8
        .size:           8
        .value_kind:     global_buffer
      - .actual_access:  read_only
        .address_space:  global
        .offset:         16
        .size:           8
        .value_kind:     global_buffer
      - .actual_access:  read_only
        .address_space:  global
        .offset:         24
        .size:           8
        .value_kind:     global_buffer
      - .actual_access:  read_only
        .address_space:  global
        .offset:         32
        .size:           8
        .value_kind:     global_buffer
      - .actual_access:  read_only
        .address_space:  global
        .offset:         40
        .size:           8
        .value_kind:     global_buffer
      - .offset:         48
        .size:           4
        .value_kind:     by_value
      - .offset:         52
        .size:           4
        .value_kind:     by_value
      - .offset:         56
        .size:           4
        .value_kind:     by_value
      - .offset:         60
        .size:           4
        .value_kind:     by_value
      - .offset:         64
        .size:           4
        .value_kind:     by_value
      - .offset:         68
        .size:           4
        .value_kind:     by_value
      - .offset:         72
        .size:           4
        .value_kind:     by_value
      - .offset:         76
        .size:           4
        .value_kind:     by_value
      - .offset:         80
        .size:           4
        .value_kind:     by_value
      - .offset:         84
        .size:           4
        .value_kind:     by_value
      - .offset:         88
        .size:           4
        .value_kind:     by_value
      - .offset:         92
        .size:           4
        .value_kind:     by_value
      - .offset:         96
        .size:           4
        .value_kind:     by_value
      - .offset:         100
        .size:           4
        .value_kind:     by_value
      - .offset:         104
        .size:           12
        .value_kind:     by_value
      - .offset:         116
        .size:           12
        .value_kind:     by_value
      - .offset:         128
        .size:           4
        .value_kind:     hidden_block_count_x
      - .offset:         132
        .size:           4
        .value_kind:     hidden_block_count_y
      - .offset:         136
        .size:           4
        .value_kind:     hidden_block_count_z
      - .offset:         140
        .size:           2
        .value_kind:     hidden_group_size_x
      - .offset:         142
        .size:           2
        .value_kind:     hidden_group_size_y
      - .offset:         144
        .size:           2
        .value_kind:     hidden_group_size_z
      - .offset:         146
        .size:           2
        .value_kind:     hidden_remainder_x
      - .offset:         148
        .size:           2
        .value_kind:     hidden_remainder_y
      - .offset:         150
        .size:           2
        .value_kind:     hidden_remainder_z
      - .offset:         168
        .size:           8
        .value_kind:     hidden_global_offset_x
      - .offset:         176
        .size:           8
        .value_kind:     hidden_global_offset_y
      - .offset:         184
        .size:           8
        .value_kind:     hidden_global_offset_z
      - .offset:         192
        .size:           2
        .value_kind:     hidden_grid_dims
      - .offset:         208
        .size:           8
        .value_kind:     hidden_hostcall_buffer
    .group_segment_fixed_size: 0
    .kernarg_segment_align: 8
    .kernarg_segment_size: 384
    .language:       OpenCL C
    .language_version:
      - 2
      - 0
    .max_flat_workgroup_size: 64
    .name:           _ZL13mul_mat_f_idsI7__half2Li32ELi14ELi1EEvPKT_PKfPKiS7_S7_Pfiiiiiiiiiiiiii15HIP_vector_typeIjLj3EESA_
    .private_segment_fixed_size: 16
    .sgpr_count:     40
    .sgpr_spill_count: 0
    .symbol:         _ZL13mul_mat_f_idsI7__half2Li32ELi14ELi1EEvPKT_PKfPKiS7_S7_Pfiiiiiiiiiiiiii15HIP_vector_typeIjLj3EESA_.kd
    .uniform_work_group_size: 1
    .uses_dynamic_stack: false
    .vgpr_count:     41
    .vgpr_spill_count: 0
    .wavefront_size: 64
  - .agpr_count:     0
    .args:
      - .actual_access:  read_only
        .address_space:  global
        .offset:         0
        .size:           8
        .value_kind:     global_buffer
      - .actual_access:  read_only
        .address_space:  global
        .offset:         8
        .size:           8
        .value_kind:     global_buffer
      - .actual_access:  read_only
        .address_space:  global
        .offset:         16
        .size:           8
        .value_kind:     global_buffer
      - .actual_access:  read_only
        .address_space:  global
        .offset:         24
        .size:           8
        .value_kind:     global_buffer
      - .offset:         32
        .size:           4
        .value_kind:     by_value
      - .offset:         36
        .size:           4
        .value_kind:     by_value
      - .offset:         40
        .size:           4
        .value_kind:     by_value
      - .offset:         44
        .size:           4
        .value_kind:     by_value
      - .offset:         48
        .size:           4
        .value_kind:     by_value
      - .offset:         52
        .size:           4
        .value_kind:     by_value
      - .offset:         56
        .size:           4
        .value_kind:     by_value
      - .offset:         60
        .size:           4
        .value_kind:     by_value
      - .offset:         64
        .size:           4
        .value_kind:     by_value
      - .offset:         68
        .size:           4
        .value_kind:     by_value
      - .offset:         72
        .size:           4
        .value_kind:     by_value
      - .offset:         76
        .size:           4
        .value_kind:     by_value
      - .offset:         80
        .size:           4
        .value_kind:     by_value
      - .offset:         84
        .size:           4
        .value_kind:     by_value
      - .offset:         88
        .size:           4
        .value_kind:     by_value
      - .offset:         92
        .size:           4
        .value_kind:     by_value
      - .offset:         96
        .size:           4
        .value_kind:     hidden_block_count_x
      - .offset:         100
        .size:           4
        .value_kind:     hidden_block_count_y
      - .offset:         104
        .size:           4
        .value_kind:     hidden_block_count_z
      - .offset:         108
        .size:           2
        .value_kind:     hidden_group_size_x
      - .offset:         110
        .size:           2
        .value_kind:     hidden_group_size_y
      - .offset:         112
        .size:           2
        .value_kind:     hidden_group_size_z
      - .offset:         114
        .size:           2
        .value_kind:     hidden_remainder_x
      - .offset:         116
        .size:           2
        .value_kind:     hidden_remainder_y
      - .offset:         118
        .size:           2
        .value_kind:     hidden_remainder_z
      - .offset:         136
        .size:           8
        .value_kind:     hidden_global_offset_x
      - .offset:         144
        .size:           8
        .value_kind:     hidden_global_offset_y
      - .offset:         152
        .size:           8
        .value_kind:     hidden_global_offset_z
      - .offset:         160
        .size:           2
        .value_kind:     hidden_grid_dims
      - .offset:         176
        .size:           8
        .value_kind:     hidden_hostcall_buffer
    .group_segment_fixed_size: 0
    .kernarg_segment_align: 8
    .kernarg_segment_size: 352
    .language:       OpenCL C
    .language_version:
      - 2
      - 0
    .max_flat_workgroup_size: 64
    .name:           _ZL9mul_mat_fI7__half2Li32ELi14ELi1ELb1EEvPKT_PKfPKiPfiiiiiiiiiiiiiiii
    .private_segment_fixed_size: 16
    .sgpr_count:     40
    .sgpr_spill_count: 0
    .symbol:         _ZL9mul_mat_fI7__half2Li32ELi14ELi1ELb1EEvPKT_PKfPKiPfiiiiiiiiiiiiiiii.kd
    .uniform_work_group_size: 1
    .uses_dynamic_stack: false
    .vgpr_count:     41
    .vgpr_spill_count: 0
    .wavefront_size: 64
  - .agpr_count:     0
    .args:
      - .actual_access:  read_only
        .address_space:  global
        .offset:         0
        .size:           8
        .value_kind:     global_buffer
      - .actual_access:  read_only
        .address_space:  global
        .offset:         8
        .size:           8
        .value_kind:     global_buffer
      - .actual_access:  read_only
        .address_space:  global
        .offset:         16
        .size:           8
        .value_kind:     global_buffer
      - .actual_access:  read_only
        .address_space:  global
        .offset:         24
        .size:           8
        .value_kind:     global_buffer
      - .offset:         32
        .size:           4
        .value_kind:     by_value
      - .offset:         36
        .size:           4
        .value_kind:     by_value
      - .offset:         40
        .size:           4
        .value_kind:     by_value
      - .offset:         44
        .size:           4
        .value_kind:     by_value
      - .offset:         48
        .size:           4
        .value_kind:     by_value
      - .offset:         52
        .size:           4
        .value_kind:     by_value
      - .offset:         56
        .size:           4
        .value_kind:     by_value
      - .offset:         60
        .size:           4
        .value_kind:     by_value
      - .offset:         64
        .size:           4
        .value_kind:     by_value
      - .offset:         68
        .size:           4
        .value_kind:     by_value
      - .offset:         72
        .size:           4
        .value_kind:     by_value
      - .offset:         76
        .size:           4
        .value_kind:     by_value
      - .offset:         80
        .size:           4
        .value_kind:     by_value
      - .offset:         84
        .size:           4
        .value_kind:     by_value
      - .offset:         88
        .size:           4
        .value_kind:     by_value
      - .offset:         92
        .size:           4
        .value_kind:     by_value
      - .offset:         96
        .size:           4
        .value_kind:     hidden_block_count_x
      - .offset:         100
        .size:           4
        .value_kind:     hidden_block_count_y
      - .offset:         104
        .size:           4
        .value_kind:     hidden_block_count_z
      - .offset:         108
        .size:           2
        .value_kind:     hidden_group_size_x
      - .offset:         110
        .size:           2
        .value_kind:     hidden_group_size_y
      - .offset:         112
        .size:           2
        .value_kind:     hidden_group_size_z
      - .offset:         114
        .size:           2
        .value_kind:     hidden_remainder_x
      - .offset:         116
        .size:           2
        .value_kind:     hidden_remainder_y
      - .offset:         118
        .size:           2
        .value_kind:     hidden_remainder_z
      - .offset:         136
        .size:           8
        .value_kind:     hidden_global_offset_x
      - .offset:         144
        .size:           8
        .value_kind:     hidden_global_offset_y
      - .offset:         152
        .size:           8
        .value_kind:     hidden_global_offset_z
      - .offset:         160
        .size:           2
        .value_kind:     hidden_grid_dims
      - .offset:         176
        .size:           8
        .value_kind:     hidden_hostcall_buffer
    .group_segment_fixed_size: 0
    .kernarg_segment_align: 8
    .kernarg_segment_size: 352
    .language:       OpenCL C
    .language_version:
      - 2
      - 0
    .max_flat_workgroup_size: 64
    .name:           _ZL9mul_mat_fI7__half2Li32ELi14ELi1ELb0EEvPKT_PKfPKiPfiiiiiiiiiiiiiiii
    .private_segment_fixed_size: 16
    .sgpr_count:     40
    .sgpr_spill_count: 0
    .symbol:         _ZL9mul_mat_fI7__half2Li32ELi14ELi1ELb0EEvPKT_PKfPKiPfiiiiiiiiiiiiiiii.kd
    .uniform_work_group_size: 1
    .uses_dynamic_stack: false
    .vgpr_count:     41
    .vgpr_spill_count: 0
    .wavefront_size: 64
  - .agpr_count:     0
    .args:
      - .actual_access:  read_only
        .address_space:  global
        .offset:         0
        .size:           8
        .value_kind:     global_buffer
      - .actual_access:  read_only
        .address_space:  global
        .offset:         8
        .size:           8
        .value_kind:     global_buffer
      - .actual_access:  read_only
        .address_space:  global
        .offset:         16
        .size:           8
        .value_kind:     global_buffer
      - .actual_access:  read_only
        .address_space:  global
        .offset:         24
        .size:           8
        .value_kind:     global_buffer
      - .actual_access:  read_only
        .address_space:  global
        .offset:         32
        .size:           8
        .value_kind:     global_buffer
      - .actual_access:  read_only
        .address_space:  global
        .offset:         40
        .size:           8
        .value_kind:     global_buffer
      - .offset:         48
        .size:           4
        .value_kind:     by_value
      - .offset:         52
        .size:           4
        .value_kind:     by_value
      - .offset:         56
        .size:           4
        .value_kind:     by_value
      - .offset:         60
        .size:           4
        .value_kind:     by_value
      - .offset:         64
        .size:           4
        .value_kind:     by_value
      - .offset:         68
        .size:           4
        .value_kind:     by_value
      - .offset:         72
        .size:           4
        .value_kind:     by_value
      - .offset:         76
        .size:           4
        .value_kind:     by_value
      - .offset:         80
        .size:           4
        .value_kind:     by_value
      - .offset:         84
        .size:           4
        .value_kind:     by_value
      - .offset:         88
        .size:           4
        .value_kind:     by_value
      - .offset:         92
        .size:           4
        .value_kind:     by_value
      - .offset:         96
        .size:           4
        .value_kind:     by_value
      - .offset:         100
        .size:           4
        .value_kind:     by_value
      - .offset:         104
        .size:           12
        .value_kind:     by_value
      - .offset:         116
        .size:           12
        .value_kind:     by_value
      - .offset:         128
        .size:           4
        .value_kind:     hidden_block_count_x
      - .offset:         132
        .size:           4
        .value_kind:     hidden_block_count_y
      - .offset:         136
        .size:           4
        .value_kind:     hidden_block_count_z
      - .offset:         140
        .size:           2
        .value_kind:     hidden_group_size_x
      - .offset:         142
        .size:           2
        .value_kind:     hidden_group_size_y
      - .offset:         144
        .size:           2
        .value_kind:     hidden_group_size_z
      - .offset:         146
        .size:           2
        .value_kind:     hidden_remainder_x
      - .offset:         148
        .size:           2
        .value_kind:     hidden_remainder_y
      - .offset:         150
        .size:           2
        .value_kind:     hidden_remainder_z
      - .offset:         168
        .size:           8
        .value_kind:     hidden_global_offset_x
      - .offset:         176
        .size:           8
        .value_kind:     hidden_global_offset_y
      - .offset:         184
        .size:           8
        .value_kind:     hidden_global_offset_z
      - .offset:         192
        .size:           2
        .value_kind:     hidden_grid_dims
      - .offset:         208
        .size:           8
        .value_kind:     hidden_hostcall_buffer
    .group_segment_fixed_size: 0
    .kernarg_segment_align: 8
    .kernarg_segment_size: 384
    .language:       OpenCL C
    .language_version:
      - 2
      - 0
    .max_flat_workgroup_size: 128
    .name:           _ZL13mul_mat_f_idsI7__half2Li32ELi14ELi2EEvPKT_PKfPKiS7_S7_Pfiiiiiiiiiiiiii15HIP_vector_typeIjLj3EESA_
    .private_segment_fixed_size: 16
    .sgpr_count:     40
    .sgpr_spill_count: 0
    .symbol:         _ZL13mul_mat_f_idsI7__half2Li32ELi14ELi2EEvPKT_PKfPKiS7_S7_Pfiiiiiiiiiiiiii15HIP_vector_typeIjLj3EESA_.kd
    .uniform_work_group_size: 1
    .uses_dynamic_stack: false
    .vgpr_count:     41
    .vgpr_spill_count: 0
    .wavefront_size: 64
  - .agpr_count:     0
    .args:
      - .actual_access:  read_only
        .address_space:  global
        .offset:         0
        .size:           8
        .value_kind:     global_buffer
      - .actual_access:  read_only
        .address_space:  global
        .offset:         8
        .size:           8
        .value_kind:     global_buffer
      - .actual_access:  read_only
        .address_space:  global
        .offset:         16
        .size:           8
        .value_kind:     global_buffer
      - .actual_access:  read_only
        .address_space:  global
        .offset:         24
        .size:           8
        .value_kind:     global_buffer
      - .offset:         32
        .size:           4
        .value_kind:     by_value
      - .offset:         36
        .size:           4
        .value_kind:     by_value
      - .offset:         40
        .size:           4
        .value_kind:     by_value
      - .offset:         44
        .size:           4
        .value_kind:     by_value
      - .offset:         48
        .size:           4
        .value_kind:     by_value
      - .offset:         52
        .size:           4
        .value_kind:     by_value
      - .offset:         56
        .size:           4
        .value_kind:     by_value
      - .offset:         60
        .size:           4
        .value_kind:     by_value
      - .offset:         64
        .size:           4
        .value_kind:     by_value
      - .offset:         68
        .size:           4
        .value_kind:     by_value
      - .offset:         72
        .size:           4
        .value_kind:     by_value
      - .offset:         76
        .size:           4
        .value_kind:     by_value
      - .offset:         80
        .size:           4
        .value_kind:     by_value
      - .offset:         84
        .size:           4
        .value_kind:     by_value
      - .offset:         88
        .size:           4
        .value_kind:     by_value
      - .offset:         92
        .size:           4
        .value_kind:     by_value
      - .offset:         96
        .size:           4
        .value_kind:     hidden_block_count_x
      - .offset:         100
        .size:           4
        .value_kind:     hidden_block_count_y
      - .offset:         104
        .size:           4
        .value_kind:     hidden_block_count_z
      - .offset:         108
        .size:           2
        .value_kind:     hidden_group_size_x
      - .offset:         110
        .size:           2
        .value_kind:     hidden_group_size_y
      - .offset:         112
        .size:           2
        .value_kind:     hidden_group_size_z
      - .offset:         114
        .size:           2
        .value_kind:     hidden_remainder_x
      - .offset:         116
        .size:           2
        .value_kind:     hidden_remainder_y
      - .offset:         118
        .size:           2
        .value_kind:     hidden_remainder_z
      - .offset:         136
        .size:           8
        .value_kind:     hidden_global_offset_x
      - .offset:         144
        .size:           8
        .value_kind:     hidden_global_offset_y
      - .offset:         152
        .size:           8
        .value_kind:     hidden_global_offset_z
      - .offset:         160
        .size:           2
        .value_kind:     hidden_grid_dims
      - .offset:         176
        .size:           8
        .value_kind:     hidden_hostcall_buffer
    .group_segment_fixed_size: 0
    .kernarg_segment_align: 8
    .kernarg_segment_size: 352
    .language:       OpenCL C
    .language_version:
      - 2
      - 0
    .max_flat_workgroup_size: 128
    .name:           _ZL9mul_mat_fI7__half2Li32ELi14ELi2ELb1EEvPKT_PKfPKiPfiiiiiiiiiiiiiiii
    .private_segment_fixed_size: 16
    .sgpr_count:     40
    .sgpr_spill_count: 0
    .symbol:         _ZL9mul_mat_fI7__half2Li32ELi14ELi2ELb1EEvPKT_PKfPKiPfiiiiiiiiiiiiiiii.kd
    .uniform_work_group_size: 1
    .uses_dynamic_stack: false
    .vgpr_count:     41
    .vgpr_spill_count: 0
    .wavefront_size: 64
  - .agpr_count:     0
    .args:
      - .actual_access:  read_only
        .address_space:  global
        .offset:         0
        .size:           8
        .value_kind:     global_buffer
      - .actual_access:  read_only
        .address_space:  global
        .offset:         8
        .size:           8
        .value_kind:     global_buffer
      - .actual_access:  read_only
        .address_space:  global
        .offset:         16
        .size:           8
        .value_kind:     global_buffer
      - .actual_access:  read_only
        .address_space:  global
        .offset:         24
        .size:           8
        .value_kind:     global_buffer
      - .offset:         32
        .size:           4
        .value_kind:     by_value
      - .offset:         36
        .size:           4
        .value_kind:     by_value
      - .offset:         40
        .size:           4
        .value_kind:     by_value
      - .offset:         44
        .size:           4
        .value_kind:     by_value
      - .offset:         48
        .size:           4
        .value_kind:     by_value
      - .offset:         52
        .size:           4
        .value_kind:     by_value
      - .offset:         56
        .size:           4
        .value_kind:     by_value
      - .offset:         60
        .size:           4
        .value_kind:     by_value
      - .offset:         64
        .size:           4
        .value_kind:     by_value
      - .offset:         68
        .size:           4
        .value_kind:     by_value
      - .offset:         72
        .size:           4
        .value_kind:     by_value
      - .offset:         76
        .size:           4
        .value_kind:     by_value
      - .offset:         80
        .size:           4
        .value_kind:     by_value
      - .offset:         84
        .size:           4
        .value_kind:     by_value
      - .offset:         88
        .size:           4
        .value_kind:     by_value
      - .offset:         92
        .size:           4
        .value_kind:     by_value
      - .offset:         96
        .size:           4
        .value_kind:     hidden_block_count_x
      - .offset:         100
        .size:           4
        .value_kind:     hidden_block_count_y
      - .offset:         104
        .size:           4
        .value_kind:     hidden_block_count_z
      - .offset:         108
        .size:           2
        .value_kind:     hidden_group_size_x
      - .offset:         110
        .size:           2
        .value_kind:     hidden_group_size_y
      - .offset:         112
        .size:           2
        .value_kind:     hidden_group_size_z
      - .offset:         114
        .size:           2
        .value_kind:     hidden_remainder_x
      - .offset:         116
        .size:           2
        .value_kind:     hidden_remainder_y
      - .offset:         118
        .size:           2
        .value_kind:     hidden_remainder_z
      - .offset:         136
        .size:           8
        .value_kind:     hidden_global_offset_x
      - .offset:         144
        .size:           8
        .value_kind:     hidden_global_offset_y
      - .offset:         152
        .size:           8
        .value_kind:     hidden_global_offset_z
      - .offset:         160
        .size:           2
        .value_kind:     hidden_grid_dims
      - .offset:         176
        .size:           8
        .value_kind:     hidden_hostcall_buffer
    .group_segment_fixed_size: 0
    .kernarg_segment_align: 8
    .kernarg_segment_size: 352
    .language:       OpenCL C
    .language_version:
      - 2
      - 0
    .max_flat_workgroup_size: 128
    .name:           _ZL9mul_mat_fI7__half2Li32ELi14ELi2ELb0EEvPKT_PKfPKiPfiiiiiiiiiiiiiiii
    .private_segment_fixed_size: 16
    .sgpr_count:     40
    .sgpr_spill_count: 0
    .symbol:         _ZL9mul_mat_fI7__half2Li32ELi14ELi2ELb0EEvPKT_PKfPKiPfiiiiiiiiiiiiiiii.kd
    .uniform_work_group_size: 1
    .uses_dynamic_stack: false
    .vgpr_count:     41
    .vgpr_spill_count: 0
    .wavefront_size: 64
  - .agpr_count:     0
    .args:
      - .actual_access:  read_only
        .address_space:  global
        .offset:         0
        .size:           8
        .value_kind:     global_buffer
      - .actual_access:  read_only
        .address_space:  global
        .offset:         8
        .size:           8
        .value_kind:     global_buffer
      - .actual_access:  read_only
        .address_space:  global
        .offset:         16
        .size:           8
        .value_kind:     global_buffer
      - .actual_access:  read_only
        .address_space:  global
        .offset:         24
        .size:           8
        .value_kind:     global_buffer
      - .actual_access:  read_only
        .address_space:  global
        .offset:         32
        .size:           8
        .value_kind:     global_buffer
      - .actual_access:  read_only
        .address_space:  global
        .offset:         40
        .size:           8
        .value_kind:     global_buffer
      - .offset:         48
        .size:           4
        .value_kind:     by_value
      - .offset:         52
        .size:           4
        .value_kind:     by_value
      - .offset:         56
        .size:           4
        .value_kind:     by_value
      - .offset:         60
        .size:           4
        .value_kind:     by_value
      - .offset:         64
        .size:           4
        .value_kind:     by_value
      - .offset:         68
        .size:           4
        .value_kind:     by_value
      - .offset:         72
        .size:           4
        .value_kind:     by_value
      - .offset:         76
        .size:           4
        .value_kind:     by_value
      - .offset:         80
        .size:           4
        .value_kind:     by_value
      - .offset:         84
        .size:           4
        .value_kind:     by_value
      - .offset:         88
        .size:           4
        .value_kind:     by_value
      - .offset:         92
        .size:           4
        .value_kind:     by_value
      - .offset:         96
        .size:           4
        .value_kind:     by_value
      - .offset:         100
        .size:           4
        .value_kind:     by_value
      - .offset:         104
        .size:           12
        .value_kind:     by_value
      - .offset:         116
        .size:           12
        .value_kind:     by_value
      - .offset:         128
        .size:           4
        .value_kind:     hidden_block_count_x
      - .offset:         132
        .size:           4
        .value_kind:     hidden_block_count_y
      - .offset:         136
        .size:           4
        .value_kind:     hidden_block_count_z
      - .offset:         140
        .size:           2
        .value_kind:     hidden_group_size_x
      - .offset:         142
        .size:           2
        .value_kind:     hidden_group_size_y
      - .offset:         144
        .size:           2
        .value_kind:     hidden_group_size_z
      - .offset:         146
        .size:           2
        .value_kind:     hidden_remainder_x
      - .offset:         148
        .size:           2
        .value_kind:     hidden_remainder_y
      - .offset:         150
        .size:           2
        .value_kind:     hidden_remainder_z
      - .offset:         168
        .size:           8
        .value_kind:     hidden_global_offset_x
      - .offset:         176
        .size:           8
        .value_kind:     hidden_global_offset_y
      - .offset:         184
        .size:           8
        .value_kind:     hidden_global_offset_z
      - .offset:         192
        .size:           2
        .value_kind:     hidden_grid_dims
      - .offset:         208
        .size:           8
        .value_kind:     hidden_hostcall_buffer
    .group_segment_fixed_size: 0
    .kernarg_segment_align: 8
    .kernarg_segment_size: 384
    .language:       OpenCL C
    .language_version:
      - 2
      - 0
    .max_flat_workgroup_size: 192
    .name:           _ZL13mul_mat_f_idsI7__half2Li32ELi14ELi3EEvPKT_PKfPKiS7_S7_Pfiiiiiiiiiiiiii15HIP_vector_typeIjLj3EESA_
    .private_segment_fixed_size: 16
    .sgpr_count:     40
    .sgpr_spill_count: 0
    .symbol:         _ZL13mul_mat_f_idsI7__half2Li32ELi14ELi3EEvPKT_PKfPKiS7_S7_Pfiiiiiiiiiiiiii15HIP_vector_typeIjLj3EESA_.kd
    .uniform_work_group_size: 1
    .uses_dynamic_stack: false
    .vgpr_count:     41
    .vgpr_spill_count: 0
    .wavefront_size: 64
  - .agpr_count:     0
    .args:
      - .actual_access:  read_only
        .address_space:  global
        .offset:         0
        .size:           8
        .value_kind:     global_buffer
      - .actual_access:  read_only
        .address_space:  global
        .offset:         8
        .size:           8
        .value_kind:     global_buffer
      - .actual_access:  read_only
        .address_space:  global
        .offset:         16
        .size:           8
        .value_kind:     global_buffer
      - .actual_access:  read_only
        .address_space:  global
        .offset:         24
        .size:           8
        .value_kind:     global_buffer
      - .offset:         32
        .size:           4
        .value_kind:     by_value
      - .offset:         36
        .size:           4
        .value_kind:     by_value
      - .offset:         40
        .size:           4
        .value_kind:     by_value
      - .offset:         44
        .size:           4
        .value_kind:     by_value
      - .offset:         48
        .size:           4
        .value_kind:     by_value
      - .offset:         52
        .size:           4
        .value_kind:     by_value
      - .offset:         56
        .size:           4
        .value_kind:     by_value
      - .offset:         60
        .size:           4
        .value_kind:     by_value
      - .offset:         64
        .size:           4
        .value_kind:     by_value
      - .offset:         68
        .size:           4
        .value_kind:     by_value
      - .offset:         72
        .size:           4
        .value_kind:     by_value
      - .offset:         76
        .size:           4
        .value_kind:     by_value
      - .offset:         80
        .size:           4
        .value_kind:     by_value
      - .offset:         84
        .size:           4
        .value_kind:     by_value
      - .offset:         88
        .size:           4
        .value_kind:     by_value
      - .offset:         92
        .size:           4
        .value_kind:     by_value
      - .offset:         96
        .size:           4
        .value_kind:     hidden_block_count_x
      - .offset:         100
        .size:           4
        .value_kind:     hidden_block_count_y
      - .offset:         104
        .size:           4
        .value_kind:     hidden_block_count_z
      - .offset:         108
        .size:           2
        .value_kind:     hidden_group_size_x
      - .offset:         110
        .size:           2
        .value_kind:     hidden_group_size_y
      - .offset:         112
        .size:           2
        .value_kind:     hidden_group_size_z
      - .offset:         114
        .size:           2
        .value_kind:     hidden_remainder_x
      - .offset:         116
        .size:           2
        .value_kind:     hidden_remainder_y
      - .offset:         118
        .size:           2
        .value_kind:     hidden_remainder_z
      - .offset:         136
        .size:           8
        .value_kind:     hidden_global_offset_x
      - .offset:         144
        .size:           8
        .value_kind:     hidden_global_offset_y
      - .offset:         152
        .size:           8
        .value_kind:     hidden_global_offset_z
      - .offset:         160
        .size:           2
        .value_kind:     hidden_grid_dims
      - .offset:         176
        .size:           8
        .value_kind:     hidden_hostcall_buffer
    .group_segment_fixed_size: 0
    .kernarg_segment_align: 8
    .kernarg_segment_size: 352
    .language:       OpenCL C
    .language_version:
      - 2
      - 0
    .max_flat_workgroup_size: 192
    .name:           _ZL9mul_mat_fI7__half2Li32ELi14ELi3ELb1EEvPKT_PKfPKiPfiiiiiiiiiiiiiiii
    .private_segment_fixed_size: 16
    .sgpr_count:     40
    .sgpr_spill_count: 0
    .symbol:         _ZL9mul_mat_fI7__half2Li32ELi14ELi3ELb1EEvPKT_PKfPKiPfiiiiiiiiiiiiiiii.kd
    .uniform_work_group_size: 1
    .uses_dynamic_stack: false
    .vgpr_count:     41
    .vgpr_spill_count: 0
    .wavefront_size: 64
  - .agpr_count:     0
    .args:
      - .actual_access:  read_only
        .address_space:  global
        .offset:         0
        .size:           8
        .value_kind:     global_buffer
      - .actual_access:  read_only
        .address_space:  global
        .offset:         8
        .size:           8
        .value_kind:     global_buffer
      - .actual_access:  read_only
        .address_space:  global
        .offset:         16
        .size:           8
        .value_kind:     global_buffer
      - .actual_access:  read_only
        .address_space:  global
        .offset:         24
        .size:           8
        .value_kind:     global_buffer
      - .offset:         32
        .size:           4
        .value_kind:     by_value
      - .offset:         36
        .size:           4
        .value_kind:     by_value
      - .offset:         40
        .size:           4
        .value_kind:     by_value
      - .offset:         44
        .size:           4
        .value_kind:     by_value
      - .offset:         48
        .size:           4
        .value_kind:     by_value
      - .offset:         52
        .size:           4
        .value_kind:     by_value
      - .offset:         56
        .size:           4
        .value_kind:     by_value
      - .offset:         60
        .size:           4
        .value_kind:     by_value
      - .offset:         64
        .size:           4
        .value_kind:     by_value
      - .offset:         68
        .size:           4
        .value_kind:     by_value
      - .offset:         72
        .size:           4
        .value_kind:     by_value
      - .offset:         76
        .size:           4
        .value_kind:     by_value
      - .offset:         80
        .size:           4
        .value_kind:     by_value
      - .offset:         84
        .size:           4
        .value_kind:     by_value
      - .offset:         88
        .size:           4
        .value_kind:     by_value
      - .offset:         92
        .size:           4
        .value_kind:     by_value
      - .offset:         96
        .size:           4
        .value_kind:     hidden_block_count_x
      - .offset:         100
        .size:           4
        .value_kind:     hidden_block_count_y
      - .offset:         104
        .size:           4
        .value_kind:     hidden_block_count_z
      - .offset:         108
        .size:           2
        .value_kind:     hidden_group_size_x
      - .offset:         110
        .size:           2
        .value_kind:     hidden_group_size_y
      - .offset:         112
        .size:           2
        .value_kind:     hidden_group_size_z
      - .offset:         114
        .size:           2
        .value_kind:     hidden_remainder_x
      - .offset:         116
        .size:           2
        .value_kind:     hidden_remainder_y
      - .offset:         118
        .size:           2
        .value_kind:     hidden_remainder_z
      - .offset:         136
        .size:           8
        .value_kind:     hidden_global_offset_x
      - .offset:         144
        .size:           8
        .value_kind:     hidden_global_offset_y
      - .offset:         152
        .size:           8
        .value_kind:     hidden_global_offset_z
      - .offset:         160
        .size:           2
        .value_kind:     hidden_grid_dims
      - .offset:         176
        .size:           8
        .value_kind:     hidden_hostcall_buffer
    .group_segment_fixed_size: 0
    .kernarg_segment_align: 8
    .kernarg_segment_size: 352
    .language:       OpenCL C
    .language_version:
      - 2
      - 0
    .max_flat_workgroup_size: 192
    .name:           _ZL9mul_mat_fI7__half2Li32ELi14ELi3ELb0EEvPKT_PKfPKiPfiiiiiiiiiiiiiiii
    .private_segment_fixed_size: 16
    .sgpr_count:     40
    .sgpr_spill_count: 0
    .symbol:         _ZL9mul_mat_fI7__half2Li32ELi14ELi3ELb0EEvPKT_PKfPKiPfiiiiiiiiiiiiiiii.kd
    .uniform_work_group_size: 1
    .uses_dynamic_stack: false
    .vgpr_count:     41
    .vgpr_spill_count: 0
    .wavefront_size: 64
  - .agpr_count:     0
    .args:
      - .actual_access:  read_only
        .address_space:  global
        .offset:         0
        .size:           8
        .value_kind:     global_buffer
      - .actual_access:  read_only
        .address_space:  global
        .offset:         8
        .size:           8
        .value_kind:     global_buffer
      - .actual_access:  read_only
        .address_space:  global
        .offset:         16
        .size:           8
        .value_kind:     global_buffer
      - .actual_access:  read_only
        .address_space:  global
        .offset:         24
        .size:           8
        .value_kind:     global_buffer
      - .actual_access:  read_only
        .address_space:  global
        .offset:         32
        .size:           8
        .value_kind:     global_buffer
      - .actual_access:  read_only
        .address_space:  global
        .offset:         40
        .size:           8
        .value_kind:     global_buffer
      - .offset:         48
        .size:           4
        .value_kind:     by_value
      - .offset:         52
        .size:           4
        .value_kind:     by_value
      - .offset:         56
        .size:           4
        .value_kind:     by_value
      - .offset:         60
        .size:           4
        .value_kind:     by_value
      - .offset:         64
        .size:           4
        .value_kind:     by_value
      - .offset:         68
        .size:           4
        .value_kind:     by_value
      - .offset:         72
        .size:           4
        .value_kind:     by_value
      - .offset:         76
        .size:           4
        .value_kind:     by_value
      - .offset:         80
        .size:           4
        .value_kind:     by_value
      - .offset:         84
        .size:           4
        .value_kind:     by_value
      - .offset:         88
        .size:           4
        .value_kind:     by_value
      - .offset:         92
        .size:           4
        .value_kind:     by_value
      - .offset:         96
        .size:           4
        .value_kind:     by_value
      - .offset:         100
        .size:           4
        .value_kind:     by_value
      - .offset:         104
        .size:           12
        .value_kind:     by_value
      - .offset:         116
        .size:           12
        .value_kind:     by_value
      - .offset:         128
        .size:           4
        .value_kind:     hidden_block_count_x
      - .offset:         132
        .size:           4
        .value_kind:     hidden_block_count_y
      - .offset:         136
        .size:           4
        .value_kind:     hidden_block_count_z
      - .offset:         140
        .size:           2
        .value_kind:     hidden_group_size_x
      - .offset:         142
        .size:           2
        .value_kind:     hidden_group_size_y
      - .offset:         144
        .size:           2
        .value_kind:     hidden_group_size_z
      - .offset:         146
        .size:           2
        .value_kind:     hidden_remainder_x
      - .offset:         148
        .size:           2
        .value_kind:     hidden_remainder_y
      - .offset:         150
        .size:           2
        .value_kind:     hidden_remainder_z
      - .offset:         168
        .size:           8
        .value_kind:     hidden_global_offset_x
      - .offset:         176
        .size:           8
        .value_kind:     hidden_global_offset_y
      - .offset:         184
        .size:           8
        .value_kind:     hidden_global_offset_z
      - .offset:         192
        .size:           2
        .value_kind:     hidden_grid_dims
      - .offset:         208
        .size:           8
        .value_kind:     hidden_hostcall_buffer
    .group_segment_fixed_size: 0
    .kernarg_segment_align: 8
    .kernarg_segment_size: 384
    .language:       OpenCL C
    .language_version:
      - 2
      - 0
    .max_flat_workgroup_size: 256
    .name:           _ZL13mul_mat_f_idsI7__half2Li32ELi14ELi4EEvPKT_PKfPKiS7_S7_Pfiiiiiiiiiiiiii15HIP_vector_typeIjLj3EESA_
    .private_segment_fixed_size: 16
    .sgpr_count:     40
    .sgpr_spill_count: 0
    .symbol:         _ZL13mul_mat_f_idsI7__half2Li32ELi14ELi4EEvPKT_PKfPKiS7_S7_Pfiiiiiiiiiiiiii15HIP_vector_typeIjLj3EESA_.kd
    .uniform_work_group_size: 1
    .uses_dynamic_stack: false
    .vgpr_count:     41
    .vgpr_spill_count: 0
    .wavefront_size: 64
  - .agpr_count:     0
    .args:
      - .actual_access:  read_only
        .address_space:  global
        .offset:         0
        .size:           8
        .value_kind:     global_buffer
      - .actual_access:  read_only
        .address_space:  global
        .offset:         8
        .size:           8
        .value_kind:     global_buffer
      - .actual_access:  read_only
        .address_space:  global
        .offset:         16
        .size:           8
        .value_kind:     global_buffer
      - .actual_access:  read_only
        .address_space:  global
        .offset:         24
        .size:           8
        .value_kind:     global_buffer
      - .offset:         32
        .size:           4
        .value_kind:     by_value
      - .offset:         36
        .size:           4
        .value_kind:     by_value
      - .offset:         40
        .size:           4
        .value_kind:     by_value
      - .offset:         44
        .size:           4
        .value_kind:     by_value
      - .offset:         48
        .size:           4
        .value_kind:     by_value
      - .offset:         52
        .size:           4
        .value_kind:     by_value
      - .offset:         56
        .size:           4
        .value_kind:     by_value
      - .offset:         60
        .size:           4
        .value_kind:     by_value
      - .offset:         64
        .size:           4
        .value_kind:     by_value
      - .offset:         68
        .size:           4
        .value_kind:     by_value
      - .offset:         72
        .size:           4
        .value_kind:     by_value
      - .offset:         76
        .size:           4
        .value_kind:     by_value
      - .offset:         80
        .size:           4
        .value_kind:     by_value
      - .offset:         84
        .size:           4
        .value_kind:     by_value
      - .offset:         88
        .size:           4
        .value_kind:     by_value
      - .offset:         92
        .size:           4
        .value_kind:     by_value
      - .offset:         96
        .size:           4
        .value_kind:     hidden_block_count_x
      - .offset:         100
        .size:           4
        .value_kind:     hidden_block_count_y
      - .offset:         104
        .size:           4
        .value_kind:     hidden_block_count_z
      - .offset:         108
        .size:           2
        .value_kind:     hidden_group_size_x
      - .offset:         110
        .size:           2
        .value_kind:     hidden_group_size_y
      - .offset:         112
        .size:           2
        .value_kind:     hidden_group_size_z
      - .offset:         114
        .size:           2
        .value_kind:     hidden_remainder_x
      - .offset:         116
        .size:           2
        .value_kind:     hidden_remainder_y
      - .offset:         118
        .size:           2
        .value_kind:     hidden_remainder_z
      - .offset:         136
        .size:           8
        .value_kind:     hidden_global_offset_x
      - .offset:         144
        .size:           8
        .value_kind:     hidden_global_offset_y
      - .offset:         152
        .size:           8
        .value_kind:     hidden_global_offset_z
      - .offset:         160
        .size:           2
        .value_kind:     hidden_grid_dims
      - .offset:         176
        .size:           8
        .value_kind:     hidden_hostcall_buffer
    .group_segment_fixed_size: 0
    .kernarg_segment_align: 8
    .kernarg_segment_size: 352
    .language:       OpenCL C
    .language_version:
      - 2
      - 0
    .max_flat_workgroup_size: 256
    .name:           _ZL9mul_mat_fI7__half2Li32ELi14ELi4ELb1EEvPKT_PKfPKiPfiiiiiiiiiiiiiiii
    .private_segment_fixed_size: 16
    .sgpr_count:     40
    .sgpr_spill_count: 0
    .symbol:         _ZL9mul_mat_fI7__half2Li32ELi14ELi4ELb1EEvPKT_PKfPKiPfiiiiiiiiiiiiiiii.kd
    .uniform_work_group_size: 1
    .uses_dynamic_stack: false
    .vgpr_count:     41
    .vgpr_spill_count: 0
    .wavefront_size: 64
  - .agpr_count:     0
    .args:
      - .actual_access:  read_only
        .address_space:  global
        .offset:         0
        .size:           8
        .value_kind:     global_buffer
      - .actual_access:  read_only
        .address_space:  global
        .offset:         8
        .size:           8
        .value_kind:     global_buffer
      - .actual_access:  read_only
        .address_space:  global
        .offset:         16
        .size:           8
        .value_kind:     global_buffer
      - .actual_access:  read_only
        .address_space:  global
        .offset:         24
        .size:           8
        .value_kind:     global_buffer
      - .offset:         32
        .size:           4
        .value_kind:     by_value
      - .offset:         36
        .size:           4
        .value_kind:     by_value
      - .offset:         40
        .size:           4
        .value_kind:     by_value
      - .offset:         44
        .size:           4
        .value_kind:     by_value
      - .offset:         48
        .size:           4
        .value_kind:     by_value
      - .offset:         52
        .size:           4
        .value_kind:     by_value
      - .offset:         56
        .size:           4
        .value_kind:     by_value
      - .offset:         60
        .size:           4
        .value_kind:     by_value
      - .offset:         64
        .size:           4
        .value_kind:     by_value
      - .offset:         68
        .size:           4
        .value_kind:     by_value
      - .offset:         72
        .size:           4
        .value_kind:     by_value
      - .offset:         76
        .size:           4
        .value_kind:     by_value
      - .offset:         80
        .size:           4
        .value_kind:     by_value
      - .offset:         84
        .size:           4
        .value_kind:     by_value
      - .offset:         88
        .size:           4
        .value_kind:     by_value
      - .offset:         92
        .size:           4
        .value_kind:     by_value
      - .offset:         96
        .size:           4
        .value_kind:     hidden_block_count_x
      - .offset:         100
        .size:           4
        .value_kind:     hidden_block_count_y
      - .offset:         104
        .size:           4
        .value_kind:     hidden_block_count_z
      - .offset:         108
        .size:           2
        .value_kind:     hidden_group_size_x
      - .offset:         110
        .size:           2
        .value_kind:     hidden_group_size_y
      - .offset:         112
        .size:           2
        .value_kind:     hidden_group_size_z
      - .offset:         114
        .size:           2
        .value_kind:     hidden_remainder_x
      - .offset:         116
        .size:           2
        .value_kind:     hidden_remainder_y
      - .offset:         118
        .size:           2
        .value_kind:     hidden_remainder_z
      - .offset:         136
        .size:           8
        .value_kind:     hidden_global_offset_x
      - .offset:         144
        .size:           8
        .value_kind:     hidden_global_offset_y
      - .offset:         152
        .size:           8
        .value_kind:     hidden_global_offset_z
      - .offset:         160
        .size:           2
        .value_kind:     hidden_grid_dims
      - .offset:         176
        .size:           8
        .value_kind:     hidden_hostcall_buffer
    .group_segment_fixed_size: 0
    .kernarg_segment_align: 8
    .kernarg_segment_size: 352
    .language:       OpenCL C
    .language_version:
      - 2
      - 0
    .max_flat_workgroup_size: 256
    .name:           _ZL9mul_mat_fI7__half2Li32ELi14ELi4ELb0EEvPKT_PKfPKiPfiiiiiiiiiiiiiiii
    .private_segment_fixed_size: 16
    .sgpr_count:     40
    .sgpr_spill_count: 0
    .symbol:         _ZL9mul_mat_fI7__half2Li32ELi14ELi4ELb0EEvPKT_PKfPKiPfiiiiiiiiiiiiiiii.kd
    .uniform_work_group_size: 1
    .uses_dynamic_stack: false
    .vgpr_count:     41
    .vgpr_spill_count: 0
    .wavefront_size: 64
  - .agpr_count:     0
    .args:
      - .actual_access:  read_only
        .address_space:  global
        .offset:         0
        .size:           8
        .value_kind:     global_buffer
      - .actual_access:  read_only
        .address_space:  global
        .offset:         8
        .size:           8
        .value_kind:     global_buffer
      - .actual_access:  read_only
        .address_space:  global
        .offset:         16
        .size:           8
        .value_kind:     global_buffer
      - .actual_access:  read_only
        .address_space:  global
        .offset:         24
        .size:           8
        .value_kind:     global_buffer
      - .actual_access:  read_only
        .address_space:  global
        .offset:         32
        .size:           8
        .value_kind:     global_buffer
      - .actual_access:  read_only
        .address_space:  global
        .offset:         40
        .size:           8
        .value_kind:     global_buffer
      - .offset:         48
        .size:           4
        .value_kind:     by_value
      - .offset:         52
        .size:           4
        .value_kind:     by_value
      - .offset:         56
        .size:           4
        .value_kind:     by_value
      - .offset:         60
        .size:           4
        .value_kind:     by_value
      - .offset:         64
        .size:           4
        .value_kind:     by_value
      - .offset:         68
        .size:           4
        .value_kind:     by_value
      - .offset:         72
        .size:           4
        .value_kind:     by_value
      - .offset:         76
        .size:           4
        .value_kind:     by_value
      - .offset:         80
        .size:           4
        .value_kind:     by_value
      - .offset:         84
        .size:           4
        .value_kind:     by_value
      - .offset:         88
        .size:           4
        .value_kind:     by_value
      - .offset:         92
        .size:           4
        .value_kind:     by_value
      - .offset:         96
        .size:           4
        .value_kind:     by_value
      - .offset:         100
        .size:           4
        .value_kind:     by_value
      - .offset:         104
        .size:           12
        .value_kind:     by_value
      - .offset:         116
        .size:           12
        .value_kind:     by_value
      - .offset:         128
        .size:           4
        .value_kind:     hidden_block_count_x
      - .offset:         132
        .size:           4
        .value_kind:     hidden_block_count_y
      - .offset:         136
        .size:           4
        .value_kind:     hidden_block_count_z
      - .offset:         140
        .size:           2
        .value_kind:     hidden_group_size_x
      - .offset:         142
        .size:           2
        .value_kind:     hidden_group_size_y
      - .offset:         144
        .size:           2
        .value_kind:     hidden_group_size_z
      - .offset:         146
        .size:           2
        .value_kind:     hidden_remainder_x
      - .offset:         148
        .size:           2
        .value_kind:     hidden_remainder_y
      - .offset:         150
        .size:           2
        .value_kind:     hidden_remainder_z
      - .offset:         168
        .size:           8
        .value_kind:     hidden_global_offset_x
      - .offset:         176
        .size:           8
        .value_kind:     hidden_global_offset_y
      - .offset:         184
        .size:           8
        .value_kind:     hidden_global_offset_z
      - .offset:         192
        .size:           2
        .value_kind:     hidden_grid_dims
      - .offset:         208
        .size:           8
        .value_kind:     hidden_hostcall_buffer
    .group_segment_fixed_size: 0
    .kernarg_segment_align: 8
    .kernarg_segment_size: 384
    .language:       OpenCL C
    .language_version:
      - 2
      - 0
    .max_flat_workgroup_size: 320
    .name:           _ZL13mul_mat_f_idsI7__half2Li32ELi14ELi5EEvPKT_PKfPKiS7_S7_Pfiiiiiiiiiiiiii15HIP_vector_typeIjLj3EESA_
    .private_segment_fixed_size: 16
    .sgpr_count:     40
    .sgpr_spill_count: 0
    .symbol:         _ZL13mul_mat_f_idsI7__half2Li32ELi14ELi5EEvPKT_PKfPKiS7_S7_Pfiiiiiiiiiiiiii15HIP_vector_typeIjLj3EESA_.kd
    .uniform_work_group_size: 1
    .uses_dynamic_stack: false
    .vgpr_count:     41
    .vgpr_spill_count: 0
    .wavefront_size: 64
  - .agpr_count:     0
    .args:
      - .actual_access:  read_only
        .address_space:  global
        .offset:         0
        .size:           8
        .value_kind:     global_buffer
      - .actual_access:  read_only
        .address_space:  global
        .offset:         8
        .size:           8
        .value_kind:     global_buffer
      - .actual_access:  read_only
        .address_space:  global
        .offset:         16
        .size:           8
        .value_kind:     global_buffer
      - .actual_access:  read_only
        .address_space:  global
        .offset:         24
        .size:           8
        .value_kind:     global_buffer
      - .offset:         32
        .size:           4
        .value_kind:     by_value
      - .offset:         36
        .size:           4
        .value_kind:     by_value
      - .offset:         40
        .size:           4
        .value_kind:     by_value
      - .offset:         44
        .size:           4
        .value_kind:     by_value
      - .offset:         48
        .size:           4
        .value_kind:     by_value
      - .offset:         52
        .size:           4
        .value_kind:     by_value
      - .offset:         56
        .size:           4
        .value_kind:     by_value
      - .offset:         60
        .size:           4
        .value_kind:     by_value
      - .offset:         64
        .size:           4
        .value_kind:     by_value
      - .offset:         68
        .size:           4
        .value_kind:     by_value
      - .offset:         72
        .size:           4
        .value_kind:     by_value
      - .offset:         76
        .size:           4
        .value_kind:     by_value
      - .offset:         80
        .size:           4
        .value_kind:     by_value
      - .offset:         84
        .size:           4
        .value_kind:     by_value
      - .offset:         88
        .size:           4
        .value_kind:     by_value
      - .offset:         92
        .size:           4
        .value_kind:     by_value
      - .offset:         96
        .size:           4
        .value_kind:     hidden_block_count_x
      - .offset:         100
        .size:           4
        .value_kind:     hidden_block_count_y
      - .offset:         104
        .size:           4
        .value_kind:     hidden_block_count_z
      - .offset:         108
        .size:           2
        .value_kind:     hidden_group_size_x
      - .offset:         110
        .size:           2
        .value_kind:     hidden_group_size_y
      - .offset:         112
        .size:           2
        .value_kind:     hidden_group_size_z
      - .offset:         114
        .size:           2
        .value_kind:     hidden_remainder_x
      - .offset:         116
        .size:           2
        .value_kind:     hidden_remainder_y
      - .offset:         118
        .size:           2
        .value_kind:     hidden_remainder_z
      - .offset:         136
        .size:           8
        .value_kind:     hidden_global_offset_x
      - .offset:         144
        .size:           8
        .value_kind:     hidden_global_offset_y
      - .offset:         152
        .size:           8
        .value_kind:     hidden_global_offset_z
      - .offset:         160
        .size:           2
        .value_kind:     hidden_grid_dims
      - .offset:         176
        .size:           8
        .value_kind:     hidden_hostcall_buffer
    .group_segment_fixed_size: 0
    .kernarg_segment_align: 8
    .kernarg_segment_size: 352
    .language:       OpenCL C
    .language_version:
      - 2
      - 0
    .max_flat_workgroup_size: 320
    .name:           _ZL9mul_mat_fI7__half2Li32ELi14ELi5ELb1EEvPKT_PKfPKiPfiiiiiiiiiiiiiiii
    .private_segment_fixed_size: 16
    .sgpr_count:     40
    .sgpr_spill_count: 0
    .symbol:         _ZL9mul_mat_fI7__half2Li32ELi14ELi5ELb1EEvPKT_PKfPKiPfiiiiiiiiiiiiiiii.kd
    .uniform_work_group_size: 1
    .uses_dynamic_stack: false
    .vgpr_count:     41
    .vgpr_spill_count: 0
    .wavefront_size: 64
  - .agpr_count:     0
    .args:
      - .actual_access:  read_only
        .address_space:  global
        .offset:         0
        .size:           8
        .value_kind:     global_buffer
      - .actual_access:  read_only
        .address_space:  global
        .offset:         8
        .size:           8
        .value_kind:     global_buffer
      - .actual_access:  read_only
        .address_space:  global
        .offset:         16
        .size:           8
        .value_kind:     global_buffer
      - .actual_access:  read_only
        .address_space:  global
        .offset:         24
        .size:           8
        .value_kind:     global_buffer
      - .offset:         32
        .size:           4
        .value_kind:     by_value
      - .offset:         36
        .size:           4
        .value_kind:     by_value
      - .offset:         40
        .size:           4
        .value_kind:     by_value
      - .offset:         44
        .size:           4
        .value_kind:     by_value
      - .offset:         48
        .size:           4
        .value_kind:     by_value
      - .offset:         52
        .size:           4
        .value_kind:     by_value
      - .offset:         56
        .size:           4
        .value_kind:     by_value
      - .offset:         60
        .size:           4
        .value_kind:     by_value
      - .offset:         64
        .size:           4
        .value_kind:     by_value
      - .offset:         68
        .size:           4
        .value_kind:     by_value
      - .offset:         72
        .size:           4
        .value_kind:     by_value
      - .offset:         76
        .size:           4
        .value_kind:     by_value
      - .offset:         80
        .size:           4
        .value_kind:     by_value
      - .offset:         84
        .size:           4
        .value_kind:     by_value
      - .offset:         88
        .size:           4
        .value_kind:     by_value
      - .offset:         92
        .size:           4
        .value_kind:     by_value
      - .offset:         96
        .size:           4
        .value_kind:     hidden_block_count_x
      - .offset:         100
        .size:           4
        .value_kind:     hidden_block_count_y
      - .offset:         104
        .size:           4
        .value_kind:     hidden_block_count_z
      - .offset:         108
        .size:           2
        .value_kind:     hidden_group_size_x
      - .offset:         110
        .size:           2
        .value_kind:     hidden_group_size_y
      - .offset:         112
        .size:           2
        .value_kind:     hidden_group_size_z
      - .offset:         114
        .size:           2
        .value_kind:     hidden_remainder_x
      - .offset:         116
        .size:           2
        .value_kind:     hidden_remainder_y
      - .offset:         118
        .size:           2
        .value_kind:     hidden_remainder_z
      - .offset:         136
        .size:           8
        .value_kind:     hidden_global_offset_x
      - .offset:         144
        .size:           8
        .value_kind:     hidden_global_offset_y
      - .offset:         152
        .size:           8
        .value_kind:     hidden_global_offset_z
      - .offset:         160
        .size:           2
        .value_kind:     hidden_grid_dims
      - .offset:         176
        .size:           8
        .value_kind:     hidden_hostcall_buffer
    .group_segment_fixed_size: 0
    .kernarg_segment_align: 8
    .kernarg_segment_size: 352
    .language:       OpenCL C
    .language_version:
      - 2
      - 0
    .max_flat_workgroup_size: 320
    .name:           _ZL9mul_mat_fI7__half2Li32ELi14ELi5ELb0EEvPKT_PKfPKiPfiiiiiiiiiiiiiiii
    .private_segment_fixed_size: 16
    .sgpr_count:     40
    .sgpr_spill_count: 0
    .symbol:         _ZL9mul_mat_fI7__half2Li32ELi14ELi5ELb0EEvPKT_PKfPKiPfiiiiiiiiiiiiiiii.kd
    .uniform_work_group_size: 1
    .uses_dynamic_stack: false
    .vgpr_count:     41
    .vgpr_spill_count: 0
    .wavefront_size: 64
  - .agpr_count:     0
    .args:
      - .actual_access:  read_only
        .address_space:  global
        .offset:         0
        .size:           8
        .value_kind:     global_buffer
      - .actual_access:  read_only
        .address_space:  global
        .offset:         8
        .size:           8
        .value_kind:     global_buffer
      - .actual_access:  read_only
        .address_space:  global
        .offset:         16
        .size:           8
        .value_kind:     global_buffer
      - .actual_access:  read_only
        .address_space:  global
        .offset:         24
        .size:           8
        .value_kind:     global_buffer
      - .actual_access:  read_only
        .address_space:  global
        .offset:         32
        .size:           8
        .value_kind:     global_buffer
      - .actual_access:  read_only
        .address_space:  global
        .offset:         40
        .size:           8
        .value_kind:     global_buffer
      - .offset:         48
        .size:           4
        .value_kind:     by_value
      - .offset:         52
        .size:           4
        .value_kind:     by_value
      - .offset:         56
        .size:           4
        .value_kind:     by_value
      - .offset:         60
        .size:           4
        .value_kind:     by_value
      - .offset:         64
        .size:           4
        .value_kind:     by_value
      - .offset:         68
        .size:           4
        .value_kind:     by_value
      - .offset:         72
        .size:           4
        .value_kind:     by_value
      - .offset:         76
        .size:           4
        .value_kind:     by_value
      - .offset:         80
        .size:           4
        .value_kind:     by_value
      - .offset:         84
        .size:           4
        .value_kind:     by_value
      - .offset:         88
        .size:           4
        .value_kind:     by_value
      - .offset:         92
        .size:           4
        .value_kind:     by_value
      - .offset:         96
        .size:           4
        .value_kind:     by_value
      - .offset:         100
        .size:           4
        .value_kind:     by_value
      - .offset:         104
        .size:           12
        .value_kind:     by_value
      - .offset:         116
        .size:           12
        .value_kind:     by_value
      - .offset:         128
        .size:           4
        .value_kind:     hidden_block_count_x
      - .offset:         132
        .size:           4
        .value_kind:     hidden_block_count_y
      - .offset:         136
        .size:           4
        .value_kind:     hidden_block_count_z
      - .offset:         140
        .size:           2
        .value_kind:     hidden_group_size_x
      - .offset:         142
        .size:           2
        .value_kind:     hidden_group_size_y
      - .offset:         144
        .size:           2
        .value_kind:     hidden_group_size_z
      - .offset:         146
        .size:           2
        .value_kind:     hidden_remainder_x
      - .offset:         148
        .size:           2
        .value_kind:     hidden_remainder_y
      - .offset:         150
        .size:           2
        .value_kind:     hidden_remainder_z
      - .offset:         168
        .size:           8
        .value_kind:     hidden_global_offset_x
      - .offset:         176
        .size:           8
        .value_kind:     hidden_global_offset_y
      - .offset:         184
        .size:           8
        .value_kind:     hidden_global_offset_z
      - .offset:         192
        .size:           2
        .value_kind:     hidden_grid_dims
      - .offset:         208
        .size:           8
        .value_kind:     hidden_hostcall_buffer
    .group_segment_fixed_size: 0
    .kernarg_segment_align: 8
    .kernarg_segment_size: 384
    .language:       OpenCL C
    .language_version:
      - 2
      - 0
    .max_flat_workgroup_size: 384
    .name:           _ZL13mul_mat_f_idsI7__half2Li32ELi14ELi6EEvPKT_PKfPKiS7_S7_Pfiiiiiiiiiiiiii15HIP_vector_typeIjLj3EESA_
    .private_segment_fixed_size: 16
    .sgpr_count:     40
    .sgpr_spill_count: 0
    .symbol:         _ZL13mul_mat_f_idsI7__half2Li32ELi14ELi6EEvPKT_PKfPKiS7_S7_Pfiiiiiiiiiiiiii15HIP_vector_typeIjLj3EESA_.kd
    .uniform_work_group_size: 1
    .uses_dynamic_stack: false
    .vgpr_count:     41
    .vgpr_spill_count: 0
    .wavefront_size: 64
  - .agpr_count:     0
    .args:
      - .actual_access:  read_only
        .address_space:  global
        .offset:         0
        .size:           8
        .value_kind:     global_buffer
      - .actual_access:  read_only
        .address_space:  global
        .offset:         8
        .size:           8
        .value_kind:     global_buffer
      - .actual_access:  read_only
        .address_space:  global
        .offset:         16
        .size:           8
        .value_kind:     global_buffer
      - .actual_access:  read_only
        .address_space:  global
        .offset:         24
        .size:           8
        .value_kind:     global_buffer
      - .offset:         32
        .size:           4
        .value_kind:     by_value
      - .offset:         36
        .size:           4
        .value_kind:     by_value
      - .offset:         40
        .size:           4
        .value_kind:     by_value
      - .offset:         44
        .size:           4
        .value_kind:     by_value
      - .offset:         48
        .size:           4
        .value_kind:     by_value
      - .offset:         52
        .size:           4
        .value_kind:     by_value
      - .offset:         56
        .size:           4
        .value_kind:     by_value
      - .offset:         60
        .size:           4
        .value_kind:     by_value
      - .offset:         64
        .size:           4
        .value_kind:     by_value
      - .offset:         68
        .size:           4
        .value_kind:     by_value
      - .offset:         72
        .size:           4
        .value_kind:     by_value
      - .offset:         76
        .size:           4
        .value_kind:     by_value
      - .offset:         80
        .size:           4
        .value_kind:     by_value
      - .offset:         84
        .size:           4
        .value_kind:     by_value
      - .offset:         88
        .size:           4
        .value_kind:     by_value
      - .offset:         92
        .size:           4
        .value_kind:     by_value
      - .offset:         96
        .size:           4
        .value_kind:     hidden_block_count_x
      - .offset:         100
        .size:           4
        .value_kind:     hidden_block_count_y
      - .offset:         104
        .size:           4
        .value_kind:     hidden_block_count_z
      - .offset:         108
        .size:           2
        .value_kind:     hidden_group_size_x
      - .offset:         110
        .size:           2
        .value_kind:     hidden_group_size_y
      - .offset:         112
        .size:           2
        .value_kind:     hidden_group_size_z
      - .offset:         114
        .size:           2
        .value_kind:     hidden_remainder_x
      - .offset:         116
        .size:           2
        .value_kind:     hidden_remainder_y
      - .offset:         118
        .size:           2
        .value_kind:     hidden_remainder_z
      - .offset:         136
        .size:           8
        .value_kind:     hidden_global_offset_x
      - .offset:         144
        .size:           8
        .value_kind:     hidden_global_offset_y
      - .offset:         152
        .size:           8
        .value_kind:     hidden_global_offset_z
      - .offset:         160
        .size:           2
        .value_kind:     hidden_grid_dims
      - .offset:         176
        .size:           8
        .value_kind:     hidden_hostcall_buffer
    .group_segment_fixed_size: 0
    .kernarg_segment_align: 8
    .kernarg_segment_size: 352
    .language:       OpenCL C
    .language_version:
      - 2
      - 0
    .max_flat_workgroup_size: 384
    .name:           _ZL9mul_mat_fI7__half2Li32ELi14ELi6ELb1EEvPKT_PKfPKiPfiiiiiiiiiiiiiiii
    .private_segment_fixed_size: 16
    .sgpr_count:     40
    .sgpr_spill_count: 0
    .symbol:         _ZL9mul_mat_fI7__half2Li32ELi14ELi6ELb1EEvPKT_PKfPKiPfiiiiiiiiiiiiiiii.kd
    .uniform_work_group_size: 1
    .uses_dynamic_stack: false
    .vgpr_count:     41
    .vgpr_spill_count: 0
    .wavefront_size: 64
  - .agpr_count:     0
    .args:
      - .actual_access:  read_only
        .address_space:  global
        .offset:         0
        .size:           8
        .value_kind:     global_buffer
      - .actual_access:  read_only
        .address_space:  global
        .offset:         8
        .size:           8
        .value_kind:     global_buffer
      - .actual_access:  read_only
        .address_space:  global
        .offset:         16
        .size:           8
        .value_kind:     global_buffer
      - .actual_access:  read_only
        .address_space:  global
        .offset:         24
        .size:           8
        .value_kind:     global_buffer
      - .offset:         32
        .size:           4
        .value_kind:     by_value
      - .offset:         36
        .size:           4
        .value_kind:     by_value
      - .offset:         40
        .size:           4
        .value_kind:     by_value
      - .offset:         44
        .size:           4
        .value_kind:     by_value
      - .offset:         48
        .size:           4
        .value_kind:     by_value
      - .offset:         52
        .size:           4
        .value_kind:     by_value
      - .offset:         56
        .size:           4
        .value_kind:     by_value
      - .offset:         60
        .size:           4
        .value_kind:     by_value
      - .offset:         64
        .size:           4
        .value_kind:     by_value
      - .offset:         68
        .size:           4
        .value_kind:     by_value
      - .offset:         72
        .size:           4
        .value_kind:     by_value
      - .offset:         76
        .size:           4
        .value_kind:     by_value
      - .offset:         80
        .size:           4
        .value_kind:     by_value
      - .offset:         84
        .size:           4
        .value_kind:     by_value
      - .offset:         88
        .size:           4
        .value_kind:     by_value
      - .offset:         92
        .size:           4
        .value_kind:     by_value
      - .offset:         96
        .size:           4
        .value_kind:     hidden_block_count_x
      - .offset:         100
        .size:           4
        .value_kind:     hidden_block_count_y
      - .offset:         104
        .size:           4
        .value_kind:     hidden_block_count_z
      - .offset:         108
        .size:           2
        .value_kind:     hidden_group_size_x
      - .offset:         110
        .size:           2
        .value_kind:     hidden_group_size_y
      - .offset:         112
        .size:           2
        .value_kind:     hidden_group_size_z
      - .offset:         114
        .size:           2
        .value_kind:     hidden_remainder_x
      - .offset:         116
        .size:           2
        .value_kind:     hidden_remainder_y
      - .offset:         118
        .size:           2
        .value_kind:     hidden_remainder_z
      - .offset:         136
        .size:           8
        .value_kind:     hidden_global_offset_x
      - .offset:         144
        .size:           8
        .value_kind:     hidden_global_offset_y
      - .offset:         152
        .size:           8
        .value_kind:     hidden_global_offset_z
      - .offset:         160
        .size:           2
        .value_kind:     hidden_grid_dims
      - .offset:         176
        .size:           8
        .value_kind:     hidden_hostcall_buffer
    .group_segment_fixed_size: 0
    .kernarg_segment_align: 8
    .kernarg_segment_size: 352
    .language:       OpenCL C
    .language_version:
      - 2
      - 0
    .max_flat_workgroup_size: 384
    .name:           _ZL9mul_mat_fI7__half2Li32ELi14ELi6ELb0EEvPKT_PKfPKiPfiiiiiiiiiiiiiiii
    .private_segment_fixed_size: 16
    .sgpr_count:     40
    .sgpr_spill_count: 0
    .symbol:         _ZL9mul_mat_fI7__half2Li32ELi14ELi6ELb0EEvPKT_PKfPKiPfiiiiiiiiiiiiiiii.kd
    .uniform_work_group_size: 1
    .uses_dynamic_stack: false
    .vgpr_count:     41
    .vgpr_spill_count: 0
    .wavefront_size: 64
  - .agpr_count:     0
    .args:
      - .actual_access:  read_only
        .address_space:  global
        .offset:         0
        .size:           8
        .value_kind:     global_buffer
      - .actual_access:  read_only
        .address_space:  global
        .offset:         8
        .size:           8
        .value_kind:     global_buffer
      - .actual_access:  read_only
        .address_space:  global
        .offset:         16
        .size:           8
        .value_kind:     global_buffer
      - .actual_access:  read_only
        .address_space:  global
        .offset:         24
        .size:           8
        .value_kind:     global_buffer
      - .actual_access:  read_only
        .address_space:  global
        .offset:         32
        .size:           8
        .value_kind:     global_buffer
      - .actual_access:  read_only
        .address_space:  global
        .offset:         40
        .size:           8
        .value_kind:     global_buffer
      - .offset:         48
        .size:           4
        .value_kind:     by_value
      - .offset:         52
        .size:           4
        .value_kind:     by_value
      - .offset:         56
        .size:           4
        .value_kind:     by_value
      - .offset:         60
        .size:           4
        .value_kind:     by_value
      - .offset:         64
        .size:           4
        .value_kind:     by_value
      - .offset:         68
        .size:           4
        .value_kind:     by_value
      - .offset:         72
        .size:           4
        .value_kind:     by_value
      - .offset:         76
        .size:           4
        .value_kind:     by_value
      - .offset:         80
        .size:           4
        .value_kind:     by_value
      - .offset:         84
        .size:           4
        .value_kind:     by_value
      - .offset:         88
        .size:           4
        .value_kind:     by_value
      - .offset:         92
        .size:           4
        .value_kind:     by_value
      - .offset:         96
        .size:           4
        .value_kind:     by_value
      - .offset:         100
        .size:           4
        .value_kind:     by_value
      - .offset:         104
        .size:           12
        .value_kind:     by_value
      - .offset:         116
        .size:           12
        .value_kind:     by_value
      - .offset:         128
        .size:           4
        .value_kind:     hidden_block_count_x
      - .offset:         132
        .size:           4
        .value_kind:     hidden_block_count_y
      - .offset:         136
        .size:           4
        .value_kind:     hidden_block_count_z
      - .offset:         140
        .size:           2
        .value_kind:     hidden_group_size_x
      - .offset:         142
        .size:           2
        .value_kind:     hidden_group_size_y
      - .offset:         144
        .size:           2
        .value_kind:     hidden_group_size_z
      - .offset:         146
        .size:           2
        .value_kind:     hidden_remainder_x
      - .offset:         148
        .size:           2
        .value_kind:     hidden_remainder_y
      - .offset:         150
        .size:           2
        .value_kind:     hidden_remainder_z
      - .offset:         168
        .size:           8
        .value_kind:     hidden_global_offset_x
      - .offset:         176
        .size:           8
        .value_kind:     hidden_global_offset_y
      - .offset:         184
        .size:           8
        .value_kind:     hidden_global_offset_z
      - .offset:         192
        .size:           2
        .value_kind:     hidden_grid_dims
      - .offset:         208
        .size:           8
        .value_kind:     hidden_hostcall_buffer
    .group_segment_fixed_size: 0
    .kernarg_segment_align: 8
    .kernarg_segment_size: 384
    .language:       OpenCL C
    .language_version:
      - 2
      - 0
    .max_flat_workgroup_size: 448
    .name:           _ZL13mul_mat_f_idsI7__half2Li32ELi14ELi7EEvPKT_PKfPKiS7_S7_Pfiiiiiiiiiiiiii15HIP_vector_typeIjLj3EESA_
    .private_segment_fixed_size: 16
    .sgpr_count:     40
    .sgpr_spill_count: 0
    .symbol:         _ZL13mul_mat_f_idsI7__half2Li32ELi14ELi7EEvPKT_PKfPKiS7_S7_Pfiiiiiiiiiiiiii15HIP_vector_typeIjLj3EESA_.kd
    .uniform_work_group_size: 1
    .uses_dynamic_stack: false
    .vgpr_count:     41
    .vgpr_spill_count: 0
    .wavefront_size: 64
  - .agpr_count:     0
    .args:
      - .actual_access:  read_only
        .address_space:  global
        .offset:         0
        .size:           8
        .value_kind:     global_buffer
      - .actual_access:  read_only
        .address_space:  global
        .offset:         8
        .size:           8
        .value_kind:     global_buffer
      - .actual_access:  read_only
        .address_space:  global
        .offset:         16
        .size:           8
        .value_kind:     global_buffer
      - .actual_access:  read_only
        .address_space:  global
        .offset:         24
        .size:           8
        .value_kind:     global_buffer
      - .offset:         32
        .size:           4
        .value_kind:     by_value
      - .offset:         36
        .size:           4
        .value_kind:     by_value
      - .offset:         40
        .size:           4
        .value_kind:     by_value
      - .offset:         44
        .size:           4
        .value_kind:     by_value
      - .offset:         48
        .size:           4
        .value_kind:     by_value
      - .offset:         52
        .size:           4
        .value_kind:     by_value
      - .offset:         56
        .size:           4
        .value_kind:     by_value
      - .offset:         60
        .size:           4
        .value_kind:     by_value
      - .offset:         64
        .size:           4
        .value_kind:     by_value
      - .offset:         68
        .size:           4
        .value_kind:     by_value
      - .offset:         72
        .size:           4
        .value_kind:     by_value
      - .offset:         76
        .size:           4
        .value_kind:     by_value
      - .offset:         80
        .size:           4
        .value_kind:     by_value
      - .offset:         84
        .size:           4
        .value_kind:     by_value
      - .offset:         88
        .size:           4
        .value_kind:     by_value
      - .offset:         92
        .size:           4
        .value_kind:     by_value
      - .offset:         96
        .size:           4
        .value_kind:     hidden_block_count_x
      - .offset:         100
        .size:           4
        .value_kind:     hidden_block_count_y
      - .offset:         104
        .size:           4
        .value_kind:     hidden_block_count_z
      - .offset:         108
        .size:           2
        .value_kind:     hidden_group_size_x
      - .offset:         110
        .size:           2
        .value_kind:     hidden_group_size_y
      - .offset:         112
        .size:           2
        .value_kind:     hidden_group_size_z
      - .offset:         114
        .size:           2
        .value_kind:     hidden_remainder_x
      - .offset:         116
        .size:           2
        .value_kind:     hidden_remainder_y
      - .offset:         118
        .size:           2
        .value_kind:     hidden_remainder_z
      - .offset:         136
        .size:           8
        .value_kind:     hidden_global_offset_x
      - .offset:         144
        .size:           8
        .value_kind:     hidden_global_offset_y
      - .offset:         152
        .size:           8
        .value_kind:     hidden_global_offset_z
      - .offset:         160
        .size:           2
        .value_kind:     hidden_grid_dims
      - .offset:         176
        .size:           8
        .value_kind:     hidden_hostcall_buffer
    .group_segment_fixed_size: 0
    .kernarg_segment_align: 8
    .kernarg_segment_size: 352
    .language:       OpenCL C
    .language_version:
      - 2
      - 0
    .max_flat_workgroup_size: 448
    .name:           _ZL9mul_mat_fI7__half2Li32ELi14ELi7ELb1EEvPKT_PKfPKiPfiiiiiiiiiiiiiiii
    .private_segment_fixed_size: 16
    .sgpr_count:     40
    .sgpr_spill_count: 0
    .symbol:         _ZL9mul_mat_fI7__half2Li32ELi14ELi7ELb1EEvPKT_PKfPKiPfiiiiiiiiiiiiiiii.kd
    .uniform_work_group_size: 1
    .uses_dynamic_stack: false
    .vgpr_count:     41
    .vgpr_spill_count: 0
    .wavefront_size: 64
  - .agpr_count:     0
    .args:
      - .actual_access:  read_only
        .address_space:  global
        .offset:         0
        .size:           8
        .value_kind:     global_buffer
      - .actual_access:  read_only
        .address_space:  global
        .offset:         8
        .size:           8
        .value_kind:     global_buffer
      - .actual_access:  read_only
        .address_space:  global
        .offset:         16
        .size:           8
        .value_kind:     global_buffer
      - .actual_access:  read_only
        .address_space:  global
        .offset:         24
        .size:           8
        .value_kind:     global_buffer
      - .offset:         32
        .size:           4
        .value_kind:     by_value
      - .offset:         36
        .size:           4
        .value_kind:     by_value
      - .offset:         40
        .size:           4
        .value_kind:     by_value
      - .offset:         44
        .size:           4
        .value_kind:     by_value
      - .offset:         48
        .size:           4
        .value_kind:     by_value
      - .offset:         52
        .size:           4
        .value_kind:     by_value
      - .offset:         56
        .size:           4
        .value_kind:     by_value
      - .offset:         60
        .size:           4
        .value_kind:     by_value
      - .offset:         64
        .size:           4
        .value_kind:     by_value
      - .offset:         68
        .size:           4
        .value_kind:     by_value
      - .offset:         72
        .size:           4
        .value_kind:     by_value
      - .offset:         76
        .size:           4
        .value_kind:     by_value
      - .offset:         80
        .size:           4
        .value_kind:     by_value
      - .offset:         84
        .size:           4
        .value_kind:     by_value
      - .offset:         88
        .size:           4
        .value_kind:     by_value
      - .offset:         92
        .size:           4
        .value_kind:     by_value
      - .offset:         96
        .size:           4
        .value_kind:     hidden_block_count_x
      - .offset:         100
        .size:           4
        .value_kind:     hidden_block_count_y
      - .offset:         104
        .size:           4
        .value_kind:     hidden_block_count_z
      - .offset:         108
        .size:           2
        .value_kind:     hidden_group_size_x
      - .offset:         110
        .size:           2
        .value_kind:     hidden_group_size_y
      - .offset:         112
        .size:           2
        .value_kind:     hidden_group_size_z
      - .offset:         114
        .size:           2
        .value_kind:     hidden_remainder_x
      - .offset:         116
        .size:           2
        .value_kind:     hidden_remainder_y
      - .offset:         118
        .size:           2
        .value_kind:     hidden_remainder_z
      - .offset:         136
        .size:           8
        .value_kind:     hidden_global_offset_x
      - .offset:         144
        .size:           8
        .value_kind:     hidden_global_offset_y
      - .offset:         152
        .size:           8
        .value_kind:     hidden_global_offset_z
      - .offset:         160
        .size:           2
        .value_kind:     hidden_grid_dims
      - .offset:         176
        .size:           8
        .value_kind:     hidden_hostcall_buffer
    .group_segment_fixed_size: 0
    .kernarg_segment_align: 8
    .kernarg_segment_size: 352
    .language:       OpenCL C
    .language_version:
      - 2
      - 0
    .max_flat_workgroup_size: 448
    .name:           _ZL9mul_mat_fI7__half2Li32ELi14ELi7ELb0EEvPKT_PKfPKiPfiiiiiiiiiiiiiiii
    .private_segment_fixed_size: 16
    .sgpr_count:     40
    .sgpr_spill_count: 0
    .symbol:         _ZL9mul_mat_fI7__half2Li32ELi14ELi7ELb0EEvPKT_PKfPKiPfiiiiiiiiiiiiiiii.kd
    .uniform_work_group_size: 1
    .uses_dynamic_stack: false
    .vgpr_count:     41
    .vgpr_spill_count: 0
    .wavefront_size: 64
  - .agpr_count:     0
    .args:
      - .actual_access:  read_only
        .address_space:  global
        .offset:         0
        .size:           8
        .value_kind:     global_buffer
      - .actual_access:  read_only
        .address_space:  global
        .offset:         8
        .size:           8
        .value_kind:     global_buffer
      - .actual_access:  read_only
        .address_space:  global
        .offset:         16
        .size:           8
        .value_kind:     global_buffer
      - .actual_access:  read_only
        .address_space:  global
        .offset:         24
        .size:           8
        .value_kind:     global_buffer
      - .actual_access:  read_only
        .address_space:  global
        .offset:         32
        .size:           8
        .value_kind:     global_buffer
      - .actual_access:  read_only
        .address_space:  global
        .offset:         40
        .size:           8
        .value_kind:     global_buffer
      - .offset:         48
        .size:           4
        .value_kind:     by_value
      - .offset:         52
        .size:           4
        .value_kind:     by_value
      - .offset:         56
        .size:           4
        .value_kind:     by_value
      - .offset:         60
        .size:           4
        .value_kind:     by_value
      - .offset:         64
        .size:           4
        .value_kind:     by_value
      - .offset:         68
        .size:           4
        .value_kind:     by_value
      - .offset:         72
        .size:           4
        .value_kind:     by_value
      - .offset:         76
        .size:           4
        .value_kind:     by_value
      - .offset:         80
        .size:           4
        .value_kind:     by_value
      - .offset:         84
        .size:           4
        .value_kind:     by_value
      - .offset:         88
        .size:           4
        .value_kind:     by_value
      - .offset:         92
        .size:           4
        .value_kind:     by_value
      - .offset:         96
        .size:           4
        .value_kind:     by_value
      - .offset:         100
        .size:           4
        .value_kind:     by_value
      - .offset:         104
        .size:           12
        .value_kind:     by_value
      - .offset:         116
        .size:           12
        .value_kind:     by_value
      - .offset:         128
        .size:           4
        .value_kind:     hidden_block_count_x
      - .offset:         132
        .size:           4
        .value_kind:     hidden_block_count_y
      - .offset:         136
        .size:           4
        .value_kind:     hidden_block_count_z
      - .offset:         140
        .size:           2
        .value_kind:     hidden_group_size_x
      - .offset:         142
        .size:           2
        .value_kind:     hidden_group_size_y
      - .offset:         144
        .size:           2
        .value_kind:     hidden_group_size_z
      - .offset:         146
        .size:           2
        .value_kind:     hidden_remainder_x
      - .offset:         148
        .size:           2
        .value_kind:     hidden_remainder_y
      - .offset:         150
        .size:           2
        .value_kind:     hidden_remainder_z
      - .offset:         168
        .size:           8
        .value_kind:     hidden_global_offset_x
      - .offset:         176
        .size:           8
        .value_kind:     hidden_global_offset_y
      - .offset:         184
        .size:           8
        .value_kind:     hidden_global_offset_z
      - .offset:         192
        .size:           2
        .value_kind:     hidden_grid_dims
      - .offset:         208
        .size:           8
        .value_kind:     hidden_hostcall_buffer
    .group_segment_fixed_size: 0
    .kernarg_segment_align: 8
    .kernarg_segment_size: 384
    .language:       OpenCL C
    .language_version:
      - 2
      - 0
    .max_flat_workgroup_size: 512
    .name:           _ZL13mul_mat_f_idsI7__half2Li32ELi14ELi8EEvPKT_PKfPKiS7_S7_Pfiiiiiiiiiiiiii15HIP_vector_typeIjLj3EESA_
    .private_segment_fixed_size: 16
    .sgpr_count:     40
    .sgpr_spill_count: 0
    .symbol:         _ZL13mul_mat_f_idsI7__half2Li32ELi14ELi8EEvPKT_PKfPKiS7_S7_Pfiiiiiiiiiiiiii15HIP_vector_typeIjLj3EESA_.kd
    .uniform_work_group_size: 1
    .uses_dynamic_stack: false
    .vgpr_count:     41
    .vgpr_spill_count: 0
    .wavefront_size: 64
  - .agpr_count:     0
    .args:
      - .actual_access:  read_only
        .address_space:  global
        .offset:         0
        .size:           8
        .value_kind:     global_buffer
      - .actual_access:  read_only
        .address_space:  global
        .offset:         8
        .size:           8
        .value_kind:     global_buffer
      - .actual_access:  read_only
        .address_space:  global
        .offset:         16
        .size:           8
        .value_kind:     global_buffer
      - .actual_access:  read_only
        .address_space:  global
        .offset:         24
        .size:           8
        .value_kind:     global_buffer
      - .offset:         32
        .size:           4
        .value_kind:     by_value
      - .offset:         36
        .size:           4
        .value_kind:     by_value
      - .offset:         40
        .size:           4
        .value_kind:     by_value
      - .offset:         44
        .size:           4
        .value_kind:     by_value
      - .offset:         48
        .size:           4
        .value_kind:     by_value
      - .offset:         52
        .size:           4
        .value_kind:     by_value
      - .offset:         56
        .size:           4
        .value_kind:     by_value
      - .offset:         60
        .size:           4
        .value_kind:     by_value
      - .offset:         64
        .size:           4
        .value_kind:     by_value
      - .offset:         68
        .size:           4
        .value_kind:     by_value
      - .offset:         72
        .size:           4
        .value_kind:     by_value
      - .offset:         76
        .size:           4
        .value_kind:     by_value
      - .offset:         80
        .size:           4
        .value_kind:     by_value
      - .offset:         84
        .size:           4
        .value_kind:     by_value
      - .offset:         88
        .size:           4
        .value_kind:     by_value
      - .offset:         92
        .size:           4
        .value_kind:     by_value
      - .offset:         96
        .size:           4
        .value_kind:     hidden_block_count_x
      - .offset:         100
        .size:           4
        .value_kind:     hidden_block_count_y
      - .offset:         104
        .size:           4
        .value_kind:     hidden_block_count_z
      - .offset:         108
        .size:           2
        .value_kind:     hidden_group_size_x
      - .offset:         110
        .size:           2
        .value_kind:     hidden_group_size_y
      - .offset:         112
        .size:           2
        .value_kind:     hidden_group_size_z
      - .offset:         114
        .size:           2
        .value_kind:     hidden_remainder_x
      - .offset:         116
        .size:           2
        .value_kind:     hidden_remainder_y
      - .offset:         118
        .size:           2
        .value_kind:     hidden_remainder_z
      - .offset:         136
        .size:           8
        .value_kind:     hidden_global_offset_x
      - .offset:         144
        .size:           8
        .value_kind:     hidden_global_offset_y
      - .offset:         152
        .size:           8
        .value_kind:     hidden_global_offset_z
      - .offset:         160
        .size:           2
        .value_kind:     hidden_grid_dims
      - .offset:         176
        .size:           8
        .value_kind:     hidden_hostcall_buffer
    .group_segment_fixed_size: 0
    .kernarg_segment_align: 8
    .kernarg_segment_size: 352
    .language:       OpenCL C
    .language_version:
      - 2
      - 0
    .max_flat_workgroup_size: 512
    .name:           _ZL9mul_mat_fI7__half2Li32ELi14ELi8ELb1EEvPKT_PKfPKiPfiiiiiiiiiiiiiiii
    .private_segment_fixed_size: 16
    .sgpr_count:     40
    .sgpr_spill_count: 0
    .symbol:         _ZL9mul_mat_fI7__half2Li32ELi14ELi8ELb1EEvPKT_PKfPKiPfiiiiiiiiiiiiiiii.kd
    .uniform_work_group_size: 1
    .uses_dynamic_stack: false
    .vgpr_count:     41
    .vgpr_spill_count: 0
    .wavefront_size: 64
  - .agpr_count:     0
    .args:
      - .actual_access:  read_only
        .address_space:  global
        .offset:         0
        .size:           8
        .value_kind:     global_buffer
      - .actual_access:  read_only
        .address_space:  global
        .offset:         8
        .size:           8
        .value_kind:     global_buffer
      - .actual_access:  read_only
        .address_space:  global
        .offset:         16
        .size:           8
        .value_kind:     global_buffer
      - .actual_access:  read_only
        .address_space:  global
        .offset:         24
        .size:           8
        .value_kind:     global_buffer
      - .offset:         32
        .size:           4
        .value_kind:     by_value
      - .offset:         36
        .size:           4
        .value_kind:     by_value
      - .offset:         40
        .size:           4
        .value_kind:     by_value
      - .offset:         44
        .size:           4
        .value_kind:     by_value
      - .offset:         48
        .size:           4
        .value_kind:     by_value
      - .offset:         52
        .size:           4
        .value_kind:     by_value
      - .offset:         56
        .size:           4
        .value_kind:     by_value
      - .offset:         60
        .size:           4
        .value_kind:     by_value
      - .offset:         64
        .size:           4
        .value_kind:     by_value
      - .offset:         68
        .size:           4
        .value_kind:     by_value
      - .offset:         72
        .size:           4
        .value_kind:     by_value
      - .offset:         76
        .size:           4
        .value_kind:     by_value
      - .offset:         80
        .size:           4
        .value_kind:     by_value
      - .offset:         84
        .size:           4
        .value_kind:     by_value
      - .offset:         88
        .size:           4
        .value_kind:     by_value
      - .offset:         92
        .size:           4
        .value_kind:     by_value
      - .offset:         96
        .size:           4
        .value_kind:     hidden_block_count_x
      - .offset:         100
        .size:           4
        .value_kind:     hidden_block_count_y
      - .offset:         104
        .size:           4
        .value_kind:     hidden_block_count_z
      - .offset:         108
        .size:           2
        .value_kind:     hidden_group_size_x
      - .offset:         110
        .size:           2
        .value_kind:     hidden_group_size_y
      - .offset:         112
        .size:           2
        .value_kind:     hidden_group_size_z
      - .offset:         114
        .size:           2
        .value_kind:     hidden_remainder_x
      - .offset:         116
        .size:           2
        .value_kind:     hidden_remainder_y
      - .offset:         118
        .size:           2
        .value_kind:     hidden_remainder_z
      - .offset:         136
        .size:           8
        .value_kind:     hidden_global_offset_x
      - .offset:         144
        .size:           8
        .value_kind:     hidden_global_offset_y
      - .offset:         152
        .size:           8
        .value_kind:     hidden_global_offset_z
      - .offset:         160
        .size:           2
        .value_kind:     hidden_grid_dims
      - .offset:         176
        .size:           8
        .value_kind:     hidden_hostcall_buffer
    .group_segment_fixed_size: 0
    .kernarg_segment_align: 8
    .kernarg_segment_size: 352
    .language:       OpenCL C
    .language_version:
      - 2
      - 0
    .max_flat_workgroup_size: 512
    .name:           _ZL9mul_mat_fI7__half2Li32ELi14ELi8ELb0EEvPKT_PKfPKiPfiiiiiiiiiiiiiiii
    .private_segment_fixed_size: 16
    .sgpr_count:     40
    .sgpr_spill_count: 0
    .symbol:         _ZL9mul_mat_fI7__half2Li32ELi14ELi8ELb0EEvPKT_PKfPKiPfiiiiiiiiiiiiiiii.kd
    .uniform_work_group_size: 1
    .uses_dynamic_stack: false
    .vgpr_count:     41
    .vgpr_spill_count: 0
    .wavefront_size: 64
  - .agpr_count:     0
    .args:
      - .actual_access:  read_only
        .address_space:  global
        .offset:         0
        .size:           8
        .value_kind:     global_buffer
      - .actual_access:  read_only
        .address_space:  global
        .offset:         8
        .size:           8
        .value_kind:     global_buffer
      - .actual_access:  read_only
        .address_space:  global
        .offset:         16
        .size:           8
        .value_kind:     global_buffer
      - .actual_access:  read_only
        .address_space:  global
        .offset:         24
        .size:           8
        .value_kind:     global_buffer
      - .actual_access:  read_only
        .address_space:  global
        .offset:         32
        .size:           8
        .value_kind:     global_buffer
      - .actual_access:  read_only
        .address_space:  global
        .offset:         40
        .size:           8
        .value_kind:     global_buffer
      - .offset:         48
        .size:           4
        .value_kind:     by_value
      - .offset:         52
        .size:           4
        .value_kind:     by_value
      - .offset:         56
        .size:           4
        .value_kind:     by_value
      - .offset:         60
        .size:           4
        .value_kind:     by_value
      - .offset:         64
        .size:           4
        .value_kind:     by_value
      - .offset:         68
        .size:           4
        .value_kind:     by_value
      - .offset:         72
        .size:           4
        .value_kind:     by_value
      - .offset:         76
        .size:           4
        .value_kind:     by_value
      - .offset:         80
        .size:           4
        .value_kind:     by_value
      - .offset:         84
        .size:           4
        .value_kind:     by_value
      - .offset:         88
        .size:           4
        .value_kind:     by_value
      - .offset:         92
        .size:           4
        .value_kind:     by_value
      - .offset:         96
        .size:           4
        .value_kind:     by_value
      - .offset:         100
        .size:           4
        .value_kind:     by_value
      - .offset:         104
        .size:           12
        .value_kind:     by_value
      - .offset:         116
        .size:           12
        .value_kind:     by_value
      - .offset:         128
        .size:           4
        .value_kind:     hidden_block_count_x
      - .offset:         132
        .size:           4
        .value_kind:     hidden_block_count_y
      - .offset:         136
        .size:           4
        .value_kind:     hidden_block_count_z
      - .offset:         140
        .size:           2
        .value_kind:     hidden_group_size_x
      - .offset:         142
        .size:           2
        .value_kind:     hidden_group_size_y
      - .offset:         144
        .size:           2
        .value_kind:     hidden_group_size_z
      - .offset:         146
        .size:           2
        .value_kind:     hidden_remainder_x
      - .offset:         148
        .size:           2
        .value_kind:     hidden_remainder_y
      - .offset:         150
        .size:           2
        .value_kind:     hidden_remainder_z
      - .offset:         168
        .size:           8
        .value_kind:     hidden_global_offset_x
      - .offset:         176
        .size:           8
        .value_kind:     hidden_global_offset_y
      - .offset:         184
        .size:           8
        .value_kind:     hidden_global_offset_z
      - .offset:         192
        .size:           2
        .value_kind:     hidden_grid_dims
      - .offset:         208
        .size:           8
        .value_kind:     hidden_hostcall_buffer
    .group_segment_fixed_size: 0
    .kernarg_segment_align: 8
    .kernarg_segment_size: 384
    .language:       OpenCL C
    .language_version:
      - 2
      - 0
    .max_flat_workgroup_size: 64
    .name:           _ZL13mul_mat_f_idsI15__hip_bfloat162Li32ELi14ELi1EEvPKT_PKfPKiS7_S7_Pfiiiiiiiiiiiiii15HIP_vector_typeIjLj3EESA_
    .private_segment_fixed_size: 16
    .sgpr_count:     40
    .sgpr_spill_count: 0
    .symbol:         _ZL13mul_mat_f_idsI15__hip_bfloat162Li32ELi14ELi1EEvPKT_PKfPKiS7_S7_Pfiiiiiiiiiiiiii15HIP_vector_typeIjLj3EESA_.kd
    .uniform_work_group_size: 1
    .uses_dynamic_stack: false
    .vgpr_count:     41
    .vgpr_spill_count: 0
    .wavefront_size: 64
  - .agpr_count:     0
    .args:
      - .actual_access:  read_only
        .address_space:  global
        .offset:         0
        .size:           8
        .value_kind:     global_buffer
      - .actual_access:  read_only
        .address_space:  global
        .offset:         8
        .size:           8
        .value_kind:     global_buffer
      - .actual_access:  read_only
        .address_space:  global
        .offset:         16
        .size:           8
        .value_kind:     global_buffer
      - .actual_access:  read_only
        .address_space:  global
        .offset:         24
        .size:           8
        .value_kind:     global_buffer
      - .offset:         32
        .size:           4
        .value_kind:     by_value
      - .offset:         36
        .size:           4
        .value_kind:     by_value
      - .offset:         40
        .size:           4
        .value_kind:     by_value
      - .offset:         44
        .size:           4
        .value_kind:     by_value
      - .offset:         48
        .size:           4
        .value_kind:     by_value
      - .offset:         52
        .size:           4
        .value_kind:     by_value
      - .offset:         56
        .size:           4
        .value_kind:     by_value
      - .offset:         60
        .size:           4
        .value_kind:     by_value
      - .offset:         64
        .size:           4
        .value_kind:     by_value
      - .offset:         68
        .size:           4
        .value_kind:     by_value
      - .offset:         72
        .size:           4
        .value_kind:     by_value
      - .offset:         76
        .size:           4
        .value_kind:     by_value
      - .offset:         80
        .size:           4
        .value_kind:     by_value
      - .offset:         84
        .size:           4
        .value_kind:     by_value
      - .offset:         88
        .size:           4
        .value_kind:     by_value
      - .offset:         92
        .size:           4
        .value_kind:     by_value
      - .offset:         96
        .size:           4
        .value_kind:     hidden_block_count_x
      - .offset:         100
        .size:           4
        .value_kind:     hidden_block_count_y
      - .offset:         104
        .size:           4
        .value_kind:     hidden_block_count_z
      - .offset:         108
        .size:           2
        .value_kind:     hidden_group_size_x
      - .offset:         110
        .size:           2
        .value_kind:     hidden_group_size_y
      - .offset:         112
        .size:           2
        .value_kind:     hidden_group_size_z
      - .offset:         114
        .size:           2
        .value_kind:     hidden_remainder_x
      - .offset:         116
        .size:           2
        .value_kind:     hidden_remainder_y
      - .offset:         118
        .size:           2
        .value_kind:     hidden_remainder_z
      - .offset:         136
        .size:           8
        .value_kind:     hidden_global_offset_x
      - .offset:         144
        .size:           8
        .value_kind:     hidden_global_offset_y
      - .offset:         152
        .size:           8
        .value_kind:     hidden_global_offset_z
      - .offset:         160
        .size:           2
        .value_kind:     hidden_grid_dims
      - .offset:         176
        .size:           8
        .value_kind:     hidden_hostcall_buffer
    .group_segment_fixed_size: 0
    .kernarg_segment_align: 8
    .kernarg_segment_size: 352
    .language:       OpenCL C
    .language_version:
      - 2
      - 0
    .max_flat_workgroup_size: 64
    .name:           _ZL9mul_mat_fI15__hip_bfloat162Li32ELi14ELi1ELb1EEvPKT_PKfPKiPfiiiiiiiiiiiiiiii
    .private_segment_fixed_size: 16
    .sgpr_count:     40
    .sgpr_spill_count: 0
    .symbol:         _ZL9mul_mat_fI15__hip_bfloat162Li32ELi14ELi1ELb1EEvPKT_PKfPKiPfiiiiiiiiiiiiiiii.kd
    .uniform_work_group_size: 1
    .uses_dynamic_stack: false
    .vgpr_count:     41
    .vgpr_spill_count: 0
    .wavefront_size: 64
  - .agpr_count:     0
    .args:
      - .actual_access:  read_only
        .address_space:  global
        .offset:         0
        .size:           8
        .value_kind:     global_buffer
      - .actual_access:  read_only
        .address_space:  global
        .offset:         8
        .size:           8
        .value_kind:     global_buffer
      - .actual_access:  read_only
        .address_space:  global
        .offset:         16
        .size:           8
        .value_kind:     global_buffer
      - .actual_access:  read_only
        .address_space:  global
        .offset:         24
        .size:           8
        .value_kind:     global_buffer
      - .offset:         32
        .size:           4
        .value_kind:     by_value
      - .offset:         36
        .size:           4
        .value_kind:     by_value
      - .offset:         40
        .size:           4
        .value_kind:     by_value
      - .offset:         44
        .size:           4
        .value_kind:     by_value
      - .offset:         48
        .size:           4
        .value_kind:     by_value
      - .offset:         52
        .size:           4
        .value_kind:     by_value
      - .offset:         56
        .size:           4
        .value_kind:     by_value
      - .offset:         60
        .size:           4
        .value_kind:     by_value
      - .offset:         64
        .size:           4
        .value_kind:     by_value
      - .offset:         68
        .size:           4
        .value_kind:     by_value
      - .offset:         72
        .size:           4
        .value_kind:     by_value
      - .offset:         76
        .size:           4
        .value_kind:     by_value
      - .offset:         80
        .size:           4
        .value_kind:     by_value
      - .offset:         84
        .size:           4
        .value_kind:     by_value
      - .offset:         88
        .size:           4
        .value_kind:     by_value
      - .offset:         92
        .size:           4
        .value_kind:     by_value
      - .offset:         96
        .size:           4
        .value_kind:     hidden_block_count_x
      - .offset:         100
        .size:           4
        .value_kind:     hidden_block_count_y
      - .offset:         104
        .size:           4
        .value_kind:     hidden_block_count_z
      - .offset:         108
        .size:           2
        .value_kind:     hidden_group_size_x
      - .offset:         110
        .size:           2
        .value_kind:     hidden_group_size_y
      - .offset:         112
        .size:           2
        .value_kind:     hidden_group_size_z
      - .offset:         114
        .size:           2
        .value_kind:     hidden_remainder_x
      - .offset:         116
        .size:           2
        .value_kind:     hidden_remainder_y
      - .offset:         118
        .size:           2
        .value_kind:     hidden_remainder_z
      - .offset:         136
        .size:           8
        .value_kind:     hidden_global_offset_x
      - .offset:         144
        .size:           8
        .value_kind:     hidden_global_offset_y
      - .offset:         152
        .size:           8
        .value_kind:     hidden_global_offset_z
      - .offset:         160
        .size:           2
        .value_kind:     hidden_grid_dims
      - .offset:         176
        .size:           8
        .value_kind:     hidden_hostcall_buffer
    .group_segment_fixed_size: 0
    .kernarg_segment_align: 8
    .kernarg_segment_size: 352
    .language:       OpenCL C
    .language_version:
      - 2
      - 0
    .max_flat_workgroup_size: 64
    .name:           _ZL9mul_mat_fI15__hip_bfloat162Li32ELi14ELi1ELb0EEvPKT_PKfPKiPfiiiiiiiiiiiiiiii
    .private_segment_fixed_size: 16
    .sgpr_count:     40
    .sgpr_spill_count: 0
    .symbol:         _ZL9mul_mat_fI15__hip_bfloat162Li32ELi14ELi1ELb0EEvPKT_PKfPKiPfiiiiiiiiiiiiiiii.kd
    .uniform_work_group_size: 1
    .uses_dynamic_stack: false
    .vgpr_count:     41
    .vgpr_spill_count: 0
    .wavefront_size: 64
  - .agpr_count:     0
    .args:
      - .actual_access:  read_only
        .address_space:  global
        .offset:         0
        .size:           8
        .value_kind:     global_buffer
      - .actual_access:  read_only
        .address_space:  global
        .offset:         8
        .size:           8
        .value_kind:     global_buffer
      - .actual_access:  read_only
        .address_space:  global
        .offset:         16
        .size:           8
        .value_kind:     global_buffer
      - .actual_access:  read_only
        .address_space:  global
        .offset:         24
        .size:           8
        .value_kind:     global_buffer
      - .actual_access:  read_only
        .address_space:  global
        .offset:         32
        .size:           8
        .value_kind:     global_buffer
      - .actual_access:  read_only
        .address_space:  global
        .offset:         40
        .size:           8
        .value_kind:     global_buffer
      - .offset:         48
        .size:           4
        .value_kind:     by_value
      - .offset:         52
        .size:           4
        .value_kind:     by_value
      - .offset:         56
        .size:           4
        .value_kind:     by_value
      - .offset:         60
        .size:           4
        .value_kind:     by_value
      - .offset:         64
        .size:           4
        .value_kind:     by_value
      - .offset:         68
        .size:           4
        .value_kind:     by_value
      - .offset:         72
        .size:           4
        .value_kind:     by_value
      - .offset:         76
        .size:           4
        .value_kind:     by_value
      - .offset:         80
        .size:           4
        .value_kind:     by_value
      - .offset:         84
        .size:           4
        .value_kind:     by_value
      - .offset:         88
        .size:           4
        .value_kind:     by_value
      - .offset:         92
        .size:           4
        .value_kind:     by_value
      - .offset:         96
        .size:           4
        .value_kind:     by_value
      - .offset:         100
        .size:           4
        .value_kind:     by_value
      - .offset:         104
        .size:           12
        .value_kind:     by_value
      - .offset:         116
        .size:           12
        .value_kind:     by_value
      - .offset:         128
        .size:           4
        .value_kind:     hidden_block_count_x
      - .offset:         132
        .size:           4
        .value_kind:     hidden_block_count_y
      - .offset:         136
        .size:           4
        .value_kind:     hidden_block_count_z
      - .offset:         140
        .size:           2
        .value_kind:     hidden_group_size_x
      - .offset:         142
        .size:           2
        .value_kind:     hidden_group_size_y
      - .offset:         144
        .size:           2
        .value_kind:     hidden_group_size_z
      - .offset:         146
        .size:           2
        .value_kind:     hidden_remainder_x
      - .offset:         148
        .size:           2
        .value_kind:     hidden_remainder_y
      - .offset:         150
        .size:           2
        .value_kind:     hidden_remainder_z
      - .offset:         168
        .size:           8
        .value_kind:     hidden_global_offset_x
      - .offset:         176
        .size:           8
        .value_kind:     hidden_global_offset_y
      - .offset:         184
        .size:           8
        .value_kind:     hidden_global_offset_z
      - .offset:         192
        .size:           2
        .value_kind:     hidden_grid_dims
      - .offset:         208
        .size:           8
        .value_kind:     hidden_hostcall_buffer
    .group_segment_fixed_size: 0
    .kernarg_segment_align: 8
    .kernarg_segment_size: 384
    .language:       OpenCL C
    .language_version:
      - 2
      - 0
    .max_flat_workgroup_size: 128
    .name:           _ZL13mul_mat_f_idsI15__hip_bfloat162Li32ELi14ELi2EEvPKT_PKfPKiS7_S7_Pfiiiiiiiiiiiiii15HIP_vector_typeIjLj3EESA_
    .private_segment_fixed_size: 16
    .sgpr_count:     40
    .sgpr_spill_count: 0
    .symbol:         _ZL13mul_mat_f_idsI15__hip_bfloat162Li32ELi14ELi2EEvPKT_PKfPKiS7_S7_Pfiiiiiiiiiiiiii15HIP_vector_typeIjLj3EESA_.kd
    .uniform_work_group_size: 1
    .uses_dynamic_stack: false
    .vgpr_count:     41
    .vgpr_spill_count: 0
    .wavefront_size: 64
  - .agpr_count:     0
    .args:
      - .actual_access:  read_only
        .address_space:  global
        .offset:         0
        .size:           8
        .value_kind:     global_buffer
      - .actual_access:  read_only
        .address_space:  global
        .offset:         8
        .size:           8
        .value_kind:     global_buffer
      - .actual_access:  read_only
        .address_space:  global
        .offset:         16
        .size:           8
        .value_kind:     global_buffer
      - .actual_access:  read_only
        .address_space:  global
        .offset:         24
        .size:           8
        .value_kind:     global_buffer
      - .offset:         32
        .size:           4
        .value_kind:     by_value
      - .offset:         36
        .size:           4
        .value_kind:     by_value
      - .offset:         40
        .size:           4
        .value_kind:     by_value
      - .offset:         44
        .size:           4
        .value_kind:     by_value
      - .offset:         48
        .size:           4
        .value_kind:     by_value
      - .offset:         52
        .size:           4
        .value_kind:     by_value
      - .offset:         56
        .size:           4
        .value_kind:     by_value
      - .offset:         60
        .size:           4
        .value_kind:     by_value
      - .offset:         64
        .size:           4
        .value_kind:     by_value
      - .offset:         68
        .size:           4
        .value_kind:     by_value
      - .offset:         72
        .size:           4
        .value_kind:     by_value
      - .offset:         76
        .size:           4
        .value_kind:     by_value
      - .offset:         80
        .size:           4
        .value_kind:     by_value
      - .offset:         84
        .size:           4
        .value_kind:     by_value
      - .offset:         88
        .size:           4
        .value_kind:     by_value
      - .offset:         92
        .size:           4
        .value_kind:     by_value
      - .offset:         96
        .size:           4
        .value_kind:     hidden_block_count_x
      - .offset:         100
        .size:           4
        .value_kind:     hidden_block_count_y
      - .offset:         104
        .size:           4
        .value_kind:     hidden_block_count_z
      - .offset:         108
        .size:           2
        .value_kind:     hidden_group_size_x
      - .offset:         110
        .size:           2
        .value_kind:     hidden_group_size_y
      - .offset:         112
        .size:           2
        .value_kind:     hidden_group_size_z
      - .offset:         114
        .size:           2
        .value_kind:     hidden_remainder_x
      - .offset:         116
        .size:           2
        .value_kind:     hidden_remainder_y
      - .offset:         118
        .size:           2
        .value_kind:     hidden_remainder_z
      - .offset:         136
        .size:           8
        .value_kind:     hidden_global_offset_x
      - .offset:         144
        .size:           8
        .value_kind:     hidden_global_offset_y
      - .offset:         152
        .size:           8
        .value_kind:     hidden_global_offset_z
      - .offset:         160
        .size:           2
        .value_kind:     hidden_grid_dims
      - .offset:         176
        .size:           8
        .value_kind:     hidden_hostcall_buffer
    .group_segment_fixed_size: 0
    .kernarg_segment_align: 8
    .kernarg_segment_size: 352
    .language:       OpenCL C
    .language_version:
      - 2
      - 0
    .max_flat_workgroup_size: 128
    .name:           _ZL9mul_mat_fI15__hip_bfloat162Li32ELi14ELi2ELb1EEvPKT_PKfPKiPfiiiiiiiiiiiiiiii
    .private_segment_fixed_size: 16
    .sgpr_count:     40
    .sgpr_spill_count: 0
    .symbol:         _ZL9mul_mat_fI15__hip_bfloat162Li32ELi14ELi2ELb1EEvPKT_PKfPKiPfiiiiiiiiiiiiiiii.kd
    .uniform_work_group_size: 1
    .uses_dynamic_stack: false
    .vgpr_count:     41
    .vgpr_spill_count: 0
    .wavefront_size: 64
  - .agpr_count:     0
    .args:
      - .actual_access:  read_only
        .address_space:  global
        .offset:         0
        .size:           8
        .value_kind:     global_buffer
      - .actual_access:  read_only
        .address_space:  global
        .offset:         8
        .size:           8
        .value_kind:     global_buffer
      - .actual_access:  read_only
        .address_space:  global
        .offset:         16
        .size:           8
        .value_kind:     global_buffer
      - .actual_access:  read_only
        .address_space:  global
        .offset:         24
        .size:           8
        .value_kind:     global_buffer
      - .offset:         32
        .size:           4
        .value_kind:     by_value
      - .offset:         36
        .size:           4
        .value_kind:     by_value
      - .offset:         40
        .size:           4
        .value_kind:     by_value
      - .offset:         44
        .size:           4
        .value_kind:     by_value
      - .offset:         48
        .size:           4
        .value_kind:     by_value
      - .offset:         52
        .size:           4
        .value_kind:     by_value
      - .offset:         56
        .size:           4
        .value_kind:     by_value
      - .offset:         60
        .size:           4
        .value_kind:     by_value
      - .offset:         64
        .size:           4
        .value_kind:     by_value
      - .offset:         68
        .size:           4
        .value_kind:     by_value
      - .offset:         72
        .size:           4
        .value_kind:     by_value
      - .offset:         76
        .size:           4
        .value_kind:     by_value
      - .offset:         80
        .size:           4
        .value_kind:     by_value
      - .offset:         84
        .size:           4
        .value_kind:     by_value
      - .offset:         88
        .size:           4
        .value_kind:     by_value
      - .offset:         92
        .size:           4
        .value_kind:     by_value
      - .offset:         96
        .size:           4
        .value_kind:     hidden_block_count_x
      - .offset:         100
        .size:           4
        .value_kind:     hidden_block_count_y
      - .offset:         104
        .size:           4
        .value_kind:     hidden_block_count_z
      - .offset:         108
        .size:           2
        .value_kind:     hidden_group_size_x
      - .offset:         110
        .size:           2
        .value_kind:     hidden_group_size_y
      - .offset:         112
        .size:           2
        .value_kind:     hidden_group_size_z
      - .offset:         114
        .size:           2
        .value_kind:     hidden_remainder_x
      - .offset:         116
        .size:           2
        .value_kind:     hidden_remainder_y
      - .offset:         118
        .size:           2
        .value_kind:     hidden_remainder_z
      - .offset:         136
        .size:           8
        .value_kind:     hidden_global_offset_x
      - .offset:         144
        .size:           8
        .value_kind:     hidden_global_offset_y
      - .offset:         152
        .size:           8
        .value_kind:     hidden_global_offset_z
      - .offset:         160
        .size:           2
        .value_kind:     hidden_grid_dims
      - .offset:         176
        .size:           8
        .value_kind:     hidden_hostcall_buffer
    .group_segment_fixed_size: 0
    .kernarg_segment_align: 8
    .kernarg_segment_size: 352
    .language:       OpenCL C
    .language_version:
      - 2
      - 0
    .max_flat_workgroup_size: 128
    .name:           _ZL9mul_mat_fI15__hip_bfloat162Li32ELi14ELi2ELb0EEvPKT_PKfPKiPfiiiiiiiiiiiiiiii
    .private_segment_fixed_size: 16
    .sgpr_count:     40
    .sgpr_spill_count: 0
    .symbol:         _ZL9mul_mat_fI15__hip_bfloat162Li32ELi14ELi2ELb0EEvPKT_PKfPKiPfiiiiiiiiiiiiiiii.kd
    .uniform_work_group_size: 1
    .uses_dynamic_stack: false
    .vgpr_count:     41
    .vgpr_spill_count: 0
    .wavefront_size: 64
  - .agpr_count:     0
    .args:
      - .actual_access:  read_only
        .address_space:  global
        .offset:         0
        .size:           8
        .value_kind:     global_buffer
      - .actual_access:  read_only
        .address_space:  global
        .offset:         8
        .size:           8
        .value_kind:     global_buffer
      - .actual_access:  read_only
        .address_space:  global
        .offset:         16
        .size:           8
        .value_kind:     global_buffer
      - .actual_access:  read_only
        .address_space:  global
        .offset:         24
        .size:           8
        .value_kind:     global_buffer
      - .actual_access:  read_only
        .address_space:  global
        .offset:         32
        .size:           8
        .value_kind:     global_buffer
      - .actual_access:  read_only
        .address_space:  global
        .offset:         40
        .size:           8
        .value_kind:     global_buffer
      - .offset:         48
        .size:           4
        .value_kind:     by_value
      - .offset:         52
        .size:           4
        .value_kind:     by_value
      - .offset:         56
        .size:           4
        .value_kind:     by_value
      - .offset:         60
        .size:           4
        .value_kind:     by_value
      - .offset:         64
        .size:           4
        .value_kind:     by_value
      - .offset:         68
        .size:           4
        .value_kind:     by_value
      - .offset:         72
        .size:           4
        .value_kind:     by_value
      - .offset:         76
        .size:           4
        .value_kind:     by_value
      - .offset:         80
        .size:           4
        .value_kind:     by_value
      - .offset:         84
        .size:           4
        .value_kind:     by_value
      - .offset:         88
        .size:           4
        .value_kind:     by_value
      - .offset:         92
        .size:           4
        .value_kind:     by_value
      - .offset:         96
        .size:           4
        .value_kind:     by_value
      - .offset:         100
        .size:           4
        .value_kind:     by_value
      - .offset:         104
        .size:           12
        .value_kind:     by_value
      - .offset:         116
        .size:           12
        .value_kind:     by_value
      - .offset:         128
        .size:           4
        .value_kind:     hidden_block_count_x
      - .offset:         132
        .size:           4
        .value_kind:     hidden_block_count_y
      - .offset:         136
        .size:           4
        .value_kind:     hidden_block_count_z
      - .offset:         140
        .size:           2
        .value_kind:     hidden_group_size_x
      - .offset:         142
        .size:           2
        .value_kind:     hidden_group_size_y
      - .offset:         144
        .size:           2
        .value_kind:     hidden_group_size_z
      - .offset:         146
        .size:           2
        .value_kind:     hidden_remainder_x
      - .offset:         148
        .size:           2
        .value_kind:     hidden_remainder_y
      - .offset:         150
        .size:           2
        .value_kind:     hidden_remainder_z
      - .offset:         168
        .size:           8
        .value_kind:     hidden_global_offset_x
      - .offset:         176
        .size:           8
        .value_kind:     hidden_global_offset_y
      - .offset:         184
        .size:           8
        .value_kind:     hidden_global_offset_z
      - .offset:         192
        .size:           2
        .value_kind:     hidden_grid_dims
      - .offset:         208
        .size:           8
        .value_kind:     hidden_hostcall_buffer
    .group_segment_fixed_size: 0
    .kernarg_segment_align: 8
    .kernarg_segment_size: 384
    .language:       OpenCL C
    .language_version:
      - 2
      - 0
    .max_flat_workgroup_size: 192
    .name:           _ZL13mul_mat_f_idsI15__hip_bfloat162Li32ELi14ELi3EEvPKT_PKfPKiS7_S7_Pfiiiiiiiiiiiiii15HIP_vector_typeIjLj3EESA_
    .private_segment_fixed_size: 16
    .sgpr_count:     40
    .sgpr_spill_count: 0
    .symbol:         _ZL13mul_mat_f_idsI15__hip_bfloat162Li32ELi14ELi3EEvPKT_PKfPKiS7_S7_Pfiiiiiiiiiiiiii15HIP_vector_typeIjLj3EESA_.kd
    .uniform_work_group_size: 1
    .uses_dynamic_stack: false
    .vgpr_count:     41
    .vgpr_spill_count: 0
    .wavefront_size: 64
  - .agpr_count:     0
    .args:
      - .actual_access:  read_only
        .address_space:  global
        .offset:         0
        .size:           8
        .value_kind:     global_buffer
      - .actual_access:  read_only
        .address_space:  global
        .offset:         8
        .size:           8
        .value_kind:     global_buffer
      - .actual_access:  read_only
        .address_space:  global
        .offset:         16
        .size:           8
        .value_kind:     global_buffer
      - .actual_access:  read_only
        .address_space:  global
        .offset:         24
        .size:           8
        .value_kind:     global_buffer
      - .offset:         32
        .size:           4
        .value_kind:     by_value
      - .offset:         36
        .size:           4
        .value_kind:     by_value
      - .offset:         40
        .size:           4
        .value_kind:     by_value
      - .offset:         44
        .size:           4
        .value_kind:     by_value
      - .offset:         48
        .size:           4
        .value_kind:     by_value
      - .offset:         52
        .size:           4
        .value_kind:     by_value
      - .offset:         56
        .size:           4
        .value_kind:     by_value
      - .offset:         60
        .size:           4
        .value_kind:     by_value
      - .offset:         64
        .size:           4
        .value_kind:     by_value
      - .offset:         68
        .size:           4
        .value_kind:     by_value
      - .offset:         72
        .size:           4
        .value_kind:     by_value
      - .offset:         76
        .size:           4
        .value_kind:     by_value
      - .offset:         80
        .size:           4
        .value_kind:     by_value
      - .offset:         84
        .size:           4
        .value_kind:     by_value
      - .offset:         88
        .size:           4
        .value_kind:     by_value
      - .offset:         92
        .size:           4
        .value_kind:     by_value
      - .offset:         96
        .size:           4
        .value_kind:     hidden_block_count_x
      - .offset:         100
        .size:           4
        .value_kind:     hidden_block_count_y
      - .offset:         104
        .size:           4
        .value_kind:     hidden_block_count_z
      - .offset:         108
        .size:           2
        .value_kind:     hidden_group_size_x
      - .offset:         110
        .size:           2
        .value_kind:     hidden_group_size_y
      - .offset:         112
        .size:           2
        .value_kind:     hidden_group_size_z
      - .offset:         114
        .size:           2
        .value_kind:     hidden_remainder_x
      - .offset:         116
        .size:           2
        .value_kind:     hidden_remainder_y
      - .offset:         118
        .size:           2
        .value_kind:     hidden_remainder_z
      - .offset:         136
        .size:           8
        .value_kind:     hidden_global_offset_x
      - .offset:         144
        .size:           8
        .value_kind:     hidden_global_offset_y
      - .offset:         152
        .size:           8
        .value_kind:     hidden_global_offset_z
      - .offset:         160
        .size:           2
        .value_kind:     hidden_grid_dims
      - .offset:         176
        .size:           8
        .value_kind:     hidden_hostcall_buffer
    .group_segment_fixed_size: 0
    .kernarg_segment_align: 8
    .kernarg_segment_size: 352
    .language:       OpenCL C
    .language_version:
      - 2
      - 0
    .max_flat_workgroup_size: 192
    .name:           _ZL9mul_mat_fI15__hip_bfloat162Li32ELi14ELi3ELb1EEvPKT_PKfPKiPfiiiiiiiiiiiiiiii
    .private_segment_fixed_size: 16
    .sgpr_count:     40
    .sgpr_spill_count: 0
    .symbol:         _ZL9mul_mat_fI15__hip_bfloat162Li32ELi14ELi3ELb1EEvPKT_PKfPKiPfiiiiiiiiiiiiiiii.kd
    .uniform_work_group_size: 1
    .uses_dynamic_stack: false
    .vgpr_count:     41
    .vgpr_spill_count: 0
    .wavefront_size: 64
  - .agpr_count:     0
    .args:
      - .actual_access:  read_only
        .address_space:  global
        .offset:         0
        .size:           8
        .value_kind:     global_buffer
      - .actual_access:  read_only
        .address_space:  global
        .offset:         8
        .size:           8
        .value_kind:     global_buffer
      - .actual_access:  read_only
        .address_space:  global
        .offset:         16
        .size:           8
        .value_kind:     global_buffer
      - .actual_access:  read_only
        .address_space:  global
        .offset:         24
        .size:           8
        .value_kind:     global_buffer
      - .offset:         32
        .size:           4
        .value_kind:     by_value
      - .offset:         36
        .size:           4
        .value_kind:     by_value
      - .offset:         40
        .size:           4
        .value_kind:     by_value
      - .offset:         44
        .size:           4
        .value_kind:     by_value
      - .offset:         48
        .size:           4
        .value_kind:     by_value
      - .offset:         52
        .size:           4
        .value_kind:     by_value
      - .offset:         56
        .size:           4
        .value_kind:     by_value
      - .offset:         60
        .size:           4
        .value_kind:     by_value
      - .offset:         64
        .size:           4
        .value_kind:     by_value
      - .offset:         68
        .size:           4
        .value_kind:     by_value
      - .offset:         72
        .size:           4
        .value_kind:     by_value
      - .offset:         76
        .size:           4
        .value_kind:     by_value
      - .offset:         80
        .size:           4
        .value_kind:     by_value
      - .offset:         84
        .size:           4
        .value_kind:     by_value
      - .offset:         88
        .size:           4
        .value_kind:     by_value
      - .offset:         92
        .size:           4
        .value_kind:     by_value
      - .offset:         96
        .size:           4
        .value_kind:     hidden_block_count_x
      - .offset:         100
        .size:           4
        .value_kind:     hidden_block_count_y
      - .offset:         104
        .size:           4
        .value_kind:     hidden_block_count_z
      - .offset:         108
        .size:           2
        .value_kind:     hidden_group_size_x
      - .offset:         110
        .size:           2
        .value_kind:     hidden_group_size_y
      - .offset:         112
        .size:           2
        .value_kind:     hidden_group_size_z
      - .offset:         114
        .size:           2
        .value_kind:     hidden_remainder_x
      - .offset:         116
        .size:           2
        .value_kind:     hidden_remainder_y
      - .offset:         118
        .size:           2
        .value_kind:     hidden_remainder_z
      - .offset:         136
        .size:           8
        .value_kind:     hidden_global_offset_x
      - .offset:         144
        .size:           8
        .value_kind:     hidden_global_offset_y
      - .offset:         152
        .size:           8
        .value_kind:     hidden_global_offset_z
      - .offset:         160
        .size:           2
        .value_kind:     hidden_grid_dims
      - .offset:         176
        .size:           8
        .value_kind:     hidden_hostcall_buffer
    .group_segment_fixed_size: 0
    .kernarg_segment_align: 8
    .kernarg_segment_size: 352
    .language:       OpenCL C
    .language_version:
      - 2
      - 0
    .max_flat_workgroup_size: 192
    .name:           _ZL9mul_mat_fI15__hip_bfloat162Li32ELi14ELi3ELb0EEvPKT_PKfPKiPfiiiiiiiiiiiiiiii
    .private_segment_fixed_size: 16
    .sgpr_count:     40
    .sgpr_spill_count: 0
    .symbol:         _ZL9mul_mat_fI15__hip_bfloat162Li32ELi14ELi3ELb0EEvPKT_PKfPKiPfiiiiiiiiiiiiiiii.kd
    .uniform_work_group_size: 1
    .uses_dynamic_stack: false
    .vgpr_count:     41
    .vgpr_spill_count: 0
    .wavefront_size: 64
  - .agpr_count:     0
    .args:
      - .actual_access:  read_only
        .address_space:  global
        .offset:         0
        .size:           8
        .value_kind:     global_buffer
      - .actual_access:  read_only
        .address_space:  global
        .offset:         8
        .size:           8
        .value_kind:     global_buffer
      - .actual_access:  read_only
        .address_space:  global
        .offset:         16
        .size:           8
        .value_kind:     global_buffer
      - .actual_access:  read_only
        .address_space:  global
        .offset:         24
        .size:           8
        .value_kind:     global_buffer
      - .actual_access:  read_only
        .address_space:  global
        .offset:         32
        .size:           8
        .value_kind:     global_buffer
      - .actual_access:  read_only
        .address_space:  global
        .offset:         40
        .size:           8
        .value_kind:     global_buffer
      - .offset:         48
        .size:           4
        .value_kind:     by_value
      - .offset:         52
        .size:           4
        .value_kind:     by_value
      - .offset:         56
        .size:           4
        .value_kind:     by_value
      - .offset:         60
        .size:           4
        .value_kind:     by_value
      - .offset:         64
        .size:           4
        .value_kind:     by_value
      - .offset:         68
        .size:           4
        .value_kind:     by_value
      - .offset:         72
        .size:           4
        .value_kind:     by_value
      - .offset:         76
        .size:           4
        .value_kind:     by_value
      - .offset:         80
        .size:           4
        .value_kind:     by_value
      - .offset:         84
        .size:           4
        .value_kind:     by_value
      - .offset:         88
        .size:           4
        .value_kind:     by_value
      - .offset:         92
        .size:           4
        .value_kind:     by_value
      - .offset:         96
        .size:           4
        .value_kind:     by_value
      - .offset:         100
        .size:           4
        .value_kind:     by_value
      - .offset:         104
        .size:           12
        .value_kind:     by_value
      - .offset:         116
        .size:           12
        .value_kind:     by_value
      - .offset:         128
        .size:           4
        .value_kind:     hidden_block_count_x
      - .offset:         132
        .size:           4
        .value_kind:     hidden_block_count_y
      - .offset:         136
        .size:           4
        .value_kind:     hidden_block_count_z
      - .offset:         140
        .size:           2
        .value_kind:     hidden_group_size_x
      - .offset:         142
        .size:           2
        .value_kind:     hidden_group_size_y
      - .offset:         144
        .size:           2
        .value_kind:     hidden_group_size_z
      - .offset:         146
        .size:           2
        .value_kind:     hidden_remainder_x
      - .offset:         148
        .size:           2
        .value_kind:     hidden_remainder_y
      - .offset:         150
        .size:           2
        .value_kind:     hidden_remainder_z
      - .offset:         168
        .size:           8
        .value_kind:     hidden_global_offset_x
      - .offset:         176
        .size:           8
        .value_kind:     hidden_global_offset_y
      - .offset:         184
        .size:           8
        .value_kind:     hidden_global_offset_z
      - .offset:         192
        .size:           2
        .value_kind:     hidden_grid_dims
      - .offset:         208
        .size:           8
        .value_kind:     hidden_hostcall_buffer
    .group_segment_fixed_size: 0
    .kernarg_segment_align: 8
    .kernarg_segment_size: 384
    .language:       OpenCL C
    .language_version:
      - 2
      - 0
    .max_flat_workgroup_size: 256
    .name:           _ZL13mul_mat_f_idsI15__hip_bfloat162Li32ELi14ELi4EEvPKT_PKfPKiS7_S7_Pfiiiiiiiiiiiiii15HIP_vector_typeIjLj3EESA_
    .private_segment_fixed_size: 16
    .sgpr_count:     40
    .sgpr_spill_count: 0
    .symbol:         _ZL13mul_mat_f_idsI15__hip_bfloat162Li32ELi14ELi4EEvPKT_PKfPKiS7_S7_Pfiiiiiiiiiiiiii15HIP_vector_typeIjLj3EESA_.kd
    .uniform_work_group_size: 1
    .uses_dynamic_stack: false
    .vgpr_count:     41
    .vgpr_spill_count: 0
    .wavefront_size: 64
  - .agpr_count:     0
    .args:
      - .actual_access:  read_only
        .address_space:  global
        .offset:         0
        .size:           8
        .value_kind:     global_buffer
      - .actual_access:  read_only
        .address_space:  global
        .offset:         8
        .size:           8
        .value_kind:     global_buffer
      - .actual_access:  read_only
        .address_space:  global
        .offset:         16
        .size:           8
        .value_kind:     global_buffer
      - .actual_access:  read_only
        .address_space:  global
        .offset:         24
        .size:           8
        .value_kind:     global_buffer
      - .offset:         32
        .size:           4
        .value_kind:     by_value
      - .offset:         36
        .size:           4
        .value_kind:     by_value
      - .offset:         40
        .size:           4
        .value_kind:     by_value
      - .offset:         44
        .size:           4
        .value_kind:     by_value
      - .offset:         48
        .size:           4
        .value_kind:     by_value
      - .offset:         52
        .size:           4
        .value_kind:     by_value
      - .offset:         56
        .size:           4
        .value_kind:     by_value
      - .offset:         60
        .size:           4
        .value_kind:     by_value
      - .offset:         64
        .size:           4
        .value_kind:     by_value
      - .offset:         68
        .size:           4
        .value_kind:     by_value
      - .offset:         72
        .size:           4
        .value_kind:     by_value
      - .offset:         76
        .size:           4
        .value_kind:     by_value
      - .offset:         80
        .size:           4
        .value_kind:     by_value
      - .offset:         84
        .size:           4
        .value_kind:     by_value
      - .offset:         88
        .size:           4
        .value_kind:     by_value
      - .offset:         92
        .size:           4
        .value_kind:     by_value
      - .offset:         96
        .size:           4
        .value_kind:     hidden_block_count_x
      - .offset:         100
        .size:           4
        .value_kind:     hidden_block_count_y
      - .offset:         104
        .size:           4
        .value_kind:     hidden_block_count_z
      - .offset:         108
        .size:           2
        .value_kind:     hidden_group_size_x
      - .offset:         110
        .size:           2
        .value_kind:     hidden_group_size_y
      - .offset:         112
        .size:           2
        .value_kind:     hidden_group_size_z
      - .offset:         114
        .size:           2
        .value_kind:     hidden_remainder_x
      - .offset:         116
        .size:           2
        .value_kind:     hidden_remainder_y
      - .offset:         118
        .size:           2
        .value_kind:     hidden_remainder_z
      - .offset:         136
        .size:           8
        .value_kind:     hidden_global_offset_x
      - .offset:         144
        .size:           8
        .value_kind:     hidden_global_offset_y
      - .offset:         152
        .size:           8
        .value_kind:     hidden_global_offset_z
      - .offset:         160
        .size:           2
        .value_kind:     hidden_grid_dims
      - .offset:         176
        .size:           8
        .value_kind:     hidden_hostcall_buffer
    .group_segment_fixed_size: 0
    .kernarg_segment_align: 8
    .kernarg_segment_size: 352
    .language:       OpenCL C
    .language_version:
      - 2
      - 0
    .max_flat_workgroup_size: 256
    .name:           _ZL9mul_mat_fI15__hip_bfloat162Li32ELi14ELi4ELb1EEvPKT_PKfPKiPfiiiiiiiiiiiiiiii
    .private_segment_fixed_size: 16
    .sgpr_count:     40
    .sgpr_spill_count: 0
    .symbol:         _ZL9mul_mat_fI15__hip_bfloat162Li32ELi14ELi4ELb1EEvPKT_PKfPKiPfiiiiiiiiiiiiiiii.kd
    .uniform_work_group_size: 1
    .uses_dynamic_stack: false
    .vgpr_count:     41
    .vgpr_spill_count: 0
    .wavefront_size: 64
  - .agpr_count:     0
    .args:
      - .actual_access:  read_only
        .address_space:  global
        .offset:         0
        .size:           8
        .value_kind:     global_buffer
      - .actual_access:  read_only
        .address_space:  global
        .offset:         8
        .size:           8
        .value_kind:     global_buffer
      - .actual_access:  read_only
        .address_space:  global
        .offset:         16
        .size:           8
        .value_kind:     global_buffer
      - .actual_access:  read_only
        .address_space:  global
        .offset:         24
        .size:           8
        .value_kind:     global_buffer
      - .offset:         32
        .size:           4
        .value_kind:     by_value
      - .offset:         36
        .size:           4
        .value_kind:     by_value
      - .offset:         40
        .size:           4
        .value_kind:     by_value
      - .offset:         44
        .size:           4
        .value_kind:     by_value
      - .offset:         48
        .size:           4
        .value_kind:     by_value
      - .offset:         52
        .size:           4
        .value_kind:     by_value
      - .offset:         56
        .size:           4
        .value_kind:     by_value
      - .offset:         60
        .size:           4
        .value_kind:     by_value
      - .offset:         64
        .size:           4
        .value_kind:     by_value
      - .offset:         68
        .size:           4
        .value_kind:     by_value
      - .offset:         72
        .size:           4
        .value_kind:     by_value
      - .offset:         76
        .size:           4
        .value_kind:     by_value
      - .offset:         80
        .size:           4
        .value_kind:     by_value
      - .offset:         84
        .size:           4
        .value_kind:     by_value
      - .offset:         88
        .size:           4
        .value_kind:     by_value
      - .offset:         92
        .size:           4
        .value_kind:     by_value
      - .offset:         96
        .size:           4
        .value_kind:     hidden_block_count_x
      - .offset:         100
        .size:           4
        .value_kind:     hidden_block_count_y
      - .offset:         104
        .size:           4
        .value_kind:     hidden_block_count_z
      - .offset:         108
        .size:           2
        .value_kind:     hidden_group_size_x
      - .offset:         110
        .size:           2
        .value_kind:     hidden_group_size_y
      - .offset:         112
        .size:           2
        .value_kind:     hidden_group_size_z
      - .offset:         114
        .size:           2
        .value_kind:     hidden_remainder_x
      - .offset:         116
        .size:           2
        .value_kind:     hidden_remainder_y
      - .offset:         118
        .size:           2
        .value_kind:     hidden_remainder_z
      - .offset:         136
        .size:           8
        .value_kind:     hidden_global_offset_x
      - .offset:         144
        .size:           8
        .value_kind:     hidden_global_offset_y
      - .offset:         152
        .size:           8
        .value_kind:     hidden_global_offset_z
      - .offset:         160
        .size:           2
        .value_kind:     hidden_grid_dims
      - .offset:         176
        .size:           8
        .value_kind:     hidden_hostcall_buffer
    .group_segment_fixed_size: 0
    .kernarg_segment_align: 8
    .kernarg_segment_size: 352
    .language:       OpenCL C
    .language_version:
      - 2
      - 0
    .max_flat_workgroup_size: 256
    .name:           _ZL9mul_mat_fI15__hip_bfloat162Li32ELi14ELi4ELb0EEvPKT_PKfPKiPfiiiiiiiiiiiiiiii
    .private_segment_fixed_size: 16
    .sgpr_count:     40
    .sgpr_spill_count: 0
    .symbol:         _ZL9mul_mat_fI15__hip_bfloat162Li32ELi14ELi4ELb0EEvPKT_PKfPKiPfiiiiiiiiiiiiiiii.kd
    .uniform_work_group_size: 1
    .uses_dynamic_stack: false
    .vgpr_count:     41
    .vgpr_spill_count: 0
    .wavefront_size: 64
  - .agpr_count:     0
    .args:
      - .actual_access:  read_only
        .address_space:  global
        .offset:         0
        .size:           8
        .value_kind:     global_buffer
      - .actual_access:  read_only
        .address_space:  global
        .offset:         8
        .size:           8
        .value_kind:     global_buffer
      - .actual_access:  read_only
        .address_space:  global
        .offset:         16
        .size:           8
        .value_kind:     global_buffer
      - .actual_access:  read_only
        .address_space:  global
        .offset:         24
        .size:           8
        .value_kind:     global_buffer
      - .actual_access:  read_only
        .address_space:  global
        .offset:         32
        .size:           8
        .value_kind:     global_buffer
      - .actual_access:  read_only
        .address_space:  global
        .offset:         40
        .size:           8
        .value_kind:     global_buffer
      - .offset:         48
        .size:           4
        .value_kind:     by_value
      - .offset:         52
        .size:           4
        .value_kind:     by_value
      - .offset:         56
        .size:           4
        .value_kind:     by_value
      - .offset:         60
        .size:           4
        .value_kind:     by_value
      - .offset:         64
        .size:           4
        .value_kind:     by_value
      - .offset:         68
        .size:           4
        .value_kind:     by_value
      - .offset:         72
        .size:           4
        .value_kind:     by_value
      - .offset:         76
        .size:           4
        .value_kind:     by_value
      - .offset:         80
        .size:           4
        .value_kind:     by_value
      - .offset:         84
        .size:           4
        .value_kind:     by_value
      - .offset:         88
        .size:           4
        .value_kind:     by_value
      - .offset:         92
        .size:           4
        .value_kind:     by_value
      - .offset:         96
        .size:           4
        .value_kind:     by_value
      - .offset:         100
        .size:           4
        .value_kind:     by_value
      - .offset:         104
        .size:           12
        .value_kind:     by_value
      - .offset:         116
        .size:           12
        .value_kind:     by_value
      - .offset:         128
        .size:           4
        .value_kind:     hidden_block_count_x
      - .offset:         132
        .size:           4
        .value_kind:     hidden_block_count_y
      - .offset:         136
        .size:           4
        .value_kind:     hidden_block_count_z
      - .offset:         140
        .size:           2
        .value_kind:     hidden_group_size_x
      - .offset:         142
        .size:           2
        .value_kind:     hidden_group_size_y
      - .offset:         144
        .size:           2
        .value_kind:     hidden_group_size_z
      - .offset:         146
        .size:           2
        .value_kind:     hidden_remainder_x
      - .offset:         148
        .size:           2
        .value_kind:     hidden_remainder_y
      - .offset:         150
        .size:           2
        .value_kind:     hidden_remainder_z
      - .offset:         168
        .size:           8
        .value_kind:     hidden_global_offset_x
      - .offset:         176
        .size:           8
        .value_kind:     hidden_global_offset_y
      - .offset:         184
        .size:           8
        .value_kind:     hidden_global_offset_z
      - .offset:         192
        .size:           2
        .value_kind:     hidden_grid_dims
      - .offset:         208
        .size:           8
        .value_kind:     hidden_hostcall_buffer
    .group_segment_fixed_size: 0
    .kernarg_segment_align: 8
    .kernarg_segment_size: 384
    .language:       OpenCL C
    .language_version:
      - 2
      - 0
    .max_flat_workgroup_size: 320
    .name:           _ZL13mul_mat_f_idsI15__hip_bfloat162Li32ELi14ELi5EEvPKT_PKfPKiS7_S7_Pfiiiiiiiiiiiiii15HIP_vector_typeIjLj3EESA_
    .private_segment_fixed_size: 16
    .sgpr_count:     40
    .sgpr_spill_count: 0
    .symbol:         _ZL13mul_mat_f_idsI15__hip_bfloat162Li32ELi14ELi5EEvPKT_PKfPKiS7_S7_Pfiiiiiiiiiiiiii15HIP_vector_typeIjLj3EESA_.kd
    .uniform_work_group_size: 1
    .uses_dynamic_stack: false
    .vgpr_count:     41
    .vgpr_spill_count: 0
    .wavefront_size: 64
  - .agpr_count:     0
    .args:
      - .actual_access:  read_only
        .address_space:  global
        .offset:         0
        .size:           8
        .value_kind:     global_buffer
      - .actual_access:  read_only
        .address_space:  global
        .offset:         8
        .size:           8
        .value_kind:     global_buffer
      - .actual_access:  read_only
        .address_space:  global
        .offset:         16
        .size:           8
        .value_kind:     global_buffer
      - .actual_access:  read_only
        .address_space:  global
        .offset:         24
        .size:           8
        .value_kind:     global_buffer
      - .offset:         32
        .size:           4
        .value_kind:     by_value
      - .offset:         36
        .size:           4
        .value_kind:     by_value
      - .offset:         40
        .size:           4
        .value_kind:     by_value
      - .offset:         44
        .size:           4
        .value_kind:     by_value
      - .offset:         48
        .size:           4
        .value_kind:     by_value
      - .offset:         52
        .size:           4
        .value_kind:     by_value
      - .offset:         56
        .size:           4
        .value_kind:     by_value
      - .offset:         60
        .size:           4
        .value_kind:     by_value
      - .offset:         64
        .size:           4
        .value_kind:     by_value
      - .offset:         68
        .size:           4
        .value_kind:     by_value
      - .offset:         72
        .size:           4
        .value_kind:     by_value
      - .offset:         76
        .size:           4
        .value_kind:     by_value
      - .offset:         80
        .size:           4
        .value_kind:     by_value
      - .offset:         84
        .size:           4
        .value_kind:     by_value
      - .offset:         88
        .size:           4
        .value_kind:     by_value
      - .offset:         92
        .size:           4
        .value_kind:     by_value
      - .offset:         96
        .size:           4
        .value_kind:     hidden_block_count_x
      - .offset:         100
        .size:           4
        .value_kind:     hidden_block_count_y
      - .offset:         104
        .size:           4
        .value_kind:     hidden_block_count_z
      - .offset:         108
        .size:           2
        .value_kind:     hidden_group_size_x
      - .offset:         110
        .size:           2
        .value_kind:     hidden_group_size_y
      - .offset:         112
        .size:           2
        .value_kind:     hidden_group_size_z
      - .offset:         114
        .size:           2
        .value_kind:     hidden_remainder_x
      - .offset:         116
        .size:           2
        .value_kind:     hidden_remainder_y
      - .offset:         118
        .size:           2
        .value_kind:     hidden_remainder_z
      - .offset:         136
        .size:           8
        .value_kind:     hidden_global_offset_x
      - .offset:         144
        .size:           8
        .value_kind:     hidden_global_offset_y
      - .offset:         152
        .size:           8
        .value_kind:     hidden_global_offset_z
      - .offset:         160
        .size:           2
        .value_kind:     hidden_grid_dims
      - .offset:         176
        .size:           8
        .value_kind:     hidden_hostcall_buffer
    .group_segment_fixed_size: 0
    .kernarg_segment_align: 8
    .kernarg_segment_size: 352
    .language:       OpenCL C
    .language_version:
      - 2
      - 0
    .max_flat_workgroup_size: 320
    .name:           _ZL9mul_mat_fI15__hip_bfloat162Li32ELi14ELi5ELb1EEvPKT_PKfPKiPfiiiiiiiiiiiiiiii
    .private_segment_fixed_size: 16
    .sgpr_count:     40
    .sgpr_spill_count: 0
    .symbol:         _ZL9mul_mat_fI15__hip_bfloat162Li32ELi14ELi5ELb1EEvPKT_PKfPKiPfiiiiiiiiiiiiiiii.kd
    .uniform_work_group_size: 1
    .uses_dynamic_stack: false
    .vgpr_count:     41
    .vgpr_spill_count: 0
    .wavefront_size: 64
  - .agpr_count:     0
    .args:
      - .actual_access:  read_only
        .address_space:  global
        .offset:         0
        .size:           8
        .value_kind:     global_buffer
      - .actual_access:  read_only
        .address_space:  global
        .offset:         8
        .size:           8
        .value_kind:     global_buffer
      - .actual_access:  read_only
        .address_space:  global
        .offset:         16
        .size:           8
        .value_kind:     global_buffer
      - .actual_access:  read_only
        .address_space:  global
        .offset:         24
        .size:           8
        .value_kind:     global_buffer
      - .offset:         32
        .size:           4
        .value_kind:     by_value
      - .offset:         36
        .size:           4
        .value_kind:     by_value
      - .offset:         40
        .size:           4
        .value_kind:     by_value
      - .offset:         44
        .size:           4
        .value_kind:     by_value
      - .offset:         48
        .size:           4
        .value_kind:     by_value
      - .offset:         52
        .size:           4
        .value_kind:     by_value
      - .offset:         56
        .size:           4
        .value_kind:     by_value
      - .offset:         60
        .size:           4
        .value_kind:     by_value
      - .offset:         64
        .size:           4
        .value_kind:     by_value
      - .offset:         68
        .size:           4
        .value_kind:     by_value
      - .offset:         72
        .size:           4
        .value_kind:     by_value
      - .offset:         76
        .size:           4
        .value_kind:     by_value
      - .offset:         80
        .size:           4
        .value_kind:     by_value
      - .offset:         84
        .size:           4
        .value_kind:     by_value
      - .offset:         88
        .size:           4
        .value_kind:     by_value
      - .offset:         92
        .size:           4
        .value_kind:     by_value
      - .offset:         96
        .size:           4
        .value_kind:     hidden_block_count_x
      - .offset:         100
        .size:           4
        .value_kind:     hidden_block_count_y
      - .offset:         104
        .size:           4
        .value_kind:     hidden_block_count_z
      - .offset:         108
        .size:           2
        .value_kind:     hidden_group_size_x
      - .offset:         110
        .size:           2
        .value_kind:     hidden_group_size_y
      - .offset:         112
        .size:           2
        .value_kind:     hidden_group_size_z
      - .offset:         114
        .size:           2
        .value_kind:     hidden_remainder_x
      - .offset:         116
        .size:           2
        .value_kind:     hidden_remainder_y
      - .offset:         118
        .size:           2
        .value_kind:     hidden_remainder_z
      - .offset:         136
        .size:           8
        .value_kind:     hidden_global_offset_x
      - .offset:         144
        .size:           8
        .value_kind:     hidden_global_offset_y
      - .offset:         152
        .size:           8
        .value_kind:     hidden_global_offset_z
      - .offset:         160
        .size:           2
        .value_kind:     hidden_grid_dims
      - .offset:         176
        .size:           8
        .value_kind:     hidden_hostcall_buffer
    .group_segment_fixed_size: 0
    .kernarg_segment_align: 8
    .kernarg_segment_size: 352
    .language:       OpenCL C
    .language_version:
      - 2
      - 0
    .max_flat_workgroup_size: 320
    .name:           _ZL9mul_mat_fI15__hip_bfloat162Li32ELi14ELi5ELb0EEvPKT_PKfPKiPfiiiiiiiiiiiiiiii
    .private_segment_fixed_size: 16
    .sgpr_count:     40
    .sgpr_spill_count: 0
    .symbol:         _ZL9mul_mat_fI15__hip_bfloat162Li32ELi14ELi5ELb0EEvPKT_PKfPKiPfiiiiiiiiiiiiiiii.kd
    .uniform_work_group_size: 1
    .uses_dynamic_stack: false
    .vgpr_count:     41
    .vgpr_spill_count: 0
    .wavefront_size: 64
  - .agpr_count:     0
    .args:
      - .actual_access:  read_only
        .address_space:  global
        .offset:         0
        .size:           8
        .value_kind:     global_buffer
      - .actual_access:  read_only
        .address_space:  global
        .offset:         8
        .size:           8
        .value_kind:     global_buffer
      - .actual_access:  read_only
        .address_space:  global
        .offset:         16
        .size:           8
        .value_kind:     global_buffer
      - .actual_access:  read_only
        .address_space:  global
        .offset:         24
        .size:           8
        .value_kind:     global_buffer
      - .actual_access:  read_only
        .address_space:  global
        .offset:         32
        .size:           8
        .value_kind:     global_buffer
      - .actual_access:  read_only
        .address_space:  global
        .offset:         40
        .size:           8
        .value_kind:     global_buffer
      - .offset:         48
        .size:           4
        .value_kind:     by_value
      - .offset:         52
        .size:           4
        .value_kind:     by_value
      - .offset:         56
        .size:           4
        .value_kind:     by_value
      - .offset:         60
        .size:           4
        .value_kind:     by_value
      - .offset:         64
        .size:           4
        .value_kind:     by_value
      - .offset:         68
        .size:           4
        .value_kind:     by_value
      - .offset:         72
        .size:           4
        .value_kind:     by_value
      - .offset:         76
        .size:           4
        .value_kind:     by_value
      - .offset:         80
        .size:           4
        .value_kind:     by_value
      - .offset:         84
        .size:           4
        .value_kind:     by_value
      - .offset:         88
        .size:           4
        .value_kind:     by_value
      - .offset:         92
        .size:           4
        .value_kind:     by_value
      - .offset:         96
        .size:           4
        .value_kind:     by_value
      - .offset:         100
        .size:           4
        .value_kind:     by_value
      - .offset:         104
        .size:           12
        .value_kind:     by_value
      - .offset:         116
        .size:           12
        .value_kind:     by_value
      - .offset:         128
        .size:           4
        .value_kind:     hidden_block_count_x
      - .offset:         132
        .size:           4
        .value_kind:     hidden_block_count_y
      - .offset:         136
        .size:           4
        .value_kind:     hidden_block_count_z
      - .offset:         140
        .size:           2
        .value_kind:     hidden_group_size_x
      - .offset:         142
        .size:           2
        .value_kind:     hidden_group_size_y
      - .offset:         144
        .size:           2
        .value_kind:     hidden_group_size_z
      - .offset:         146
        .size:           2
        .value_kind:     hidden_remainder_x
      - .offset:         148
        .size:           2
        .value_kind:     hidden_remainder_y
      - .offset:         150
        .size:           2
        .value_kind:     hidden_remainder_z
      - .offset:         168
        .size:           8
        .value_kind:     hidden_global_offset_x
      - .offset:         176
        .size:           8
        .value_kind:     hidden_global_offset_y
      - .offset:         184
        .size:           8
        .value_kind:     hidden_global_offset_z
      - .offset:         192
        .size:           2
        .value_kind:     hidden_grid_dims
      - .offset:         208
        .size:           8
        .value_kind:     hidden_hostcall_buffer
    .group_segment_fixed_size: 0
    .kernarg_segment_align: 8
    .kernarg_segment_size: 384
    .language:       OpenCL C
    .language_version:
      - 2
      - 0
    .max_flat_workgroup_size: 384
    .name:           _ZL13mul_mat_f_idsI15__hip_bfloat162Li32ELi14ELi6EEvPKT_PKfPKiS7_S7_Pfiiiiiiiiiiiiii15HIP_vector_typeIjLj3EESA_
    .private_segment_fixed_size: 16
    .sgpr_count:     40
    .sgpr_spill_count: 0
    .symbol:         _ZL13mul_mat_f_idsI15__hip_bfloat162Li32ELi14ELi6EEvPKT_PKfPKiS7_S7_Pfiiiiiiiiiiiiii15HIP_vector_typeIjLj3EESA_.kd
    .uniform_work_group_size: 1
    .uses_dynamic_stack: false
    .vgpr_count:     41
    .vgpr_spill_count: 0
    .wavefront_size: 64
  - .agpr_count:     0
    .args:
      - .actual_access:  read_only
        .address_space:  global
        .offset:         0
        .size:           8
        .value_kind:     global_buffer
      - .actual_access:  read_only
        .address_space:  global
        .offset:         8
        .size:           8
        .value_kind:     global_buffer
      - .actual_access:  read_only
        .address_space:  global
        .offset:         16
        .size:           8
        .value_kind:     global_buffer
      - .actual_access:  read_only
        .address_space:  global
        .offset:         24
        .size:           8
        .value_kind:     global_buffer
      - .offset:         32
        .size:           4
        .value_kind:     by_value
      - .offset:         36
        .size:           4
        .value_kind:     by_value
      - .offset:         40
        .size:           4
        .value_kind:     by_value
      - .offset:         44
        .size:           4
        .value_kind:     by_value
      - .offset:         48
        .size:           4
        .value_kind:     by_value
      - .offset:         52
        .size:           4
        .value_kind:     by_value
      - .offset:         56
        .size:           4
        .value_kind:     by_value
      - .offset:         60
        .size:           4
        .value_kind:     by_value
      - .offset:         64
        .size:           4
        .value_kind:     by_value
      - .offset:         68
        .size:           4
        .value_kind:     by_value
      - .offset:         72
        .size:           4
        .value_kind:     by_value
      - .offset:         76
        .size:           4
        .value_kind:     by_value
      - .offset:         80
        .size:           4
        .value_kind:     by_value
      - .offset:         84
        .size:           4
        .value_kind:     by_value
      - .offset:         88
        .size:           4
        .value_kind:     by_value
      - .offset:         92
        .size:           4
        .value_kind:     by_value
      - .offset:         96
        .size:           4
        .value_kind:     hidden_block_count_x
      - .offset:         100
        .size:           4
        .value_kind:     hidden_block_count_y
      - .offset:         104
        .size:           4
        .value_kind:     hidden_block_count_z
      - .offset:         108
        .size:           2
        .value_kind:     hidden_group_size_x
      - .offset:         110
        .size:           2
        .value_kind:     hidden_group_size_y
      - .offset:         112
        .size:           2
        .value_kind:     hidden_group_size_z
      - .offset:         114
        .size:           2
        .value_kind:     hidden_remainder_x
      - .offset:         116
        .size:           2
        .value_kind:     hidden_remainder_y
      - .offset:         118
        .size:           2
        .value_kind:     hidden_remainder_z
      - .offset:         136
        .size:           8
        .value_kind:     hidden_global_offset_x
      - .offset:         144
        .size:           8
        .value_kind:     hidden_global_offset_y
      - .offset:         152
        .size:           8
        .value_kind:     hidden_global_offset_z
      - .offset:         160
        .size:           2
        .value_kind:     hidden_grid_dims
      - .offset:         176
        .size:           8
        .value_kind:     hidden_hostcall_buffer
    .group_segment_fixed_size: 0
    .kernarg_segment_align: 8
    .kernarg_segment_size: 352
    .language:       OpenCL C
    .language_version:
      - 2
      - 0
    .max_flat_workgroup_size: 384
    .name:           _ZL9mul_mat_fI15__hip_bfloat162Li32ELi14ELi6ELb1EEvPKT_PKfPKiPfiiiiiiiiiiiiiiii
    .private_segment_fixed_size: 16
    .sgpr_count:     40
    .sgpr_spill_count: 0
    .symbol:         _ZL9mul_mat_fI15__hip_bfloat162Li32ELi14ELi6ELb1EEvPKT_PKfPKiPfiiiiiiiiiiiiiiii.kd
    .uniform_work_group_size: 1
    .uses_dynamic_stack: false
    .vgpr_count:     41
    .vgpr_spill_count: 0
    .wavefront_size: 64
  - .agpr_count:     0
    .args:
      - .actual_access:  read_only
        .address_space:  global
        .offset:         0
        .size:           8
        .value_kind:     global_buffer
      - .actual_access:  read_only
        .address_space:  global
        .offset:         8
        .size:           8
        .value_kind:     global_buffer
      - .actual_access:  read_only
        .address_space:  global
        .offset:         16
        .size:           8
        .value_kind:     global_buffer
      - .actual_access:  read_only
        .address_space:  global
        .offset:         24
        .size:           8
        .value_kind:     global_buffer
      - .offset:         32
        .size:           4
        .value_kind:     by_value
      - .offset:         36
        .size:           4
        .value_kind:     by_value
      - .offset:         40
        .size:           4
        .value_kind:     by_value
      - .offset:         44
        .size:           4
        .value_kind:     by_value
      - .offset:         48
        .size:           4
        .value_kind:     by_value
      - .offset:         52
        .size:           4
        .value_kind:     by_value
      - .offset:         56
        .size:           4
        .value_kind:     by_value
      - .offset:         60
        .size:           4
        .value_kind:     by_value
      - .offset:         64
        .size:           4
        .value_kind:     by_value
      - .offset:         68
        .size:           4
        .value_kind:     by_value
      - .offset:         72
        .size:           4
        .value_kind:     by_value
      - .offset:         76
        .size:           4
        .value_kind:     by_value
      - .offset:         80
        .size:           4
        .value_kind:     by_value
      - .offset:         84
        .size:           4
        .value_kind:     by_value
      - .offset:         88
        .size:           4
        .value_kind:     by_value
      - .offset:         92
        .size:           4
        .value_kind:     by_value
      - .offset:         96
        .size:           4
        .value_kind:     hidden_block_count_x
      - .offset:         100
        .size:           4
        .value_kind:     hidden_block_count_y
      - .offset:         104
        .size:           4
        .value_kind:     hidden_block_count_z
      - .offset:         108
        .size:           2
        .value_kind:     hidden_group_size_x
      - .offset:         110
        .size:           2
        .value_kind:     hidden_group_size_y
      - .offset:         112
        .size:           2
        .value_kind:     hidden_group_size_z
      - .offset:         114
        .size:           2
        .value_kind:     hidden_remainder_x
      - .offset:         116
        .size:           2
        .value_kind:     hidden_remainder_y
      - .offset:         118
        .size:           2
        .value_kind:     hidden_remainder_z
      - .offset:         136
        .size:           8
        .value_kind:     hidden_global_offset_x
      - .offset:         144
        .size:           8
        .value_kind:     hidden_global_offset_y
      - .offset:         152
        .size:           8
        .value_kind:     hidden_global_offset_z
      - .offset:         160
        .size:           2
        .value_kind:     hidden_grid_dims
      - .offset:         176
        .size:           8
        .value_kind:     hidden_hostcall_buffer
    .group_segment_fixed_size: 0
    .kernarg_segment_align: 8
    .kernarg_segment_size: 352
    .language:       OpenCL C
    .language_version:
      - 2
      - 0
    .max_flat_workgroup_size: 384
    .name:           _ZL9mul_mat_fI15__hip_bfloat162Li32ELi14ELi6ELb0EEvPKT_PKfPKiPfiiiiiiiiiiiiiiii
    .private_segment_fixed_size: 16
    .sgpr_count:     40
    .sgpr_spill_count: 0
    .symbol:         _ZL9mul_mat_fI15__hip_bfloat162Li32ELi14ELi6ELb0EEvPKT_PKfPKiPfiiiiiiiiiiiiiiii.kd
    .uniform_work_group_size: 1
    .uses_dynamic_stack: false
    .vgpr_count:     41
    .vgpr_spill_count: 0
    .wavefront_size: 64
  - .agpr_count:     0
    .args:
      - .actual_access:  read_only
        .address_space:  global
        .offset:         0
        .size:           8
        .value_kind:     global_buffer
      - .actual_access:  read_only
        .address_space:  global
        .offset:         8
        .size:           8
        .value_kind:     global_buffer
      - .actual_access:  read_only
        .address_space:  global
        .offset:         16
        .size:           8
        .value_kind:     global_buffer
      - .actual_access:  read_only
        .address_space:  global
        .offset:         24
        .size:           8
        .value_kind:     global_buffer
      - .actual_access:  read_only
        .address_space:  global
        .offset:         32
        .size:           8
        .value_kind:     global_buffer
      - .actual_access:  read_only
        .address_space:  global
        .offset:         40
        .size:           8
        .value_kind:     global_buffer
      - .offset:         48
        .size:           4
        .value_kind:     by_value
      - .offset:         52
        .size:           4
        .value_kind:     by_value
      - .offset:         56
        .size:           4
        .value_kind:     by_value
      - .offset:         60
        .size:           4
        .value_kind:     by_value
      - .offset:         64
        .size:           4
        .value_kind:     by_value
      - .offset:         68
        .size:           4
        .value_kind:     by_value
      - .offset:         72
        .size:           4
        .value_kind:     by_value
      - .offset:         76
        .size:           4
        .value_kind:     by_value
      - .offset:         80
        .size:           4
        .value_kind:     by_value
      - .offset:         84
        .size:           4
        .value_kind:     by_value
      - .offset:         88
        .size:           4
        .value_kind:     by_value
      - .offset:         92
        .size:           4
        .value_kind:     by_value
      - .offset:         96
        .size:           4
        .value_kind:     by_value
      - .offset:         100
        .size:           4
        .value_kind:     by_value
      - .offset:         104
        .size:           12
        .value_kind:     by_value
      - .offset:         116
        .size:           12
        .value_kind:     by_value
      - .offset:         128
        .size:           4
        .value_kind:     hidden_block_count_x
      - .offset:         132
        .size:           4
        .value_kind:     hidden_block_count_y
      - .offset:         136
        .size:           4
        .value_kind:     hidden_block_count_z
      - .offset:         140
        .size:           2
        .value_kind:     hidden_group_size_x
      - .offset:         142
        .size:           2
        .value_kind:     hidden_group_size_y
      - .offset:         144
        .size:           2
        .value_kind:     hidden_group_size_z
      - .offset:         146
        .size:           2
        .value_kind:     hidden_remainder_x
      - .offset:         148
        .size:           2
        .value_kind:     hidden_remainder_y
      - .offset:         150
        .size:           2
        .value_kind:     hidden_remainder_z
      - .offset:         168
        .size:           8
        .value_kind:     hidden_global_offset_x
      - .offset:         176
        .size:           8
        .value_kind:     hidden_global_offset_y
      - .offset:         184
        .size:           8
        .value_kind:     hidden_global_offset_z
      - .offset:         192
        .size:           2
        .value_kind:     hidden_grid_dims
      - .offset:         208
        .size:           8
        .value_kind:     hidden_hostcall_buffer
    .group_segment_fixed_size: 0
    .kernarg_segment_align: 8
    .kernarg_segment_size: 384
    .language:       OpenCL C
    .language_version:
      - 2
      - 0
    .max_flat_workgroup_size: 448
    .name:           _ZL13mul_mat_f_idsI15__hip_bfloat162Li32ELi14ELi7EEvPKT_PKfPKiS7_S7_Pfiiiiiiiiiiiiii15HIP_vector_typeIjLj3EESA_
    .private_segment_fixed_size: 16
    .sgpr_count:     40
    .sgpr_spill_count: 0
    .symbol:         _ZL13mul_mat_f_idsI15__hip_bfloat162Li32ELi14ELi7EEvPKT_PKfPKiS7_S7_Pfiiiiiiiiiiiiii15HIP_vector_typeIjLj3EESA_.kd
    .uniform_work_group_size: 1
    .uses_dynamic_stack: false
    .vgpr_count:     41
    .vgpr_spill_count: 0
    .wavefront_size: 64
  - .agpr_count:     0
    .args:
      - .actual_access:  read_only
        .address_space:  global
        .offset:         0
        .size:           8
        .value_kind:     global_buffer
      - .actual_access:  read_only
        .address_space:  global
        .offset:         8
        .size:           8
        .value_kind:     global_buffer
      - .actual_access:  read_only
        .address_space:  global
        .offset:         16
        .size:           8
        .value_kind:     global_buffer
      - .actual_access:  read_only
        .address_space:  global
        .offset:         24
        .size:           8
        .value_kind:     global_buffer
      - .offset:         32
        .size:           4
        .value_kind:     by_value
      - .offset:         36
        .size:           4
        .value_kind:     by_value
      - .offset:         40
        .size:           4
        .value_kind:     by_value
      - .offset:         44
        .size:           4
        .value_kind:     by_value
      - .offset:         48
        .size:           4
        .value_kind:     by_value
      - .offset:         52
        .size:           4
        .value_kind:     by_value
      - .offset:         56
        .size:           4
        .value_kind:     by_value
      - .offset:         60
        .size:           4
        .value_kind:     by_value
      - .offset:         64
        .size:           4
        .value_kind:     by_value
      - .offset:         68
        .size:           4
        .value_kind:     by_value
      - .offset:         72
        .size:           4
        .value_kind:     by_value
      - .offset:         76
        .size:           4
        .value_kind:     by_value
      - .offset:         80
        .size:           4
        .value_kind:     by_value
      - .offset:         84
        .size:           4
        .value_kind:     by_value
      - .offset:         88
        .size:           4
        .value_kind:     by_value
      - .offset:         92
        .size:           4
        .value_kind:     by_value
      - .offset:         96
        .size:           4
        .value_kind:     hidden_block_count_x
      - .offset:         100
        .size:           4
        .value_kind:     hidden_block_count_y
      - .offset:         104
        .size:           4
        .value_kind:     hidden_block_count_z
      - .offset:         108
        .size:           2
        .value_kind:     hidden_group_size_x
      - .offset:         110
        .size:           2
        .value_kind:     hidden_group_size_y
      - .offset:         112
        .size:           2
        .value_kind:     hidden_group_size_z
      - .offset:         114
        .size:           2
        .value_kind:     hidden_remainder_x
      - .offset:         116
        .size:           2
        .value_kind:     hidden_remainder_y
      - .offset:         118
        .size:           2
        .value_kind:     hidden_remainder_z
      - .offset:         136
        .size:           8
        .value_kind:     hidden_global_offset_x
      - .offset:         144
        .size:           8
        .value_kind:     hidden_global_offset_y
      - .offset:         152
        .size:           8
        .value_kind:     hidden_global_offset_z
      - .offset:         160
        .size:           2
        .value_kind:     hidden_grid_dims
      - .offset:         176
        .size:           8
        .value_kind:     hidden_hostcall_buffer
    .group_segment_fixed_size: 0
    .kernarg_segment_align: 8
    .kernarg_segment_size: 352
    .language:       OpenCL C
    .language_version:
      - 2
      - 0
    .max_flat_workgroup_size: 448
    .name:           _ZL9mul_mat_fI15__hip_bfloat162Li32ELi14ELi7ELb1EEvPKT_PKfPKiPfiiiiiiiiiiiiiiii
    .private_segment_fixed_size: 16
    .sgpr_count:     40
    .sgpr_spill_count: 0
    .symbol:         _ZL9mul_mat_fI15__hip_bfloat162Li32ELi14ELi7ELb1EEvPKT_PKfPKiPfiiiiiiiiiiiiiiii.kd
    .uniform_work_group_size: 1
    .uses_dynamic_stack: false
    .vgpr_count:     41
    .vgpr_spill_count: 0
    .wavefront_size: 64
  - .agpr_count:     0
    .args:
      - .actual_access:  read_only
        .address_space:  global
        .offset:         0
        .size:           8
        .value_kind:     global_buffer
      - .actual_access:  read_only
        .address_space:  global
        .offset:         8
        .size:           8
        .value_kind:     global_buffer
      - .actual_access:  read_only
        .address_space:  global
        .offset:         16
        .size:           8
        .value_kind:     global_buffer
      - .actual_access:  read_only
        .address_space:  global
        .offset:         24
        .size:           8
        .value_kind:     global_buffer
      - .offset:         32
        .size:           4
        .value_kind:     by_value
      - .offset:         36
        .size:           4
        .value_kind:     by_value
      - .offset:         40
        .size:           4
        .value_kind:     by_value
      - .offset:         44
        .size:           4
        .value_kind:     by_value
      - .offset:         48
        .size:           4
        .value_kind:     by_value
      - .offset:         52
        .size:           4
        .value_kind:     by_value
      - .offset:         56
        .size:           4
        .value_kind:     by_value
      - .offset:         60
        .size:           4
        .value_kind:     by_value
      - .offset:         64
        .size:           4
        .value_kind:     by_value
      - .offset:         68
        .size:           4
        .value_kind:     by_value
      - .offset:         72
        .size:           4
        .value_kind:     by_value
      - .offset:         76
        .size:           4
        .value_kind:     by_value
      - .offset:         80
        .size:           4
        .value_kind:     by_value
      - .offset:         84
        .size:           4
        .value_kind:     by_value
      - .offset:         88
        .size:           4
        .value_kind:     by_value
      - .offset:         92
        .size:           4
        .value_kind:     by_value
      - .offset:         96
        .size:           4
        .value_kind:     hidden_block_count_x
      - .offset:         100
        .size:           4
        .value_kind:     hidden_block_count_y
      - .offset:         104
        .size:           4
        .value_kind:     hidden_block_count_z
      - .offset:         108
        .size:           2
        .value_kind:     hidden_group_size_x
      - .offset:         110
        .size:           2
        .value_kind:     hidden_group_size_y
      - .offset:         112
        .size:           2
        .value_kind:     hidden_group_size_z
      - .offset:         114
        .size:           2
        .value_kind:     hidden_remainder_x
      - .offset:         116
        .size:           2
        .value_kind:     hidden_remainder_y
      - .offset:         118
        .size:           2
        .value_kind:     hidden_remainder_z
      - .offset:         136
        .size:           8
        .value_kind:     hidden_global_offset_x
      - .offset:         144
        .size:           8
        .value_kind:     hidden_global_offset_y
      - .offset:         152
        .size:           8
        .value_kind:     hidden_global_offset_z
      - .offset:         160
        .size:           2
        .value_kind:     hidden_grid_dims
      - .offset:         176
        .size:           8
        .value_kind:     hidden_hostcall_buffer
    .group_segment_fixed_size: 0
    .kernarg_segment_align: 8
    .kernarg_segment_size: 352
    .language:       OpenCL C
    .language_version:
      - 2
      - 0
    .max_flat_workgroup_size: 448
    .name:           _ZL9mul_mat_fI15__hip_bfloat162Li32ELi14ELi7ELb0EEvPKT_PKfPKiPfiiiiiiiiiiiiiiii
    .private_segment_fixed_size: 16
    .sgpr_count:     40
    .sgpr_spill_count: 0
    .symbol:         _ZL9mul_mat_fI15__hip_bfloat162Li32ELi14ELi7ELb0EEvPKT_PKfPKiPfiiiiiiiiiiiiiiii.kd
    .uniform_work_group_size: 1
    .uses_dynamic_stack: false
    .vgpr_count:     41
    .vgpr_spill_count: 0
    .wavefront_size: 64
  - .agpr_count:     0
    .args:
      - .actual_access:  read_only
        .address_space:  global
        .offset:         0
        .size:           8
        .value_kind:     global_buffer
      - .actual_access:  read_only
        .address_space:  global
        .offset:         8
        .size:           8
        .value_kind:     global_buffer
      - .actual_access:  read_only
        .address_space:  global
        .offset:         16
        .size:           8
        .value_kind:     global_buffer
      - .actual_access:  read_only
        .address_space:  global
        .offset:         24
        .size:           8
        .value_kind:     global_buffer
      - .actual_access:  read_only
        .address_space:  global
        .offset:         32
        .size:           8
        .value_kind:     global_buffer
      - .actual_access:  read_only
        .address_space:  global
        .offset:         40
        .size:           8
        .value_kind:     global_buffer
      - .offset:         48
        .size:           4
        .value_kind:     by_value
      - .offset:         52
        .size:           4
        .value_kind:     by_value
      - .offset:         56
        .size:           4
        .value_kind:     by_value
      - .offset:         60
        .size:           4
        .value_kind:     by_value
      - .offset:         64
        .size:           4
        .value_kind:     by_value
      - .offset:         68
        .size:           4
        .value_kind:     by_value
      - .offset:         72
        .size:           4
        .value_kind:     by_value
      - .offset:         76
        .size:           4
        .value_kind:     by_value
      - .offset:         80
        .size:           4
        .value_kind:     by_value
      - .offset:         84
        .size:           4
        .value_kind:     by_value
      - .offset:         88
        .size:           4
        .value_kind:     by_value
      - .offset:         92
        .size:           4
        .value_kind:     by_value
      - .offset:         96
        .size:           4
        .value_kind:     by_value
      - .offset:         100
        .size:           4
        .value_kind:     by_value
      - .offset:         104
        .size:           12
        .value_kind:     by_value
      - .offset:         116
        .size:           12
        .value_kind:     by_value
      - .offset:         128
        .size:           4
        .value_kind:     hidden_block_count_x
      - .offset:         132
        .size:           4
        .value_kind:     hidden_block_count_y
      - .offset:         136
        .size:           4
        .value_kind:     hidden_block_count_z
      - .offset:         140
        .size:           2
        .value_kind:     hidden_group_size_x
      - .offset:         142
        .size:           2
        .value_kind:     hidden_group_size_y
      - .offset:         144
        .size:           2
        .value_kind:     hidden_group_size_z
      - .offset:         146
        .size:           2
        .value_kind:     hidden_remainder_x
      - .offset:         148
        .size:           2
        .value_kind:     hidden_remainder_y
      - .offset:         150
        .size:           2
        .value_kind:     hidden_remainder_z
      - .offset:         168
        .size:           8
        .value_kind:     hidden_global_offset_x
      - .offset:         176
        .size:           8
        .value_kind:     hidden_global_offset_y
      - .offset:         184
        .size:           8
        .value_kind:     hidden_global_offset_z
      - .offset:         192
        .size:           2
        .value_kind:     hidden_grid_dims
      - .offset:         208
        .size:           8
        .value_kind:     hidden_hostcall_buffer
    .group_segment_fixed_size: 0
    .kernarg_segment_align: 8
    .kernarg_segment_size: 384
    .language:       OpenCL C
    .language_version:
      - 2
      - 0
    .max_flat_workgroup_size: 512
    .name:           _ZL13mul_mat_f_idsI15__hip_bfloat162Li32ELi14ELi8EEvPKT_PKfPKiS7_S7_Pfiiiiiiiiiiiiii15HIP_vector_typeIjLj3EESA_
    .private_segment_fixed_size: 16
    .sgpr_count:     40
    .sgpr_spill_count: 0
    .symbol:         _ZL13mul_mat_f_idsI15__hip_bfloat162Li32ELi14ELi8EEvPKT_PKfPKiS7_S7_Pfiiiiiiiiiiiiii15HIP_vector_typeIjLj3EESA_.kd
    .uniform_work_group_size: 1
    .uses_dynamic_stack: false
    .vgpr_count:     41
    .vgpr_spill_count: 0
    .wavefront_size: 64
  - .agpr_count:     0
    .args:
      - .actual_access:  read_only
        .address_space:  global
        .offset:         0
        .size:           8
        .value_kind:     global_buffer
      - .actual_access:  read_only
        .address_space:  global
        .offset:         8
        .size:           8
        .value_kind:     global_buffer
      - .actual_access:  read_only
        .address_space:  global
        .offset:         16
        .size:           8
        .value_kind:     global_buffer
      - .actual_access:  read_only
        .address_space:  global
        .offset:         24
        .size:           8
        .value_kind:     global_buffer
      - .offset:         32
        .size:           4
        .value_kind:     by_value
      - .offset:         36
        .size:           4
        .value_kind:     by_value
      - .offset:         40
        .size:           4
        .value_kind:     by_value
      - .offset:         44
        .size:           4
        .value_kind:     by_value
      - .offset:         48
        .size:           4
        .value_kind:     by_value
      - .offset:         52
        .size:           4
        .value_kind:     by_value
      - .offset:         56
        .size:           4
        .value_kind:     by_value
      - .offset:         60
        .size:           4
        .value_kind:     by_value
      - .offset:         64
        .size:           4
        .value_kind:     by_value
      - .offset:         68
        .size:           4
        .value_kind:     by_value
      - .offset:         72
        .size:           4
        .value_kind:     by_value
      - .offset:         76
        .size:           4
        .value_kind:     by_value
      - .offset:         80
        .size:           4
        .value_kind:     by_value
      - .offset:         84
        .size:           4
        .value_kind:     by_value
      - .offset:         88
        .size:           4
        .value_kind:     by_value
      - .offset:         92
        .size:           4
        .value_kind:     by_value
      - .offset:         96
        .size:           4
        .value_kind:     hidden_block_count_x
      - .offset:         100
        .size:           4
        .value_kind:     hidden_block_count_y
      - .offset:         104
        .size:           4
        .value_kind:     hidden_block_count_z
      - .offset:         108
        .size:           2
        .value_kind:     hidden_group_size_x
      - .offset:         110
        .size:           2
        .value_kind:     hidden_group_size_y
      - .offset:         112
        .size:           2
        .value_kind:     hidden_group_size_z
      - .offset:         114
        .size:           2
        .value_kind:     hidden_remainder_x
      - .offset:         116
        .size:           2
        .value_kind:     hidden_remainder_y
      - .offset:         118
        .size:           2
        .value_kind:     hidden_remainder_z
      - .offset:         136
        .size:           8
        .value_kind:     hidden_global_offset_x
      - .offset:         144
        .size:           8
        .value_kind:     hidden_global_offset_y
      - .offset:         152
        .size:           8
        .value_kind:     hidden_global_offset_z
      - .offset:         160
        .size:           2
        .value_kind:     hidden_grid_dims
      - .offset:         176
        .size:           8
        .value_kind:     hidden_hostcall_buffer
    .group_segment_fixed_size: 0
    .kernarg_segment_align: 8
    .kernarg_segment_size: 352
    .language:       OpenCL C
    .language_version:
      - 2
      - 0
    .max_flat_workgroup_size: 512
    .name:           _ZL9mul_mat_fI15__hip_bfloat162Li32ELi14ELi8ELb1EEvPKT_PKfPKiPfiiiiiiiiiiiiiiii
    .private_segment_fixed_size: 16
    .sgpr_count:     40
    .sgpr_spill_count: 0
    .symbol:         _ZL9mul_mat_fI15__hip_bfloat162Li32ELi14ELi8ELb1EEvPKT_PKfPKiPfiiiiiiiiiiiiiiii.kd
    .uniform_work_group_size: 1
    .uses_dynamic_stack: false
    .vgpr_count:     41
    .vgpr_spill_count: 0
    .wavefront_size: 64
  - .agpr_count:     0
    .args:
      - .actual_access:  read_only
        .address_space:  global
        .offset:         0
        .size:           8
        .value_kind:     global_buffer
      - .actual_access:  read_only
        .address_space:  global
        .offset:         8
        .size:           8
        .value_kind:     global_buffer
      - .actual_access:  read_only
        .address_space:  global
        .offset:         16
        .size:           8
        .value_kind:     global_buffer
      - .actual_access:  read_only
        .address_space:  global
        .offset:         24
        .size:           8
        .value_kind:     global_buffer
      - .offset:         32
        .size:           4
        .value_kind:     by_value
      - .offset:         36
        .size:           4
        .value_kind:     by_value
      - .offset:         40
        .size:           4
        .value_kind:     by_value
      - .offset:         44
        .size:           4
        .value_kind:     by_value
      - .offset:         48
        .size:           4
        .value_kind:     by_value
      - .offset:         52
        .size:           4
        .value_kind:     by_value
      - .offset:         56
        .size:           4
        .value_kind:     by_value
      - .offset:         60
        .size:           4
        .value_kind:     by_value
      - .offset:         64
        .size:           4
        .value_kind:     by_value
      - .offset:         68
        .size:           4
        .value_kind:     by_value
      - .offset:         72
        .size:           4
        .value_kind:     by_value
      - .offset:         76
        .size:           4
        .value_kind:     by_value
      - .offset:         80
        .size:           4
        .value_kind:     by_value
      - .offset:         84
        .size:           4
        .value_kind:     by_value
      - .offset:         88
        .size:           4
        .value_kind:     by_value
      - .offset:         92
        .size:           4
        .value_kind:     by_value
      - .offset:         96
        .size:           4
        .value_kind:     hidden_block_count_x
      - .offset:         100
        .size:           4
        .value_kind:     hidden_block_count_y
      - .offset:         104
        .size:           4
        .value_kind:     hidden_block_count_z
      - .offset:         108
        .size:           2
        .value_kind:     hidden_group_size_x
      - .offset:         110
        .size:           2
        .value_kind:     hidden_group_size_y
      - .offset:         112
        .size:           2
        .value_kind:     hidden_group_size_z
      - .offset:         114
        .size:           2
        .value_kind:     hidden_remainder_x
      - .offset:         116
        .size:           2
        .value_kind:     hidden_remainder_y
      - .offset:         118
        .size:           2
        .value_kind:     hidden_remainder_z
      - .offset:         136
        .size:           8
        .value_kind:     hidden_global_offset_x
      - .offset:         144
        .size:           8
        .value_kind:     hidden_global_offset_y
      - .offset:         152
        .size:           8
        .value_kind:     hidden_global_offset_z
      - .offset:         160
        .size:           2
        .value_kind:     hidden_grid_dims
      - .offset:         176
        .size:           8
        .value_kind:     hidden_hostcall_buffer
    .group_segment_fixed_size: 0
    .kernarg_segment_align: 8
    .kernarg_segment_size: 352
    .language:       OpenCL C
    .language_version:
      - 2
      - 0
    .max_flat_workgroup_size: 512
    .name:           _ZL9mul_mat_fI15__hip_bfloat162Li32ELi14ELi8ELb0EEvPKT_PKfPKiPfiiiiiiiiiiiiiiii
    .private_segment_fixed_size: 16
    .sgpr_count:     40
    .sgpr_spill_count: 0
    .symbol:         _ZL9mul_mat_fI15__hip_bfloat162Li32ELi14ELi8ELb0EEvPKT_PKfPKiPfiiiiiiiiiiiiiiii.kd
    .uniform_work_group_size: 1
    .uses_dynamic_stack: false
    .vgpr_count:     41
    .vgpr_spill_count: 0
    .wavefront_size: 64
  - .agpr_count:     16
    .args:
      - .actual_access:  read_only
        .address_space:  global
        .offset:         0
        .size:           8
        .value_kind:     global_buffer
      - .actual_access:  read_only
        .address_space:  global
        .offset:         8
        .size:           8
        .value_kind:     global_buffer
      - .actual_access:  read_only
        .address_space:  global
        .offset:         16
        .size:           8
        .value_kind:     global_buffer
      - .actual_access:  read_only
        .address_space:  global
        .offset:         24
        .size:           8
        .value_kind:     global_buffer
      - .actual_access:  read_only
        .address_space:  global
        .offset:         32
        .size:           8
        .value_kind:     global_buffer
      - .actual_access:  write_only
        .address_space:  global
        .offset:         40
        .size:           8
        .value_kind:     global_buffer
      - .offset:         48
        .size:           4
        .value_kind:     by_value
      - .offset:         52
        .size:           4
        .value_kind:     by_value
      - .offset:         56
        .size:           4
        .value_kind:     by_value
      - .offset:         60
        .size:           4
        .value_kind:     by_value
      - .offset:         64
        .size:           4
        .value_kind:     by_value
      - .offset:         68
        .size:           4
        .value_kind:     by_value
      - .offset:         72
        .size:           4
        .value_kind:     by_value
      - .offset:         76
        .size:           4
        .value_kind:     by_value
      - .offset:         80
        .size:           4
        .value_kind:     by_value
      - .offset:         84
        .size:           4
        .value_kind:     by_value
      - .offset:         88
        .size:           4
        .value_kind:     by_value
      - .offset:         92
        .size:           4
        .value_kind:     by_value
      - .offset:         96
        .size:           4
        .value_kind:     by_value
      - .offset:         100
        .size:           4
        .value_kind:     by_value
      - .offset:         104
        .size:           12
        .value_kind:     by_value
      - .offset:         116
        .size:           12
        .value_kind:     by_value
    .group_segment_fixed_size: 0
    .kernarg_segment_align: 8
    .kernarg_segment_size: 128
    .language:       OpenCL C
    .language_version:
      - 2
      - 0
    .max_flat_workgroup_size: 64
    .name:           _ZL13mul_mat_f_idsIfLi64ELi14ELi1EEvPKT_PKfPKiS6_S6_Pfiiiiiiiiiiiiii15HIP_vector_typeIjLj3EES9_
    .private_segment_fixed_size: 0
    .sgpr_count:     106
    .sgpr_spill_count: 28
    .symbol:         _ZL13mul_mat_f_idsIfLi64ELi14ELi1EEvPKT_PKfPKiS6_S6_Pfiiiiiiiiiiiiii15HIP_vector_typeIjLj3EES9_.kd
    .uniform_work_group_size: 1
    .uses_dynamic_stack: false
    .vgpr_count:     108
    .vgpr_spill_count: 0
    .wavefront_size: 64
  - .agpr_count:     16
    .args:
      - .actual_access:  read_only
        .address_space:  global
        .offset:         0
        .size:           8
        .value_kind:     global_buffer
      - .actual_access:  read_only
        .address_space:  global
        .offset:         8
        .size:           8
        .value_kind:     global_buffer
      - .actual_access:  read_only
        .address_space:  global
        .offset:         16
        .size:           8
        .value_kind:     global_buffer
      - .actual_access:  write_only
        .address_space:  global
        .offset:         24
        .size:           8
        .value_kind:     global_buffer
      - .offset:         32
        .size:           4
        .value_kind:     by_value
      - .offset:         36
        .size:           4
        .value_kind:     by_value
      - .offset:         40
        .size:           4
        .value_kind:     by_value
      - .offset:         44
        .size:           4
        .value_kind:     by_value
      - .offset:         48
        .size:           4
        .value_kind:     by_value
      - .offset:         52
        .size:           4
        .value_kind:     by_value
      - .offset:         56
        .size:           4
        .value_kind:     by_value
      - .offset:         60
        .size:           4
        .value_kind:     by_value
      - .offset:         64
        .size:           4
        .value_kind:     by_value
      - .offset:         68
        .size:           4
        .value_kind:     by_value
      - .offset:         72
        .size:           4
        .value_kind:     by_value
      - .offset:         76
        .size:           4
        .value_kind:     by_value
      - .offset:         80
        .size:           4
        .value_kind:     by_value
      - .offset:         84
        .size:           4
        .value_kind:     by_value
      - .offset:         88
        .size:           4
        .value_kind:     by_value
      - .offset:         92
        .size:           4
        .value_kind:     by_value
      - .offset:         96
        .size:           4
        .value_kind:     hidden_block_count_x
      - .offset:         100
        .size:           4
        .value_kind:     hidden_block_count_y
      - .offset:         104
        .size:           4
        .value_kind:     hidden_block_count_z
      - .offset:         108
        .size:           2
        .value_kind:     hidden_group_size_x
      - .offset:         110
        .size:           2
        .value_kind:     hidden_group_size_y
      - .offset:         112
        .size:           2
        .value_kind:     hidden_group_size_z
      - .offset:         114
        .size:           2
        .value_kind:     hidden_remainder_x
      - .offset:         116
        .size:           2
        .value_kind:     hidden_remainder_y
      - .offset:         118
        .size:           2
        .value_kind:     hidden_remainder_z
      - .offset:         136
        .size:           8
        .value_kind:     hidden_global_offset_x
      - .offset:         144
        .size:           8
        .value_kind:     hidden_global_offset_y
      - .offset:         152
        .size:           8
        .value_kind:     hidden_global_offset_z
      - .offset:         160
        .size:           2
        .value_kind:     hidden_grid_dims
      - .offset:         216
        .size:           4
        .value_kind:     hidden_dynamic_lds_size
    .group_segment_fixed_size: 256
    .kernarg_segment_align: 8
    .kernarg_segment_size: 352
    .language:       OpenCL C
    .language_version:
      - 2
      - 0
    .max_flat_workgroup_size: 64
    .name:           _ZL9mul_mat_fIfLi64ELi14ELi1ELb1EEvPKT_PKfPKiPfiiiiiiiiiiiiiiii
    .private_segment_fixed_size: 0
    .sgpr_count:     106
    .sgpr_spill_count: 43
    .symbol:         _ZL9mul_mat_fIfLi64ELi14ELi1ELb1EEvPKT_PKfPKiPfiiiiiiiiiiiiiiii.kd
    .uniform_work_group_size: 1
    .uses_dynamic_stack: false
    .vgpr_count:     120
    .vgpr_spill_count: 0
    .wavefront_size: 64
  - .agpr_count:     16
    .args:
      - .actual_access:  read_only
        .address_space:  global
        .offset:         0
        .size:           8
        .value_kind:     global_buffer
      - .actual_access:  read_only
        .address_space:  global
        .offset:         8
        .size:           8
        .value_kind:     global_buffer
      - .actual_access:  read_only
        .address_space:  global
        .offset:         16
        .size:           8
        .value_kind:     global_buffer
      - .actual_access:  write_only
        .address_space:  global
        .offset:         24
        .size:           8
        .value_kind:     global_buffer
      - .offset:         32
        .size:           4
        .value_kind:     by_value
      - .offset:         36
        .size:           4
        .value_kind:     by_value
      - .offset:         40
        .size:           4
        .value_kind:     by_value
      - .offset:         44
        .size:           4
        .value_kind:     by_value
      - .offset:         48
        .size:           4
        .value_kind:     by_value
      - .offset:         52
        .size:           4
        .value_kind:     by_value
      - .offset:         56
        .size:           4
        .value_kind:     by_value
      - .offset:         60
        .size:           4
        .value_kind:     by_value
      - .offset:         64
        .size:           4
        .value_kind:     by_value
      - .offset:         68
        .size:           4
        .value_kind:     by_value
      - .offset:         72
        .size:           4
        .value_kind:     by_value
      - .offset:         76
        .size:           4
        .value_kind:     by_value
      - .offset:         80
        .size:           4
        .value_kind:     by_value
      - .offset:         84
        .size:           4
        .value_kind:     by_value
      - .offset:         88
        .size:           4
        .value_kind:     by_value
      - .offset:         92
        .size:           4
        .value_kind:     by_value
    .group_segment_fixed_size: 0
    .kernarg_segment_align: 8
    .kernarg_segment_size: 96
    .language:       OpenCL C
    .language_version:
      - 2
      - 0
    .max_flat_workgroup_size: 64
    .name:           _ZL9mul_mat_fIfLi64ELi14ELi1ELb0EEvPKT_PKfPKiPfiiiiiiiiiiiiiiii
    .private_segment_fixed_size: 0
    .sgpr_count:     98
    .sgpr_spill_count: 0
    .symbol:         _ZL9mul_mat_fIfLi64ELi14ELi1ELb0EEvPKT_PKfPKiPfiiiiiiiiiiiiiiii.kd
    .uniform_work_group_size: 1
    .uses_dynamic_stack: false
    .vgpr_count:     136
    .vgpr_spill_count: 0
    .wavefront_size: 64
  - .agpr_count:     16
    .args:
      - .actual_access:  read_only
        .address_space:  global
        .offset:         0
        .size:           8
        .value_kind:     global_buffer
      - .actual_access:  read_only
        .address_space:  global
        .offset:         8
        .size:           8
        .value_kind:     global_buffer
      - .actual_access:  read_only
        .address_space:  global
        .offset:         16
        .size:           8
        .value_kind:     global_buffer
      - .actual_access:  read_only
        .address_space:  global
        .offset:         24
        .size:           8
        .value_kind:     global_buffer
      - .actual_access:  read_only
        .address_space:  global
        .offset:         32
        .size:           8
        .value_kind:     global_buffer
      - .actual_access:  write_only
        .address_space:  global
        .offset:         40
        .size:           8
        .value_kind:     global_buffer
      - .offset:         48
        .size:           4
        .value_kind:     by_value
      - .offset:         52
        .size:           4
        .value_kind:     by_value
      - .offset:         56
        .size:           4
        .value_kind:     by_value
      - .offset:         60
        .size:           4
        .value_kind:     by_value
      - .offset:         64
        .size:           4
        .value_kind:     by_value
      - .offset:         68
        .size:           4
        .value_kind:     by_value
      - .offset:         72
        .size:           4
        .value_kind:     by_value
      - .offset:         76
        .size:           4
        .value_kind:     by_value
      - .offset:         80
        .size:           4
        .value_kind:     by_value
      - .offset:         84
        .size:           4
        .value_kind:     by_value
      - .offset:         88
        .size:           4
        .value_kind:     by_value
      - .offset:         92
        .size:           4
        .value_kind:     by_value
      - .offset:         96
        .size:           4
        .value_kind:     by_value
      - .offset:         100
        .size:           4
        .value_kind:     by_value
      - .offset:         104
        .size:           12
        .value_kind:     by_value
      - .offset:         116
        .size:           12
        .value_kind:     by_value
    .group_segment_fixed_size: 0
    .kernarg_segment_align: 8
    .kernarg_segment_size: 128
    .language:       OpenCL C
    .language_version:
      - 2
      - 0
    .max_flat_workgroup_size: 128
    .name:           _ZL13mul_mat_f_idsIfLi64ELi14ELi2EEvPKT_PKfPKiS6_S6_Pfiiiiiiiiiiiiii15HIP_vector_typeIjLj3EES9_
    .private_segment_fixed_size: 0
    .sgpr_count:     106
    .sgpr_spill_count: 28
    .symbol:         _ZL13mul_mat_f_idsIfLi64ELi14ELi2EEvPKT_PKfPKiS6_S6_Pfiiiiiiiiiiiiii15HIP_vector_typeIjLj3EES9_.kd
    .uniform_work_group_size: 1
    .uses_dynamic_stack: false
    .vgpr_count:     108
    .vgpr_spill_count: 0
    .wavefront_size: 64
  - .agpr_count:     16
    .args:
      - .actual_access:  read_only
        .address_space:  global
        .offset:         0
        .size:           8
        .value_kind:     global_buffer
      - .actual_access:  read_only
        .address_space:  global
        .offset:         8
        .size:           8
        .value_kind:     global_buffer
      - .actual_access:  read_only
        .address_space:  global
        .offset:         16
        .size:           8
        .value_kind:     global_buffer
      - .actual_access:  write_only
        .address_space:  global
        .offset:         24
        .size:           8
        .value_kind:     global_buffer
      - .offset:         32
        .size:           4
        .value_kind:     by_value
      - .offset:         36
        .size:           4
        .value_kind:     by_value
      - .offset:         40
        .size:           4
        .value_kind:     by_value
      - .offset:         44
        .size:           4
        .value_kind:     by_value
      - .offset:         48
        .size:           4
        .value_kind:     by_value
      - .offset:         52
        .size:           4
        .value_kind:     by_value
      - .offset:         56
        .size:           4
        .value_kind:     by_value
      - .offset:         60
        .size:           4
        .value_kind:     by_value
      - .offset:         64
        .size:           4
        .value_kind:     by_value
      - .offset:         68
        .size:           4
        .value_kind:     by_value
      - .offset:         72
        .size:           4
        .value_kind:     by_value
      - .offset:         76
        .size:           4
        .value_kind:     by_value
      - .offset:         80
        .size:           4
        .value_kind:     by_value
      - .offset:         84
        .size:           4
        .value_kind:     by_value
      - .offset:         88
        .size:           4
        .value_kind:     by_value
      - .offset:         92
        .size:           4
        .value_kind:     by_value
      - .offset:         96
        .size:           4
        .value_kind:     hidden_block_count_x
      - .offset:         100
        .size:           4
        .value_kind:     hidden_block_count_y
      - .offset:         104
        .size:           4
        .value_kind:     hidden_block_count_z
      - .offset:         108
        .size:           2
        .value_kind:     hidden_group_size_x
      - .offset:         110
        .size:           2
        .value_kind:     hidden_group_size_y
      - .offset:         112
        .size:           2
        .value_kind:     hidden_group_size_z
      - .offset:         114
        .size:           2
        .value_kind:     hidden_remainder_x
      - .offset:         116
        .size:           2
        .value_kind:     hidden_remainder_y
      - .offset:         118
        .size:           2
        .value_kind:     hidden_remainder_z
      - .offset:         136
        .size:           8
        .value_kind:     hidden_global_offset_x
      - .offset:         144
        .size:           8
        .value_kind:     hidden_global_offset_y
      - .offset:         152
        .size:           8
        .value_kind:     hidden_global_offset_z
      - .offset:         160
        .size:           2
        .value_kind:     hidden_grid_dims
      - .offset:         216
        .size:           4
        .value_kind:     hidden_dynamic_lds_size
    .group_segment_fixed_size: 256
    .kernarg_segment_align: 8
    .kernarg_segment_size: 352
    .language:       OpenCL C
    .language_version:
      - 2
      - 0
    .max_flat_workgroup_size: 128
    .name:           _ZL9mul_mat_fIfLi64ELi14ELi2ELb1EEvPKT_PKfPKiPfiiiiiiiiiiiiiiii
    .private_segment_fixed_size: 0
    .sgpr_count:     106
    .sgpr_spill_count: 29
    .symbol:         _ZL9mul_mat_fIfLi64ELi14ELi2ELb1EEvPKT_PKfPKiPfiiiiiiiiiiiiiiii.kd
    .uniform_work_group_size: 1
    .uses_dynamic_stack: false
    .vgpr_count:     112
    .vgpr_spill_count: 0
    .wavefront_size: 64
  - .agpr_count:     16
    .args:
      - .actual_access:  read_only
        .address_space:  global
        .offset:         0
        .size:           8
        .value_kind:     global_buffer
      - .actual_access:  read_only
        .address_space:  global
        .offset:         8
        .size:           8
        .value_kind:     global_buffer
      - .actual_access:  read_only
        .address_space:  global
        .offset:         16
        .size:           8
        .value_kind:     global_buffer
      - .actual_access:  write_only
        .address_space:  global
        .offset:         24
        .size:           8
        .value_kind:     global_buffer
      - .offset:         32
        .size:           4
        .value_kind:     by_value
      - .offset:         36
        .size:           4
        .value_kind:     by_value
      - .offset:         40
        .size:           4
        .value_kind:     by_value
      - .offset:         44
        .size:           4
        .value_kind:     by_value
      - .offset:         48
        .size:           4
        .value_kind:     by_value
      - .offset:         52
        .size:           4
        .value_kind:     by_value
      - .offset:         56
        .size:           4
        .value_kind:     by_value
      - .offset:         60
        .size:           4
        .value_kind:     by_value
      - .offset:         64
        .size:           4
        .value_kind:     by_value
      - .offset:         68
        .size:           4
        .value_kind:     by_value
      - .offset:         72
        .size:           4
        .value_kind:     by_value
      - .offset:         76
        .size:           4
        .value_kind:     by_value
      - .offset:         80
        .size:           4
        .value_kind:     by_value
      - .offset:         84
        .size:           4
        .value_kind:     by_value
      - .offset:         88
        .size:           4
        .value_kind:     by_value
      - .offset:         92
        .size:           4
        .value_kind:     by_value
    .group_segment_fixed_size: 0
    .kernarg_segment_align: 8
    .kernarg_segment_size: 96
    .language:       OpenCL C
    .language_version:
      - 2
      - 0
    .max_flat_workgroup_size: 128
    .name:           _ZL9mul_mat_fIfLi64ELi14ELi2ELb0EEvPKT_PKfPKiPfiiiiiiiiiiiiiiii
    .private_segment_fixed_size: 0
    .sgpr_count:     98
    .sgpr_spill_count: 0
    .symbol:         _ZL9mul_mat_fIfLi64ELi14ELi2ELb0EEvPKT_PKfPKiPfiiiiiiiiiiiiiiii.kd
    .uniform_work_group_size: 1
    .uses_dynamic_stack: false
    .vgpr_count:     136
    .vgpr_spill_count: 0
    .wavefront_size: 64
  - .agpr_count:     16
    .args:
      - .actual_access:  read_only
        .address_space:  global
        .offset:         0
        .size:           8
        .value_kind:     global_buffer
      - .actual_access:  read_only
        .address_space:  global
        .offset:         8
        .size:           8
        .value_kind:     global_buffer
      - .actual_access:  read_only
        .address_space:  global
        .offset:         16
        .size:           8
        .value_kind:     global_buffer
      - .actual_access:  read_only
        .address_space:  global
        .offset:         24
        .size:           8
        .value_kind:     global_buffer
      - .actual_access:  read_only
        .address_space:  global
        .offset:         32
        .size:           8
        .value_kind:     global_buffer
      - .actual_access:  write_only
        .address_space:  global
        .offset:         40
        .size:           8
        .value_kind:     global_buffer
      - .offset:         48
        .size:           4
        .value_kind:     by_value
      - .offset:         52
        .size:           4
        .value_kind:     by_value
      - .offset:         56
        .size:           4
        .value_kind:     by_value
      - .offset:         60
        .size:           4
        .value_kind:     by_value
      - .offset:         64
        .size:           4
        .value_kind:     by_value
      - .offset:         68
        .size:           4
        .value_kind:     by_value
      - .offset:         72
        .size:           4
        .value_kind:     by_value
      - .offset:         76
        .size:           4
        .value_kind:     by_value
      - .offset:         80
        .size:           4
        .value_kind:     by_value
      - .offset:         84
        .size:           4
        .value_kind:     by_value
      - .offset:         88
        .size:           4
        .value_kind:     by_value
      - .offset:         92
        .size:           4
        .value_kind:     by_value
      - .offset:         96
        .size:           4
        .value_kind:     by_value
      - .offset:         100
        .size:           4
        .value_kind:     by_value
      - .offset:         104
        .size:           12
        .value_kind:     by_value
      - .offset:         116
        .size:           12
        .value_kind:     by_value
    .group_segment_fixed_size: 0
    .kernarg_segment_align: 8
    .kernarg_segment_size: 128
    .language:       OpenCL C
    .language_version:
      - 2
      - 0
    .max_flat_workgroup_size: 192
    .name:           _ZL13mul_mat_f_idsIfLi64ELi14ELi3EEvPKT_PKfPKiS6_S6_Pfiiiiiiiiiiiiii15HIP_vector_typeIjLj3EES9_
    .private_segment_fixed_size: 0
    .sgpr_count:     106
    .sgpr_spill_count: 28
    .symbol:         _ZL13mul_mat_f_idsIfLi64ELi14ELi3EEvPKT_PKfPKiS6_S6_Pfiiiiiiiiiiiiii15HIP_vector_typeIjLj3EES9_.kd
    .uniform_work_group_size: 1
    .uses_dynamic_stack: false
    .vgpr_count:     108
    .vgpr_spill_count: 0
    .wavefront_size: 64
  - .agpr_count:     16
    .args:
      - .actual_access:  read_only
        .address_space:  global
        .offset:         0
        .size:           8
        .value_kind:     global_buffer
      - .actual_access:  read_only
        .address_space:  global
        .offset:         8
        .size:           8
        .value_kind:     global_buffer
      - .actual_access:  read_only
        .address_space:  global
        .offset:         16
        .size:           8
        .value_kind:     global_buffer
      - .actual_access:  write_only
        .address_space:  global
        .offset:         24
        .size:           8
        .value_kind:     global_buffer
      - .offset:         32
        .size:           4
        .value_kind:     by_value
      - .offset:         36
        .size:           4
        .value_kind:     by_value
      - .offset:         40
        .size:           4
        .value_kind:     by_value
      - .offset:         44
        .size:           4
        .value_kind:     by_value
      - .offset:         48
        .size:           4
        .value_kind:     by_value
      - .offset:         52
        .size:           4
        .value_kind:     by_value
      - .offset:         56
        .size:           4
        .value_kind:     by_value
      - .offset:         60
        .size:           4
        .value_kind:     by_value
      - .offset:         64
        .size:           4
        .value_kind:     by_value
      - .offset:         68
        .size:           4
        .value_kind:     by_value
      - .offset:         72
        .size:           4
        .value_kind:     by_value
      - .offset:         76
        .size:           4
        .value_kind:     by_value
      - .offset:         80
        .size:           4
        .value_kind:     by_value
      - .offset:         84
        .size:           4
        .value_kind:     by_value
      - .offset:         88
        .size:           4
        .value_kind:     by_value
      - .offset:         92
        .size:           4
        .value_kind:     by_value
      - .offset:         96
        .size:           4
        .value_kind:     hidden_block_count_x
      - .offset:         100
        .size:           4
        .value_kind:     hidden_block_count_y
      - .offset:         104
        .size:           4
        .value_kind:     hidden_block_count_z
      - .offset:         108
        .size:           2
        .value_kind:     hidden_group_size_x
      - .offset:         110
        .size:           2
        .value_kind:     hidden_group_size_y
      - .offset:         112
        .size:           2
        .value_kind:     hidden_group_size_z
      - .offset:         114
        .size:           2
        .value_kind:     hidden_remainder_x
      - .offset:         116
        .size:           2
        .value_kind:     hidden_remainder_y
      - .offset:         118
        .size:           2
        .value_kind:     hidden_remainder_z
      - .offset:         136
        .size:           8
        .value_kind:     hidden_global_offset_x
      - .offset:         144
        .size:           8
        .value_kind:     hidden_global_offset_y
      - .offset:         152
        .size:           8
        .value_kind:     hidden_global_offset_z
      - .offset:         160
        .size:           2
        .value_kind:     hidden_grid_dims
      - .offset:         216
        .size:           4
        .value_kind:     hidden_dynamic_lds_size
    .group_segment_fixed_size: 256
    .kernarg_segment_align: 8
    .kernarg_segment_size: 352
    .language:       OpenCL C
    .language_version:
      - 2
      - 0
    .max_flat_workgroup_size: 192
    .name:           _ZL9mul_mat_fIfLi64ELi14ELi3ELb1EEvPKT_PKfPKiPfiiiiiiiiiiiiiiii
    .private_segment_fixed_size: 0
    .sgpr_count:     106
    .sgpr_spill_count: 25
    .symbol:         _ZL9mul_mat_fIfLi64ELi14ELi3ELb1EEvPKT_PKfPKiPfiiiiiiiiiiiiiiii.kd
    .uniform_work_group_size: 1
    .uses_dynamic_stack: false
    .vgpr_count:     112
    .vgpr_spill_count: 0
    .wavefront_size: 64
  - .agpr_count:     16
    .args:
      - .actual_access:  read_only
        .address_space:  global
        .offset:         0
        .size:           8
        .value_kind:     global_buffer
      - .actual_access:  read_only
        .address_space:  global
        .offset:         8
        .size:           8
        .value_kind:     global_buffer
      - .actual_access:  read_only
        .address_space:  global
        .offset:         16
        .size:           8
        .value_kind:     global_buffer
      - .actual_access:  write_only
        .address_space:  global
        .offset:         24
        .size:           8
        .value_kind:     global_buffer
      - .offset:         32
        .size:           4
        .value_kind:     by_value
      - .offset:         36
        .size:           4
        .value_kind:     by_value
      - .offset:         40
        .size:           4
        .value_kind:     by_value
      - .offset:         44
        .size:           4
        .value_kind:     by_value
      - .offset:         48
        .size:           4
        .value_kind:     by_value
      - .offset:         52
        .size:           4
        .value_kind:     by_value
      - .offset:         56
        .size:           4
        .value_kind:     by_value
      - .offset:         60
        .size:           4
        .value_kind:     by_value
      - .offset:         64
        .size:           4
        .value_kind:     by_value
      - .offset:         68
        .size:           4
        .value_kind:     by_value
      - .offset:         72
        .size:           4
        .value_kind:     by_value
      - .offset:         76
        .size:           4
        .value_kind:     by_value
      - .offset:         80
        .size:           4
        .value_kind:     by_value
      - .offset:         84
        .size:           4
        .value_kind:     by_value
      - .offset:         88
        .size:           4
        .value_kind:     by_value
      - .offset:         92
        .size:           4
        .value_kind:     by_value
    .group_segment_fixed_size: 0
    .kernarg_segment_align: 8
    .kernarg_segment_size: 96
    .language:       OpenCL C
    .language_version:
      - 2
      - 0
    .max_flat_workgroup_size: 192
    .name:           _ZL9mul_mat_fIfLi64ELi14ELi3ELb0EEvPKT_PKfPKiPfiiiiiiiiiiiiiiii
    .private_segment_fixed_size: 0
    .sgpr_count:     98
    .sgpr_spill_count: 0
    .symbol:         _ZL9mul_mat_fIfLi64ELi14ELi3ELb0EEvPKT_PKfPKiPfiiiiiiiiiiiiiiii.kd
    .uniform_work_group_size: 1
    .uses_dynamic_stack: false
    .vgpr_count:     136
    .vgpr_spill_count: 0
    .wavefront_size: 64
  - .agpr_count:     16
    .args:
      - .actual_access:  read_only
        .address_space:  global
        .offset:         0
        .size:           8
        .value_kind:     global_buffer
      - .actual_access:  read_only
        .address_space:  global
        .offset:         8
        .size:           8
        .value_kind:     global_buffer
      - .actual_access:  read_only
        .address_space:  global
        .offset:         16
        .size:           8
        .value_kind:     global_buffer
      - .actual_access:  read_only
        .address_space:  global
        .offset:         24
        .size:           8
        .value_kind:     global_buffer
      - .actual_access:  read_only
        .address_space:  global
        .offset:         32
        .size:           8
        .value_kind:     global_buffer
      - .actual_access:  write_only
        .address_space:  global
        .offset:         40
        .size:           8
        .value_kind:     global_buffer
      - .offset:         48
        .size:           4
        .value_kind:     by_value
      - .offset:         52
        .size:           4
        .value_kind:     by_value
      - .offset:         56
        .size:           4
        .value_kind:     by_value
      - .offset:         60
        .size:           4
        .value_kind:     by_value
      - .offset:         64
        .size:           4
        .value_kind:     by_value
      - .offset:         68
        .size:           4
        .value_kind:     by_value
      - .offset:         72
        .size:           4
        .value_kind:     by_value
      - .offset:         76
        .size:           4
        .value_kind:     by_value
      - .offset:         80
        .size:           4
        .value_kind:     by_value
      - .offset:         84
        .size:           4
        .value_kind:     by_value
      - .offset:         88
        .size:           4
        .value_kind:     by_value
      - .offset:         92
        .size:           4
        .value_kind:     by_value
      - .offset:         96
        .size:           4
        .value_kind:     by_value
      - .offset:         100
        .size:           4
        .value_kind:     by_value
      - .offset:         104
        .size:           12
        .value_kind:     by_value
      - .offset:         116
        .size:           12
        .value_kind:     by_value
    .group_segment_fixed_size: 0
    .kernarg_segment_align: 8
    .kernarg_segment_size: 128
    .language:       OpenCL C
    .language_version:
      - 2
      - 0
    .max_flat_workgroup_size: 256
    .name:           _ZL13mul_mat_f_idsIfLi64ELi14ELi4EEvPKT_PKfPKiS6_S6_Pfiiiiiiiiiiiiii15HIP_vector_typeIjLj3EES9_
    .private_segment_fixed_size: 0
    .sgpr_count:     106
    .sgpr_spill_count: 28
    .symbol:         _ZL13mul_mat_f_idsIfLi64ELi14ELi4EEvPKT_PKfPKiS6_S6_Pfiiiiiiiiiiiiii15HIP_vector_typeIjLj3EES9_.kd
    .uniform_work_group_size: 1
    .uses_dynamic_stack: false
    .vgpr_count:     108
    .vgpr_spill_count: 0
    .wavefront_size: 64
  - .agpr_count:     16
    .args:
      - .actual_access:  read_only
        .address_space:  global
        .offset:         0
        .size:           8
        .value_kind:     global_buffer
      - .actual_access:  read_only
        .address_space:  global
        .offset:         8
        .size:           8
        .value_kind:     global_buffer
      - .actual_access:  read_only
        .address_space:  global
        .offset:         16
        .size:           8
        .value_kind:     global_buffer
      - .actual_access:  write_only
        .address_space:  global
        .offset:         24
        .size:           8
        .value_kind:     global_buffer
      - .offset:         32
        .size:           4
        .value_kind:     by_value
      - .offset:         36
        .size:           4
        .value_kind:     by_value
      - .offset:         40
        .size:           4
        .value_kind:     by_value
      - .offset:         44
        .size:           4
        .value_kind:     by_value
      - .offset:         48
        .size:           4
        .value_kind:     by_value
      - .offset:         52
        .size:           4
        .value_kind:     by_value
      - .offset:         56
        .size:           4
        .value_kind:     by_value
      - .offset:         60
        .size:           4
        .value_kind:     by_value
      - .offset:         64
        .size:           4
        .value_kind:     by_value
      - .offset:         68
        .size:           4
        .value_kind:     by_value
      - .offset:         72
        .size:           4
        .value_kind:     by_value
      - .offset:         76
        .size:           4
        .value_kind:     by_value
      - .offset:         80
        .size:           4
        .value_kind:     by_value
      - .offset:         84
        .size:           4
        .value_kind:     by_value
      - .offset:         88
        .size:           4
        .value_kind:     by_value
      - .offset:         92
        .size:           4
        .value_kind:     by_value
      - .offset:         96
        .size:           4
        .value_kind:     hidden_block_count_x
      - .offset:         100
        .size:           4
        .value_kind:     hidden_block_count_y
      - .offset:         104
        .size:           4
        .value_kind:     hidden_block_count_z
      - .offset:         108
        .size:           2
        .value_kind:     hidden_group_size_x
      - .offset:         110
        .size:           2
        .value_kind:     hidden_group_size_y
      - .offset:         112
        .size:           2
        .value_kind:     hidden_group_size_z
      - .offset:         114
        .size:           2
        .value_kind:     hidden_remainder_x
      - .offset:         116
        .size:           2
        .value_kind:     hidden_remainder_y
      - .offset:         118
        .size:           2
        .value_kind:     hidden_remainder_z
      - .offset:         136
        .size:           8
        .value_kind:     hidden_global_offset_x
      - .offset:         144
        .size:           8
        .value_kind:     hidden_global_offset_y
      - .offset:         152
        .size:           8
        .value_kind:     hidden_global_offset_z
      - .offset:         160
        .size:           2
        .value_kind:     hidden_grid_dims
      - .offset:         216
        .size:           4
        .value_kind:     hidden_dynamic_lds_size
    .group_segment_fixed_size: 256
    .kernarg_segment_align: 8
    .kernarg_segment_size: 352
    .language:       OpenCL C
    .language_version:
      - 2
      - 0
    .max_flat_workgroup_size: 256
    .name:           _ZL9mul_mat_fIfLi64ELi14ELi4ELb1EEvPKT_PKfPKiPfiiiiiiiiiiiiiiii
    .private_segment_fixed_size: 0
    .sgpr_count:     106
    .sgpr_spill_count: 23
    .symbol:         _ZL9mul_mat_fIfLi64ELi14ELi4ELb1EEvPKT_PKfPKiPfiiiiiiiiiiiiiiii.kd
    .uniform_work_group_size: 1
    .uses_dynamic_stack: false
    .vgpr_count:     108
    .vgpr_spill_count: 0
    .wavefront_size: 64
  - .agpr_count:     16
    .args:
      - .actual_access:  read_only
        .address_space:  global
        .offset:         0
        .size:           8
        .value_kind:     global_buffer
      - .actual_access:  read_only
        .address_space:  global
        .offset:         8
        .size:           8
        .value_kind:     global_buffer
      - .actual_access:  read_only
        .address_space:  global
        .offset:         16
        .size:           8
        .value_kind:     global_buffer
      - .actual_access:  write_only
        .address_space:  global
        .offset:         24
        .size:           8
        .value_kind:     global_buffer
      - .offset:         32
        .size:           4
        .value_kind:     by_value
      - .offset:         36
        .size:           4
        .value_kind:     by_value
      - .offset:         40
        .size:           4
        .value_kind:     by_value
      - .offset:         44
        .size:           4
        .value_kind:     by_value
      - .offset:         48
        .size:           4
        .value_kind:     by_value
      - .offset:         52
        .size:           4
        .value_kind:     by_value
      - .offset:         56
        .size:           4
        .value_kind:     by_value
      - .offset:         60
        .size:           4
        .value_kind:     by_value
      - .offset:         64
        .size:           4
        .value_kind:     by_value
      - .offset:         68
        .size:           4
        .value_kind:     by_value
      - .offset:         72
        .size:           4
        .value_kind:     by_value
      - .offset:         76
        .size:           4
        .value_kind:     by_value
      - .offset:         80
        .size:           4
        .value_kind:     by_value
      - .offset:         84
        .size:           4
        .value_kind:     by_value
      - .offset:         88
        .size:           4
        .value_kind:     by_value
      - .offset:         92
        .size:           4
        .value_kind:     by_value
    .group_segment_fixed_size: 0
    .kernarg_segment_align: 8
    .kernarg_segment_size: 96
    .language:       OpenCL C
    .language_version:
      - 2
      - 0
    .max_flat_workgroup_size: 256
    .name:           _ZL9mul_mat_fIfLi64ELi14ELi4ELb0EEvPKT_PKfPKiPfiiiiiiiiiiiiiiii
    .private_segment_fixed_size: 0
    .sgpr_count:     98
    .sgpr_spill_count: 0
    .symbol:         _ZL9mul_mat_fIfLi64ELi14ELi4ELb0EEvPKT_PKfPKiPfiiiiiiiiiiiiiiii.kd
    .uniform_work_group_size: 1
    .uses_dynamic_stack: false
    .vgpr_count:     136
    .vgpr_spill_count: 0
    .wavefront_size: 64
  - .agpr_count:     0
    .args:
      - .actual_access:  read_only
        .address_space:  global
        .offset:         0
        .size:           8
        .value_kind:     global_buffer
      - .actual_access:  read_only
        .address_space:  global
        .offset:         8
        .size:           8
        .value_kind:     global_buffer
      - .actual_access:  read_only
        .address_space:  global
        .offset:         16
        .size:           8
        .value_kind:     global_buffer
      - .actual_access:  read_only
        .address_space:  global
        .offset:         24
        .size:           8
        .value_kind:     global_buffer
      - .actual_access:  read_only
        .address_space:  global
        .offset:         32
        .size:           8
        .value_kind:     global_buffer
      - .actual_access:  write_only
        .address_space:  global
        .offset:         40
        .size:           8
        .value_kind:     global_buffer
      - .offset:         48
        .size:           4
        .value_kind:     by_value
      - .offset:         52
        .size:           4
        .value_kind:     by_value
      - .offset:         56
        .size:           4
        .value_kind:     by_value
      - .offset:         60
        .size:           4
        .value_kind:     by_value
      - .offset:         64
        .size:           4
        .value_kind:     by_value
      - .offset:         68
        .size:           4
        .value_kind:     by_value
      - .offset:         72
        .size:           4
        .value_kind:     by_value
      - .offset:         76
        .size:           4
        .value_kind:     by_value
      - .offset:         80
        .size:           4
        .value_kind:     by_value
      - .offset:         84
        .size:           4
        .value_kind:     by_value
      - .offset:         88
        .size:           4
        .value_kind:     by_value
      - .offset:         92
        .size:           4
        .value_kind:     by_value
      - .offset:         96
        .size:           4
        .value_kind:     by_value
      - .offset:         100
        .size:           4
        .value_kind:     by_value
      - .offset:         104
        .size:           12
        .value_kind:     by_value
      - .offset:         116
        .size:           12
        .value_kind:     by_value
    .group_segment_fixed_size: 0
    .kernarg_segment_align: 8
    .kernarg_segment_size: 128
    .language:       OpenCL C
    .language_version:
      - 2
      - 0
    .max_flat_workgroup_size: 320
    .name:           _ZL13mul_mat_f_idsIfLi64ELi14ELi5EEvPKT_PKfPKiS6_S6_Pfiiiiiiiiiiiiii15HIP_vector_typeIjLj3EES9_
    .private_segment_fixed_size: 0
    .sgpr_count:     106
    .sgpr_spill_count: 28
    .symbol:         _ZL13mul_mat_f_idsIfLi64ELi14ELi5EEvPKT_PKfPKiS6_S6_Pfiiiiiiiiiiiiii15HIP_vector_typeIjLj3EES9_.kd
    .uniform_work_group_size: 1
    .uses_dynamic_stack: false
    .vgpr_count:     107
    .vgpr_spill_count: 0
    .wavefront_size: 64
  - .agpr_count:     0
    .args:
      - .actual_access:  read_only
        .address_space:  global
        .offset:         0
        .size:           8
        .value_kind:     global_buffer
      - .actual_access:  read_only
        .address_space:  global
        .offset:         8
        .size:           8
        .value_kind:     global_buffer
      - .actual_access:  read_only
        .address_space:  global
        .offset:         16
        .size:           8
        .value_kind:     global_buffer
      - .actual_access:  write_only
        .address_space:  global
        .offset:         24
        .size:           8
        .value_kind:     global_buffer
      - .offset:         32
        .size:           4
        .value_kind:     by_value
      - .offset:         36
        .size:           4
        .value_kind:     by_value
      - .offset:         40
        .size:           4
        .value_kind:     by_value
      - .offset:         44
        .size:           4
        .value_kind:     by_value
      - .offset:         48
        .size:           4
        .value_kind:     by_value
      - .offset:         52
        .size:           4
        .value_kind:     by_value
      - .offset:         56
        .size:           4
        .value_kind:     by_value
      - .offset:         60
        .size:           4
        .value_kind:     by_value
      - .offset:         64
        .size:           4
        .value_kind:     by_value
      - .offset:         68
        .size:           4
        .value_kind:     by_value
      - .offset:         72
        .size:           4
        .value_kind:     by_value
      - .offset:         76
        .size:           4
        .value_kind:     by_value
      - .offset:         80
        .size:           4
        .value_kind:     by_value
      - .offset:         84
        .size:           4
        .value_kind:     by_value
      - .offset:         88
        .size:           4
        .value_kind:     by_value
      - .offset:         92
        .size:           4
        .value_kind:     by_value
      - .offset:         96
        .size:           4
        .value_kind:     hidden_block_count_x
      - .offset:         100
        .size:           4
        .value_kind:     hidden_block_count_y
      - .offset:         104
        .size:           4
        .value_kind:     hidden_block_count_z
      - .offset:         108
        .size:           2
        .value_kind:     hidden_group_size_x
      - .offset:         110
        .size:           2
        .value_kind:     hidden_group_size_y
      - .offset:         112
        .size:           2
        .value_kind:     hidden_group_size_z
      - .offset:         114
        .size:           2
        .value_kind:     hidden_remainder_x
      - .offset:         116
        .size:           2
        .value_kind:     hidden_remainder_y
      - .offset:         118
        .size:           2
        .value_kind:     hidden_remainder_z
      - .offset:         136
        .size:           8
        .value_kind:     hidden_global_offset_x
      - .offset:         144
        .size:           8
        .value_kind:     hidden_global_offset_y
      - .offset:         152
        .size:           8
        .value_kind:     hidden_global_offset_z
      - .offset:         160
        .size:           2
        .value_kind:     hidden_grid_dims
      - .offset:         216
        .size:           4
        .value_kind:     hidden_dynamic_lds_size
    .group_segment_fixed_size: 256
    .kernarg_segment_align: 8
    .kernarg_segment_size: 352
    .language:       OpenCL C
    .language_version:
      - 2
      - 0
    .max_flat_workgroup_size: 320
    .name:           _ZL9mul_mat_fIfLi64ELi14ELi5ELb1EEvPKT_PKfPKiPfiiiiiiiiiiiiiiii
    .private_segment_fixed_size: 0
    .sgpr_count:     106
    .sgpr_spill_count: 21
    .symbol:         _ZL9mul_mat_fIfLi64ELi14ELi5ELb1EEvPKT_PKfPKiPfiiiiiiiiiiiiiiii.kd
    .uniform_work_group_size: 1
    .uses_dynamic_stack: false
    .vgpr_count:     110
    .vgpr_spill_count: 0
    .wavefront_size: 64
  - .agpr_count:     0
    .args:
      - .actual_access:  read_only
        .address_space:  global
        .offset:         0
        .size:           8
        .value_kind:     global_buffer
      - .actual_access:  read_only
        .address_space:  global
        .offset:         8
        .size:           8
        .value_kind:     global_buffer
      - .actual_access:  read_only
        .address_space:  global
        .offset:         16
        .size:           8
        .value_kind:     global_buffer
      - .actual_access:  write_only
        .address_space:  global
        .offset:         24
        .size:           8
        .value_kind:     global_buffer
      - .offset:         32
        .size:           4
        .value_kind:     by_value
      - .offset:         36
        .size:           4
        .value_kind:     by_value
      - .offset:         40
        .size:           4
        .value_kind:     by_value
      - .offset:         44
        .size:           4
        .value_kind:     by_value
      - .offset:         48
        .size:           4
        .value_kind:     by_value
      - .offset:         52
        .size:           4
        .value_kind:     by_value
      - .offset:         56
        .size:           4
        .value_kind:     by_value
      - .offset:         60
        .size:           4
        .value_kind:     by_value
      - .offset:         64
        .size:           4
        .value_kind:     by_value
      - .offset:         68
        .size:           4
        .value_kind:     by_value
      - .offset:         72
        .size:           4
        .value_kind:     by_value
      - .offset:         76
        .size:           4
        .value_kind:     by_value
      - .offset:         80
        .size:           4
        .value_kind:     by_value
      - .offset:         84
        .size:           4
        .value_kind:     by_value
      - .offset:         88
        .size:           4
        .value_kind:     by_value
      - .offset:         92
        .size:           4
        .value_kind:     by_value
    .group_segment_fixed_size: 0
    .kernarg_segment_align: 8
    .kernarg_segment_size: 96
    .language:       OpenCL C
    .language_version:
      - 2
      - 0
    .max_flat_workgroup_size: 320
    .name:           _ZL9mul_mat_fIfLi64ELi14ELi5ELb0EEvPKT_PKfPKiPfiiiiiiiiiiiiiiii
    .private_segment_fixed_size: 0
    .sgpr_count:     98
    .sgpr_spill_count: 0
    .symbol:         _ZL9mul_mat_fIfLi64ELi14ELi5ELb0EEvPKT_PKfPKiPfiiiiiiiiiiiiiiii.kd
    .uniform_work_group_size: 1
    .uses_dynamic_stack: false
    .vgpr_count:     115
    .vgpr_spill_count: 0
    .wavefront_size: 64
  - .agpr_count:     0
    .args:
      - .actual_access:  read_only
        .address_space:  global
        .offset:         0
        .size:           8
        .value_kind:     global_buffer
      - .actual_access:  read_only
        .address_space:  global
        .offset:         8
        .size:           8
        .value_kind:     global_buffer
      - .actual_access:  read_only
        .address_space:  global
        .offset:         16
        .size:           8
        .value_kind:     global_buffer
      - .actual_access:  read_only
        .address_space:  global
        .offset:         24
        .size:           8
        .value_kind:     global_buffer
      - .actual_access:  read_only
        .address_space:  global
        .offset:         32
        .size:           8
        .value_kind:     global_buffer
      - .actual_access:  write_only
        .address_space:  global
        .offset:         40
        .size:           8
        .value_kind:     global_buffer
      - .offset:         48
        .size:           4
        .value_kind:     by_value
      - .offset:         52
        .size:           4
        .value_kind:     by_value
      - .offset:         56
        .size:           4
        .value_kind:     by_value
      - .offset:         60
        .size:           4
        .value_kind:     by_value
      - .offset:         64
        .size:           4
        .value_kind:     by_value
      - .offset:         68
        .size:           4
        .value_kind:     by_value
      - .offset:         72
        .size:           4
        .value_kind:     by_value
      - .offset:         76
        .size:           4
        .value_kind:     by_value
      - .offset:         80
        .size:           4
        .value_kind:     by_value
      - .offset:         84
        .size:           4
        .value_kind:     by_value
      - .offset:         88
        .size:           4
        .value_kind:     by_value
      - .offset:         92
        .size:           4
        .value_kind:     by_value
      - .offset:         96
        .size:           4
        .value_kind:     by_value
      - .offset:         100
        .size:           4
        .value_kind:     by_value
      - .offset:         104
        .size:           12
        .value_kind:     by_value
      - .offset:         116
        .size:           12
        .value_kind:     by_value
    .group_segment_fixed_size: 0
    .kernarg_segment_align: 8
    .kernarg_segment_size: 128
    .language:       OpenCL C
    .language_version:
      - 2
      - 0
    .max_flat_workgroup_size: 384
    .name:           _ZL13mul_mat_f_idsIfLi64ELi14ELi6EEvPKT_PKfPKiS6_S6_Pfiiiiiiiiiiiiii15HIP_vector_typeIjLj3EES9_
    .private_segment_fixed_size: 0
    .sgpr_count:     106
    .sgpr_spill_count: 28
    .symbol:         _ZL13mul_mat_f_idsIfLi64ELi14ELi6EEvPKT_PKfPKiS6_S6_Pfiiiiiiiiiiiiii15HIP_vector_typeIjLj3EES9_.kd
    .uniform_work_group_size: 1
    .uses_dynamic_stack: false
    .vgpr_count:     107
    .vgpr_spill_count: 0
    .wavefront_size: 64
  - .agpr_count:     0
    .args:
      - .actual_access:  read_only
        .address_space:  global
        .offset:         0
        .size:           8
        .value_kind:     global_buffer
      - .actual_access:  read_only
        .address_space:  global
        .offset:         8
        .size:           8
        .value_kind:     global_buffer
      - .actual_access:  read_only
        .address_space:  global
        .offset:         16
        .size:           8
        .value_kind:     global_buffer
      - .actual_access:  write_only
        .address_space:  global
        .offset:         24
        .size:           8
        .value_kind:     global_buffer
      - .offset:         32
        .size:           4
        .value_kind:     by_value
      - .offset:         36
        .size:           4
        .value_kind:     by_value
      - .offset:         40
        .size:           4
        .value_kind:     by_value
      - .offset:         44
        .size:           4
        .value_kind:     by_value
      - .offset:         48
        .size:           4
        .value_kind:     by_value
      - .offset:         52
        .size:           4
        .value_kind:     by_value
      - .offset:         56
        .size:           4
        .value_kind:     by_value
      - .offset:         60
        .size:           4
        .value_kind:     by_value
      - .offset:         64
        .size:           4
        .value_kind:     by_value
      - .offset:         68
        .size:           4
        .value_kind:     by_value
      - .offset:         72
        .size:           4
        .value_kind:     by_value
      - .offset:         76
        .size:           4
        .value_kind:     by_value
      - .offset:         80
        .size:           4
        .value_kind:     by_value
      - .offset:         84
        .size:           4
        .value_kind:     by_value
      - .offset:         88
        .size:           4
        .value_kind:     by_value
      - .offset:         92
        .size:           4
        .value_kind:     by_value
      - .offset:         96
        .size:           4
        .value_kind:     hidden_block_count_x
      - .offset:         100
        .size:           4
        .value_kind:     hidden_block_count_y
      - .offset:         104
        .size:           4
        .value_kind:     hidden_block_count_z
      - .offset:         108
        .size:           2
        .value_kind:     hidden_group_size_x
      - .offset:         110
        .size:           2
        .value_kind:     hidden_group_size_y
      - .offset:         112
        .size:           2
        .value_kind:     hidden_group_size_z
      - .offset:         114
        .size:           2
        .value_kind:     hidden_remainder_x
      - .offset:         116
        .size:           2
        .value_kind:     hidden_remainder_y
      - .offset:         118
        .size:           2
        .value_kind:     hidden_remainder_z
      - .offset:         136
        .size:           8
        .value_kind:     hidden_global_offset_x
      - .offset:         144
        .size:           8
        .value_kind:     hidden_global_offset_y
      - .offset:         152
        .size:           8
        .value_kind:     hidden_global_offset_z
      - .offset:         160
        .size:           2
        .value_kind:     hidden_grid_dims
      - .offset:         216
        .size:           4
        .value_kind:     hidden_dynamic_lds_size
    .group_segment_fixed_size: 256
    .kernarg_segment_align: 8
    .kernarg_segment_size: 352
    .language:       OpenCL C
    .language_version:
      - 2
      - 0
    .max_flat_workgroup_size: 384
    .name:           _ZL9mul_mat_fIfLi64ELi14ELi6ELb1EEvPKT_PKfPKiPfiiiiiiiiiiiiiiii
    .private_segment_fixed_size: 0
    .sgpr_count:     106
    .sgpr_spill_count: 21
    .symbol:         _ZL9mul_mat_fIfLi64ELi14ELi6ELb1EEvPKT_PKfPKiPfiiiiiiiiiiiiiiii.kd
    .uniform_work_group_size: 1
    .uses_dynamic_stack: false
    .vgpr_count:     110
    .vgpr_spill_count: 0
    .wavefront_size: 64
  - .agpr_count:     0
    .args:
      - .actual_access:  read_only
        .address_space:  global
        .offset:         0
        .size:           8
        .value_kind:     global_buffer
      - .actual_access:  read_only
        .address_space:  global
        .offset:         8
        .size:           8
        .value_kind:     global_buffer
      - .actual_access:  read_only
        .address_space:  global
        .offset:         16
        .size:           8
        .value_kind:     global_buffer
      - .actual_access:  write_only
        .address_space:  global
        .offset:         24
        .size:           8
        .value_kind:     global_buffer
      - .offset:         32
        .size:           4
        .value_kind:     by_value
      - .offset:         36
        .size:           4
        .value_kind:     by_value
      - .offset:         40
        .size:           4
        .value_kind:     by_value
      - .offset:         44
        .size:           4
        .value_kind:     by_value
      - .offset:         48
        .size:           4
        .value_kind:     by_value
      - .offset:         52
        .size:           4
        .value_kind:     by_value
      - .offset:         56
        .size:           4
        .value_kind:     by_value
      - .offset:         60
        .size:           4
        .value_kind:     by_value
      - .offset:         64
        .size:           4
        .value_kind:     by_value
      - .offset:         68
        .size:           4
        .value_kind:     by_value
      - .offset:         72
        .size:           4
        .value_kind:     by_value
      - .offset:         76
        .size:           4
        .value_kind:     by_value
      - .offset:         80
        .size:           4
        .value_kind:     by_value
      - .offset:         84
        .size:           4
        .value_kind:     by_value
      - .offset:         88
        .size:           4
        .value_kind:     by_value
      - .offset:         92
        .size:           4
        .value_kind:     by_value
    .group_segment_fixed_size: 0
    .kernarg_segment_align: 8
    .kernarg_segment_size: 96
    .language:       OpenCL C
    .language_version:
      - 2
      - 0
    .max_flat_workgroup_size: 384
    .name:           _ZL9mul_mat_fIfLi64ELi14ELi6ELb0EEvPKT_PKfPKiPfiiiiiiiiiiiiiiii
    .private_segment_fixed_size: 0
    .sgpr_count:     98
    .sgpr_spill_count: 0
    .symbol:         _ZL9mul_mat_fIfLi64ELi14ELi6ELb0EEvPKT_PKfPKiPfiiiiiiiiiiiiiiii.kd
    .uniform_work_group_size: 1
    .uses_dynamic_stack: false
    .vgpr_count:     115
    .vgpr_spill_count: 0
    .wavefront_size: 64
  - .agpr_count:     0
    .args:
      - .actual_access:  read_only
        .address_space:  global
        .offset:         0
        .size:           8
        .value_kind:     global_buffer
      - .actual_access:  read_only
        .address_space:  global
        .offset:         8
        .size:           8
        .value_kind:     global_buffer
      - .actual_access:  read_only
        .address_space:  global
        .offset:         16
        .size:           8
        .value_kind:     global_buffer
      - .actual_access:  read_only
        .address_space:  global
        .offset:         24
        .size:           8
        .value_kind:     global_buffer
      - .actual_access:  read_only
        .address_space:  global
        .offset:         32
        .size:           8
        .value_kind:     global_buffer
      - .actual_access:  write_only
        .address_space:  global
        .offset:         40
        .size:           8
        .value_kind:     global_buffer
      - .offset:         48
        .size:           4
        .value_kind:     by_value
      - .offset:         52
        .size:           4
        .value_kind:     by_value
      - .offset:         56
        .size:           4
        .value_kind:     by_value
      - .offset:         60
        .size:           4
        .value_kind:     by_value
      - .offset:         64
        .size:           4
        .value_kind:     by_value
      - .offset:         68
        .size:           4
        .value_kind:     by_value
      - .offset:         72
        .size:           4
        .value_kind:     by_value
      - .offset:         76
        .size:           4
        .value_kind:     by_value
      - .offset:         80
        .size:           4
        .value_kind:     by_value
      - .offset:         84
        .size:           4
        .value_kind:     by_value
      - .offset:         88
        .size:           4
        .value_kind:     by_value
      - .offset:         92
        .size:           4
        .value_kind:     by_value
      - .offset:         96
        .size:           4
        .value_kind:     by_value
      - .offset:         100
        .size:           4
        .value_kind:     by_value
      - .offset:         104
        .size:           12
        .value_kind:     by_value
      - .offset:         116
        .size:           12
        .value_kind:     by_value
    .group_segment_fixed_size: 0
    .kernarg_segment_align: 8
    .kernarg_segment_size: 128
    .language:       OpenCL C
    .language_version:
      - 2
      - 0
    .max_flat_workgroup_size: 448
    .name:           _ZL13mul_mat_f_idsIfLi64ELi14ELi7EEvPKT_PKfPKiS6_S6_Pfiiiiiiiiiiiiii15HIP_vector_typeIjLj3EES9_
    .private_segment_fixed_size: 0
    .sgpr_count:     106
    .sgpr_spill_count: 28
    .symbol:         _ZL13mul_mat_f_idsIfLi64ELi14ELi7EEvPKT_PKfPKiS6_S6_Pfiiiiiiiiiiiiii15HIP_vector_typeIjLj3EES9_.kd
    .uniform_work_group_size: 1
    .uses_dynamic_stack: false
    .vgpr_count:     107
    .vgpr_spill_count: 0
    .wavefront_size: 64
  - .agpr_count:     0
    .args:
      - .actual_access:  read_only
        .address_space:  global
        .offset:         0
        .size:           8
        .value_kind:     global_buffer
      - .actual_access:  read_only
        .address_space:  global
        .offset:         8
        .size:           8
        .value_kind:     global_buffer
      - .actual_access:  read_only
        .address_space:  global
        .offset:         16
        .size:           8
        .value_kind:     global_buffer
      - .actual_access:  write_only
        .address_space:  global
        .offset:         24
        .size:           8
        .value_kind:     global_buffer
      - .offset:         32
        .size:           4
        .value_kind:     by_value
      - .offset:         36
        .size:           4
        .value_kind:     by_value
      - .offset:         40
        .size:           4
        .value_kind:     by_value
      - .offset:         44
        .size:           4
        .value_kind:     by_value
      - .offset:         48
        .size:           4
        .value_kind:     by_value
      - .offset:         52
        .size:           4
        .value_kind:     by_value
      - .offset:         56
        .size:           4
        .value_kind:     by_value
      - .offset:         60
        .size:           4
        .value_kind:     by_value
      - .offset:         64
        .size:           4
        .value_kind:     by_value
      - .offset:         68
        .size:           4
        .value_kind:     by_value
      - .offset:         72
        .size:           4
        .value_kind:     by_value
      - .offset:         76
        .size:           4
        .value_kind:     by_value
      - .offset:         80
        .size:           4
        .value_kind:     by_value
      - .offset:         84
        .size:           4
        .value_kind:     by_value
      - .offset:         88
        .size:           4
        .value_kind:     by_value
      - .offset:         92
        .size:           4
        .value_kind:     by_value
      - .offset:         96
        .size:           4
        .value_kind:     hidden_block_count_x
      - .offset:         100
        .size:           4
        .value_kind:     hidden_block_count_y
      - .offset:         104
        .size:           4
        .value_kind:     hidden_block_count_z
      - .offset:         108
        .size:           2
        .value_kind:     hidden_group_size_x
      - .offset:         110
        .size:           2
        .value_kind:     hidden_group_size_y
      - .offset:         112
        .size:           2
        .value_kind:     hidden_group_size_z
      - .offset:         114
        .size:           2
        .value_kind:     hidden_remainder_x
      - .offset:         116
        .size:           2
        .value_kind:     hidden_remainder_y
      - .offset:         118
        .size:           2
        .value_kind:     hidden_remainder_z
      - .offset:         136
        .size:           8
        .value_kind:     hidden_global_offset_x
      - .offset:         144
        .size:           8
        .value_kind:     hidden_global_offset_y
      - .offset:         152
        .size:           8
        .value_kind:     hidden_global_offset_z
      - .offset:         160
        .size:           2
        .value_kind:     hidden_grid_dims
      - .offset:         216
        .size:           4
        .value_kind:     hidden_dynamic_lds_size
    .group_segment_fixed_size: 256
    .kernarg_segment_align: 8
    .kernarg_segment_size: 352
    .language:       OpenCL C
    .language_version:
      - 2
      - 0
    .max_flat_workgroup_size: 448
    .name:           _ZL9mul_mat_fIfLi64ELi14ELi7ELb1EEvPKT_PKfPKiPfiiiiiiiiiiiiiiii
    .private_segment_fixed_size: 0
    .sgpr_count:     106
    .sgpr_spill_count: 19
    .symbol:         _ZL9mul_mat_fIfLi64ELi14ELi7ELb1EEvPKT_PKfPKiPfiiiiiiiiiiiiiiii.kd
    .uniform_work_group_size: 1
    .uses_dynamic_stack: false
    .vgpr_count:     109
    .vgpr_spill_count: 0
    .wavefront_size: 64
  - .agpr_count:     0
    .args:
      - .actual_access:  read_only
        .address_space:  global
        .offset:         0
        .size:           8
        .value_kind:     global_buffer
      - .actual_access:  read_only
        .address_space:  global
        .offset:         8
        .size:           8
        .value_kind:     global_buffer
      - .actual_access:  read_only
        .address_space:  global
        .offset:         16
        .size:           8
        .value_kind:     global_buffer
      - .actual_access:  write_only
        .address_space:  global
        .offset:         24
        .size:           8
        .value_kind:     global_buffer
      - .offset:         32
        .size:           4
        .value_kind:     by_value
      - .offset:         36
        .size:           4
        .value_kind:     by_value
      - .offset:         40
        .size:           4
        .value_kind:     by_value
      - .offset:         44
        .size:           4
        .value_kind:     by_value
      - .offset:         48
        .size:           4
        .value_kind:     by_value
      - .offset:         52
        .size:           4
        .value_kind:     by_value
      - .offset:         56
        .size:           4
        .value_kind:     by_value
      - .offset:         60
        .size:           4
        .value_kind:     by_value
      - .offset:         64
        .size:           4
        .value_kind:     by_value
      - .offset:         68
        .size:           4
        .value_kind:     by_value
      - .offset:         72
        .size:           4
        .value_kind:     by_value
      - .offset:         76
        .size:           4
        .value_kind:     by_value
      - .offset:         80
        .size:           4
        .value_kind:     by_value
      - .offset:         84
        .size:           4
        .value_kind:     by_value
      - .offset:         88
        .size:           4
        .value_kind:     by_value
      - .offset:         92
        .size:           4
        .value_kind:     by_value
    .group_segment_fixed_size: 0
    .kernarg_segment_align: 8
    .kernarg_segment_size: 96
    .language:       OpenCL C
    .language_version:
      - 2
      - 0
    .max_flat_workgroup_size: 448
    .name:           _ZL9mul_mat_fIfLi64ELi14ELi7ELb0EEvPKT_PKfPKiPfiiiiiiiiiiiiiiii
    .private_segment_fixed_size: 0
    .sgpr_count:     98
    .sgpr_spill_count: 0
    .symbol:         _ZL9mul_mat_fIfLi64ELi14ELi7ELb0EEvPKT_PKfPKiPfiiiiiiiiiiiiiiii.kd
    .uniform_work_group_size: 1
    .uses_dynamic_stack: false
    .vgpr_count:     115
    .vgpr_spill_count: 0
    .wavefront_size: 64
  - .agpr_count:     0
    .args:
      - .actual_access:  read_only
        .address_space:  global
        .offset:         0
        .size:           8
        .value_kind:     global_buffer
      - .actual_access:  read_only
        .address_space:  global
        .offset:         8
        .size:           8
        .value_kind:     global_buffer
      - .actual_access:  read_only
        .address_space:  global
        .offset:         16
        .size:           8
        .value_kind:     global_buffer
      - .actual_access:  read_only
        .address_space:  global
        .offset:         24
        .size:           8
        .value_kind:     global_buffer
      - .actual_access:  read_only
        .address_space:  global
        .offset:         32
        .size:           8
        .value_kind:     global_buffer
      - .actual_access:  write_only
        .address_space:  global
        .offset:         40
        .size:           8
        .value_kind:     global_buffer
      - .offset:         48
        .size:           4
        .value_kind:     by_value
      - .offset:         52
        .size:           4
        .value_kind:     by_value
      - .offset:         56
        .size:           4
        .value_kind:     by_value
      - .offset:         60
        .size:           4
        .value_kind:     by_value
      - .offset:         64
        .size:           4
        .value_kind:     by_value
      - .offset:         68
        .size:           4
        .value_kind:     by_value
      - .offset:         72
        .size:           4
        .value_kind:     by_value
      - .offset:         76
        .size:           4
        .value_kind:     by_value
      - .offset:         80
        .size:           4
        .value_kind:     by_value
      - .offset:         84
        .size:           4
        .value_kind:     by_value
      - .offset:         88
        .size:           4
        .value_kind:     by_value
      - .offset:         92
        .size:           4
        .value_kind:     by_value
      - .offset:         96
        .size:           4
        .value_kind:     by_value
      - .offset:         100
        .size:           4
        .value_kind:     by_value
      - .offset:         104
        .size:           12
        .value_kind:     by_value
      - .offset:         116
        .size:           12
        .value_kind:     by_value
    .group_segment_fixed_size: 0
    .kernarg_segment_align: 8
    .kernarg_segment_size: 128
    .language:       OpenCL C
    .language_version:
      - 2
      - 0
    .max_flat_workgroup_size: 512
    .name:           _ZL13mul_mat_f_idsIfLi64ELi14ELi8EEvPKT_PKfPKiS6_S6_Pfiiiiiiiiiiiiii15HIP_vector_typeIjLj3EES9_
    .private_segment_fixed_size: 0
    .sgpr_count:     106
    .sgpr_spill_count: 28
    .symbol:         _ZL13mul_mat_f_idsIfLi64ELi14ELi8EEvPKT_PKfPKiS6_S6_Pfiiiiiiiiiiiiii15HIP_vector_typeIjLj3EES9_.kd
    .uniform_work_group_size: 1
    .uses_dynamic_stack: false
    .vgpr_count:     107
    .vgpr_spill_count: 0
    .wavefront_size: 64
  - .agpr_count:     0
    .args:
      - .actual_access:  read_only
        .address_space:  global
        .offset:         0
        .size:           8
        .value_kind:     global_buffer
      - .actual_access:  read_only
        .address_space:  global
        .offset:         8
        .size:           8
        .value_kind:     global_buffer
      - .actual_access:  read_only
        .address_space:  global
        .offset:         16
        .size:           8
        .value_kind:     global_buffer
      - .actual_access:  write_only
        .address_space:  global
        .offset:         24
        .size:           8
        .value_kind:     global_buffer
      - .offset:         32
        .size:           4
        .value_kind:     by_value
      - .offset:         36
        .size:           4
        .value_kind:     by_value
      - .offset:         40
        .size:           4
        .value_kind:     by_value
      - .offset:         44
        .size:           4
        .value_kind:     by_value
      - .offset:         48
        .size:           4
        .value_kind:     by_value
      - .offset:         52
        .size:           4
        .value_kind:     by_value
      - .offset:         56
        .size:           4
        .value_kind:     by_value
      - .offset:         60
        .size:           4
        .value_kind:     by_value
      - .offset:         64
        .size:           4
        .value_kind:     by_value
      - .offset:         68
        .size:           4
        .value_kind:     by_value
      - .offset:         72
        .size:           4
        .value_kind:     by_value
      - .offset:         76
        .size:           4
        .value_kind:     by_value
      - .offset:         80
        .size:           4
        .value_kind:     by_value
      - .offset:         84
        .size:           4
        .value_kind:     by_value
      - .offset:         88
        .size:           4
        .value_kind:     by_value
      - .offset:         92
        .size:           4
        .value_kind:     by_value
      - .offset:         96
        .size:           4
        .value_kind:     hidden_block_count_x
      - .offset:         100
        .size:           4
        .value_kind:     hidden_block_count_y
      - .offset:         104
        .size:           4
        .value_kind:     hidden_block_count_z
      - .offset:         108
        .size:           2
        .value_kind:     hidden_group_size_x
      - .offset:         110
        .size:           2
        .value_kind:     hidden_group_size_y
      - .offset:         112
        .size:           2
        .value_kind:     hidden_group_size_z
      - .offset:         114
        .size:           2
        .value_kind:     hidden_remainder_x
      - .offset:         116
        .size:           2
        .value_kind:     hidden_remainder_y
      - .offset:         118
        .size:           2
        .value_kind:     hidden_remainder_z
      - .offset:         136
        .size:           8
        .value_kind:     hidden_global_offset_x
      - .offset:         144
        .size:           8
        .value_kind:     hidden_global_offset_y
      - .offset:         152
        .size:           8
        .value_kind:     hidden_global_offset_z
      - .offset:         160
        .size:           2
        .value_kind:     hidden_grid_dims
      - .offset:         216
        .size:           4
        .value_kind:     hidden_dynamic_lds_size
    .group_segment_fixed_size: 256
    .kernarg_segment_align: 8
    .kernarg_segment_size: 352
    .language:       OpenCL C
    .language_version:
      - 2
      - 0
    .max_flat_workgroup_size: 512
    .name:           _ZL9mul_mat_fIfLi64ELi14ELi8ELb1EEvPKT_PKfPKiPfiiiiiiiiiiiiiiii
    .private_segment_fixed_size: 0
    .sgpr_count:     106
    .sgpr_spill_count: 19
    .symbol:         _ZL9mul_mat_fIfLi64ELi14ELi8ELb1EEvPKT_PKfPKiPfiiiiiiiiiiiiiiii.kd
    .uniform_work_group_size: 1
    .uses_dynamic_stack: false
    .vgpr_count:     109
    .vgpr_spill_count: 0
    .wavefront_size: 64
  - .agpr_count:     0
    .args:
      - .actual_access:  read_only
        .address_space:  global
        .offset:         0
        .size:           8
        .value_kind:     global_buffer
      - .actual_access:  read_only
        .address_space:  global
        .offset:         8
        .size:           8
        .value_kind:     global_buffer
      - .actual_access:  read_only
        .address_space:  global
        .offset:         16
        .size:           8
        .value_kind:     global_buffer
      - .actual_access:  write_only
        .address_space:  global
        .offset:         24
        .size:           8
        .value_kind:     global_buffer
      - .offset:         32
        .size:           4
        .value_kind:     by_value
      - .offset:         36
        .size:           4
        .value_kind:     by_value
      - .offset:         40
        .size:           4
        .value_kind:     by_value
      - .offset:         44
        .size:           4
        .value_kind:     by_value
      - .offset:         48
        .size:           4
        .value_kind:     by_value
      - .offset:         52
        .size:           4
        .value_kind:     by_value
      - .offset:         56
        .size:           4
        .value_kind:     by_value
      - .offset:         60
        .size:           4
        .value_kind:     by_value
      - .offset:         64
        .size:           4
        .value_kind:     by_value
      - .offset:         68
        .size:           4
        .value_kind:     by_value
      - .offset:         72
        .size:           4
        .value_kind:     by_value
      - .offset:         76
        .size:           4
        .value_kind:     by_value
      - .offset:         80
        .size:           4
        .value_kind:     by_value
      - .offset:         84
        .size:           4
        .value_kind:     by_value
      - .offset:         88
        .size:           4
        .value_kind:     by_value
      - .offset:         92
        .size:           4
        .value_kind:     by_value
    .group_segment_fixed_size: 0
    .kernarg_segment_align: 8
    .kernarg_segment_size: 96
    .language:       OpenCL C
    .language_version:
      - 2
      - 0
    .max_flat_workgroup_size: 512
    .name:           _ZL9mul_mat_fIfLi64ELi14ELi8ELb0EEvPKT_PKfPKiPfiiiiiiiiiiiiiiii
    .private_segment_fixed_size: 0
    .sgpr_count:     98
    .sgpr_spill_count: 0
    .symbol:         _ZL9mul_mat_fIfLi64ELi14ELi8ELb0EEvPKT_PKfPKiPfiiiiiiiiiiiiiiii.kd
    .uniform_work_group_size: 1
    .uses_dynamic_stack: false
    .vgpr_count:     115
    .vgpr_spill_count: 0
    .wavefront_size: 64
  - .agpr_count:     16
    .args:
      - .actual_access:  read_only
        .address_space:  global
        .offset:         0
        .size:           8
        .value_kind:     global_buffer
      - .actual_access:  read_only
        .address_space:  global
        .offset:         8
        .size:           8
        .value_kind:     global_buffer
      - .actual_access:  read_only
        .address_space:  global
        .offset:         16
        .size:           8
        .value_kind:     global_buffer
      - .actual_access:  read_only
        .address_space:  global
        .offset:         24
        .size:           8
        .value_kind:     global_buffer
      - .actual_access:  read_only
        .address_space:  global
        .offset:         32
        .size:           8
        .value_kind:     global_buffer
      - .actual_access:  write_only
        .address_space:  global
        .offset:         40
        .size:           8
        .value_kind:     global_buffer
      - .offset:         48
        .size:           4
        .value_kind:     by_value
      - .offset:         52
        .size:           4
        .value_kind:     by_value
      - .offset:         56
        .size:           4
        .value_kind:     by_value
      - .offset:         60
        .size:           4
        .value_kind:     by_value
      - .offset:         64
        .size:           4
        .value_kind:     by_value
      - .offset:         68
        .size:           4
        .value_kind:     by_value
      - .offset:         72
        .size:           4
        .value_kind:     by_value
      - .offset:         76
        .size:           4
        .value_kind:     by_value
      - .offset:         80
        .size:           4
        .value_kind:     by_value
      - .offset:         84
        .size:           4
        .value_kind:     by_value
      - .offset:         88
        .size:           4
        .value_kind:     by_value
      - .offset:         92
        .size:           4
        .value_kind:     by_value
      - .offset:         96
        .size:           4
        .value_kind:     by_value
      - .offset:         100
        .size:           4
        .value_kind:     by_value
      - .offset:         104
        .size:           12
        .value_kind:     by_value
      - .offset:         116
        .size:           12
        .value_kind:     by_value
    .group_segment_fixed_size: 0
    .kernarg_segment_align: 8
    .kernarg_segment_size: 128
    .language:       OpenCL C
    .language_version:
      - 2
      - 0
    .max_flat_workgroup_size: 64
    .name:           _ZL13mul_mat_f_idsI7__half2Li64ELi14ELi1EEvPKT_PKfPKiS7_S7_Pfiiiiiiiiiiiiii15HIP_vector_typeIjLj3EESA_
    .private_segment_fixed_size: 0
    .sgpr_count:     106
    .sgpr_spill_count: 28
    .symbol:         _ZL13mul_mat_f_idsI7__half2Li64ELi14ELi1EEvPKT_PKfPKiS7_S7_Pfiiiiiiiiiiiiii15HIP_vector_typeIjLj3EESA_.kd
    .uniform_work_group_size: 1
    .uses_dynamic_stack: false
    .vgpr_count:     120
    .vgpr_spill_count: 0
    .wavefront_size: 64
  - .agpr_count:     16
    .args:
      - .actual_access:  read_only
        .address_space:  global
        .offset:         0
        .size:           8
        .value_kind:     global_buffer
      - .actual_access:  read_only
        .address_space:  global
        .offset:         8
        .size:           8
        .value_kind:     global_buffer
      - .actual_access:  read_only
        .address_space:  global
        .offset:         16
        .size:           8
        .value_kind:     global_buffer
      - .actual_access:  write_only
        .address_space:  global
        .offset:         24
        .size:           8
        .value_kind:     global_buffer
      - .offset:         32
        .size:           4
        .value_kind:     by_value
      - .offset:         36
        .size:           4
        .value_kind:     by_value
      - .offset:         40
        .size:           4
        .value_kind:     by_value
      - .offset:         44
        .size:           4
        .value_kind:     by_value
      - .offset:         48
        .size:           4
        .value_kind:     by_value
      - .offset:         52
        .size:           4
        .value_kind:     by_value
      - .offset:         56
        .size:           4
        .value_kind:     by_value
      - .offset:         60
        .size:           4
        .value_kind:     by_value
      - .offset:         64
        .size:           4
        .value_kind:     by_value
      - .offset:         68
        .size:           4
        .value_kind:     by_value
      - .offset:         72
        .size:           4
        .value_kind:     by_value
      - .offset:         76
        .size:           4
        .value_kind:     by_value
      - .offset:         80
        .size:           4
        .value_kind:     by_value
      - .offset:         84
        .size:           4
        .value_kind:     by_value
      - .offset:         88
        .size:           4
        .value_kind:     by_value
      - .offset:         92
        .size:           4
        .value_kind:     by_value
      - .offset:         96
        .size:           4
        .value_kind:     hidden_block_count_x
      - .offset:         100
        .size:           4
        .value_kind:     hidden_block_count_y
      - .offset:         104
        .size:           4
        .value_kind:     hidden_block_count_z
      - .offset:         108
        .size:           2
        .value_kind:     hidden_group_size_x
      - .offset:         110
        .size:           2
        .value_kind:     hidden_group_size_y
      - .offset:         112
        .size:           2
        .value_kind:     hidden_group_size_z
      - .offset:         114
        .size:           2
        .value_kind:     hidden_remainder_x
      - .offset:         116
        .size:           2
        .value_kind:     hidden_remainder_y
      - .offset:         118
        .size:           2
        .value_kind:     hidden_remainder_z
      - .offset:         136
        .size:           8
        .value_kind:     hidden_global_offset_x
      - .offset:         144
        .size:           8
        .value_kind:     hidden_global_offset_y
      - .offset:         152
        .size:           8
        .value_kind:     hidden_global_offset_z
      - .offset:         160
        .size:           2
        .value_kind:     hidden_grid_dims
      - .offset:         216
        .size:           4
        .value_kind:     hidden_dynamic_lds_size
    .group_segment_fixed_size: 256
    .kernarg_segment_align: 8
    .kernarg_segment_size: 352
    .language:       OpenCL C
    .language_version:
      - 2
      - 0
    .max_flat_workgroup_size: 64
    .name:           _ZL9mul_mat_fI7__half2Li64ELi14ELi1ELb1EEvPKT_PKfPKiPfiiiiiiiiiiiiiiii
    .private_segment_fixed_size: 0
    .sgpr_count:     106
    .sgpr_spill_count: 52
    .symbol:         _ZL9mul_mat_fI7__half2Li64ELi14ELi1ELb1EEvPKT_PKfPKiPfiiiiiiiiiiiiiiii.kd
    .uniform_work_group_size: 1
    .uses_dynamic_stack: false
    .vgpr_count:     120
    .vgpr_spill_count: 0
    .wavefront_size: 64
  - .agpr_count:     16
    .args:
      - .actual_access:  read_only
        .address_space:  global
        .offset:         0
        .size:           8
        .value_kind:     global_buffer
      - .actual_access:  read_only
        .address_space:  global
        .offset:         8
        .size:           8
        .value_kind:     global_buffer
      - .actual_access:  read_only
        .address_space:  global
        .offset:         16
        .size:           8
        .value_kind:     global_buffer
      - .actual_access:  write_only
        .address_space:  global
        .offset:         24
        .size:           8
        .value_kind:     global_buffer
      - .offset:         32
        .size:           4
        .value_kind:     by_value
      - .offset:         36
        .size:           4
        .value_kind:     by_value
      - .offset:         40
        .size:           4
        .value_kind:     by_value
      - .offset:         44
        .size:           4
        .value_kind:     by_value
      - .offset:         48
        .size:           4
        .value_kind:     by_value
      - .offset:         52
        .size:           4
        .value_kind:     by_value
      - .offset:         56
        .size:           4
        .value_kind:     by_value
      - .offset:         60
        .size:           4
        .value_kind:     by_value
      - .offset:         64
        .size:           4
        .value_kind:     by_value
      - .offset:         68
        .size:           4
        .value_kind:     by_value
      - .offset:         72
        .size:           4
        .value_kind:     by_value
      - .offset:         76
        .size:           4
        .value_kind:     by_value
      - .offset:         80
        .size:           4
        .value_kind:     by_value
      - .offset:         84
        .size:           4
        .value_kind:     by_value
      - .offset:         88
        .size:           4
        .value_kind:     by_value
      - .offset:         92
        .size:           4
        .value_kind:     by_value
    .group_segment_fixed_size: 0
    .kernarg_segment_align: 8
    .kernarg_segment_size: 96
    .language:       OpenCL C
    .language_version:
      - 2
      - 0
    .max_flat_workgroup_size: 64
    .name:           _ZL9mul_mat_fI7__half2Li64ELi14ELi1ELb0EEvPKT_PKfPKiPfiiiiiiiiiiiiiiii
    .private_segment_fixed_size: 0
    .sgpr_count:     104
    .sgpr_spill_count: 0
    .symbol:         _ZL9mul_mat_fI7__half2Li64ELi14ELi1ELb0EEvPKT_PKfPKiPfiiiiiiiiiiiiiiii.kd
    .uniform_work_group_size: 1
    .uses_dynamic_stack: false
    .vgpr_count:     140
    .vgpr_spill_count: 0
    .wavefront_size: 64
  - .agpr_count:     16
    .args:
      - .actual_access:  read_only
        .address_space:  global
        .offset:         0
        .size:           8
        .value_kind:     global_buffer
      - .actual_access:  read_only
        .address_space:  global
        .offset:         8
        .size:           8
        .value_kind:     global_buffer
      - .actual_access:  read_only
        .address_space:  global
        .offset:         16
        .size:           8
        .value_kind:     global_buffer
      - .actual_access:  read_only
        .address_space:  global
        .offset:         24
        .size:           8
        .value_kind:     global_buffer
      - .actual_access:  read_only
        .address_space:  global
        .offset:         32
        .size:           8
        .value_kind:     global_buffer
      - .actual_access:  write_only
        .address_space:  global
        .offset:         40
        .size:           8
        .value_kind:     global_buffer
      - .offset:         48
        .size:           4
        .value_kind:     by_value
      - .offset:         52
        .size:           4
        .value_kind:     by_value
      - .offset:         56
        .size:           4
        .value_kind:     by_value
      - .offset:         60
        .size:           4
        .value_kind:     by_value
      - .offset:         64
        .size:           4
        .value_kind:     by_value
      - .offset:         68
        .size:           4
        .value_kind:     by_value
      - .offset:         72
        .size:           4
        .value_kind:     by_value
      - .offset:         76
        .size:           4
        .value_kind:     by_value
      - .offset:         80
        .size:           4
        .value_kind:     by_value
      - .offset:         84
        .size:           4
        .value_kind:     by_value
      - .offset:         88
        .size:           4
        .value_kind:     by_value
      - .offset:         92
        .size:           4
        .value_kind:     by_value
      - .offset:         96
        .size:           4
        .value_kind:     by_value
      - .offset:         100
        .size:           4
        .value_kind:     by_value
      - .offset:         104
        .size:           12
        .value_kind:     by_value
      - .offset:         116
        .size:           12
        .value_kind:     by_value
    .group_segment_fixed_size: 0
    .kernarg_segment_align: 8
    .kernarg_segment_size: 128
    .language:       OpenCL C
    .language_version:
      - 2
      - 0
    .max_flat_workgroup_size: 128
    .name:           _ZL13mul_mat_f_idsI7__half2Li64ELi14ELi2EEvPKT_PKfPKiS7_S7_Pfiiiiiiiiiiiiii15HIP_vector_typeIjLj3EESA_
    .private_segment_fixed_size: 0
    .sgpr_count:     106
    .sgpr_spill_count: 28
    .symbol:         _ZL13mul_mat_f_idsI7__half2Li64ELi14ELi2EEvPKT_PKfPKiS7_S7_Pfiiiiiiiiiiiiii15HIP_vector_typeIjLj3EESA_.kd
    .uniform_work_group_size: 1
    .uses_dynamic_stack: false
    .vgpr_count:     120
    .vgpr_spill_count: 0
    .wavefront_size: 64
  - .agpr_count:     16
    .args:
      - .actual_access:  read_only
        .address_space:  global
        .offset:         0
        .size:           8
        .value_kind:     global_buffer
      - .actual_access:  read_only
        .address_space:  global
        .offset:         8
        .size:           8
        .value_kind:     global_buffer
      - .actual_access:  read_only
        .address_space:  global
        .offset:         16
        .size:           8
        .value_kind:     global_buffer
      - .actual_access:  write_only
        .address_space:  global
        .offset:         24
        .size:           8
        .value_kind:     global_buffer
      - .offset:         32
        .size:           4
        .value_kind:     by_value
      - .offset:         36
        .size:           4
        .value_kind:     by_value
      - .offset:         40
        .size:           4
        .value_kind:     by_value
      - .offset:         44
        .size:           4
        .value_kind:     by_value
      - .offset:         48
        .size:           4
        .value_kind:     by_value
      - .offset:         52
        .size:           4
        .value_kind:     by_value
      - .offset:         56
        .size:           4
        .value_kind:     by_value
      - .offset:         60
        .size:           4
        .value_kind:     by_value
      - .offset:         64
        .size:           4
        .value_kind:     by_value
      - .offset:         68
        .size:           4
        .value_kind:     by_value
      - .offset:         72
        .size:           4
        .value_kind:     by_value
      - .offset:         76
        .size:           4
        .value_kind:     by_value
      - .offset:         80
        .size:           4
        .value_kind:     by_value
      - .offset:         84
        .size:           4
        .value_kind:     by_value
      - .offset:         88
        .size:           4
        .value_kind:     by_value
      - .offset:         92
        .size:           4
        .value_kind:     by_value
      - .offset:         96
        .size:           4
        .value_kind:     hidden_block_count_x
      - .offset:         100
        .size:           4
        .value_kind:     hidden_block_count_y
      - .offset:         104
        .size:           4
        .value_kind:     hidden_block_count_z
      - .offset:         108
        .size:           2
        .value_kind:     hidden_group_size_x
      - .offset:         110
        .size:           2
        .value_kind:     hidden_group_size_y
      - .offset:         112
        .size:           2
        .value_kind:     hidden_group_size_z
      - .offset:         114
        .size:           2
        .value_kind:     hidden_remainder_x
      - .offset:         116
        .size:           2
        .value_kind:     hidden_remainder_y
      - .offset:         118
        .size:           2
        .value_kind:     hidden_remainder_z
      - .offset:         136
        .size:           8
        .value_kind:     hidden_global_offset_x
      - .offset:         144
        .size:           8
        .value_kind:     hidden_global_offset_y
      - .offset:         152
        .size:           8
        .value_kind:     hidden_global_offset_z
      - .offset:         160
        .size:           2
        .value_kind:     hidden_grid_dims
      - .offset:         216
        .size:           4
        .value_kind:     hidden_dynamic_lds_size
    .group_segment_fixed_size: 256
    .kernarg_segment_align: 8
    .kernarg_segment_size: 352
    .language:       OpenCL C
    .language_version:
      - 2
      - 0
    .max_flat_workgroup_size: 128
    .name:           _ZL9mul_mat_fI7__half2Li64ELi14ELi2ELb1EEvPKT_PKfPKiPfiiiiiiiiiiiiiiii
    .private_segment_fixed_size: 0
    .sgpr_count:     106
    .sgpr_spill_count: 38
    .symbol:         _ZL9mul_mat_fI7__half2Li64ELi14ELi2ELb1EEvPKT_PKfPKiPfiiiiiiiiiiiiiiii.kd
    .uniform_work_group_size: 1
    .uses_dynamic_stack: false
    .vgpr_count:     112
    .vgpr_spill_count: 0
    .wavefront_size: 64
  - .agpr_count:     16
    .args:
      - .actual_access:  read_only
        .address_space:  global
        .offset:         0
        .size:           8
        .value_kind:     global_buffer
      - .actual_access:  read_only
        .address_space:  global
        .offset:         8
        .size:           8
        .value_kind:     global_buffer
      - .actual_access:  read_only
        .address_space:  global
        .offset:         16
        .size:           8
        .value_kind:     global_buffer
      - .actual_access:  write_only
        .address_space:  global
        .offset:         24
        .size:           8
        .value_kind:     global_buffer
      - .offset:         32
        .size:           4
        .value_kind:     by_value
      - .offset:         36
        .size:           4
        .value_kind:     by_value
      - .offset:         40
        .size:           4
        .value_kind:     by_value
      - .offset:         44
        .size:           4
        .value_kind:     by_value
      - .offset:         48
        .size:           4
        .value_kind:     by_value
      - .offset:         52
        .size:           4
        .value_kind:     by_value
      - .offset:         56
        .size:           4
        .value_kind:     by_value
      - .offset:         60
        .size:           4
        .value_kind:     by_value
      - .offset:         64
        .size:           4
        .value_kind:     by_value
      - .offset:         68
        .size:           4
        .value_kind:     by_value
      - .offset:         72
        .size:           4
        .value_kind:     by_value
      - .offset:         76
        .size:           4
        .value_kind:     by_value
      - .offset:         80
        .size:           4
        .value_kind:     by_value
      - .offset:         84
        .size:           4
        .value_kind:     by_value
      - .offset:         88
        .size:           4
        .value_kind:     by_value
      - .offset:         92
        .size:           4
        .value_kind:     by_value
    .group_segment_fixed_size: 0
    .kernarg_segment_align: 8
    .kernarg_segment_size: 96
    .language:       OpenCL C
    .language_version:
      - 2
      - 0
    .max_flat_workgroup_size: 128
    .name:           _ZL9mul_mat_fI7__half2Li64ELi14ELi2ELb0EEvPKT_PKfPKiPfiiiiiiiiiiiiiiii
    .private_segment_fixed_size: 0
    .sgpr_count:     104
    .sgpr_spill_count: 0
    .symbol:         _ZL9mul_mat_fI7__half2Li64ELi14ELi2ELb0EEvPKT_PKfPKiPfiiiiiiiiiiiiiiii.kd
    .uniform_work_group_size: 1
    .uses_dynamic_stack: false
    .vgpr_count:     140
    .vgpr_spill_count: 0
    .wavefront_size: 64
  - .agpr_count:     16
    .args:
      - .actual_access:  read_only
        .address_space:  global
        .offset:         0
        .size:           8
        .value_kind:     global_buffer
      - .actual_access:  read_only
        .address_space:  global
        .offset:         8
        .size:           8
        .value_kind:     global_buffer
      - .actual_access:  read_only
        .address_space:  global
        .offset:         16
        .size:           8
        .value_kind:     global_buffer
      - .actual_access:  read_only
        .address_space:  global
        .offset:         24
        .size:           8
        .value_kind:     global_buffer
      - .actual_access:  read_only
        .address_space:  global
        .offset:         32
        .size:           8
        .value_kind:     global_buffer
      - .actual_access:  write_only
        .address_space:  global
        .offset:         40
        .size:           8
        .value_kind:     global_buffer
      - .offset:         48
        .size:           4
        .value_kind:     by_value
      - .offset:         52
        .size:           4
        .value_kind:     by_value
      - .offset:         56
        .size:           4
        .value_kind:     by_value
      - .offset:         60
        .size:           4
        .value_kind:     by_value
      - .offset:         64
        .size:           4
        .value_kind:     by_value
      - .offset:         68
        .size:           4
        .value_kind:     by_value
      - .offset:         72
        .size:           4
        .value_kind:     by_value
      - .offset:         76
        .size:           4
        .value_kind:     by_value
      - .offset:         80
        .size:           4
        .value_kind:     by_value
      - .offset:         84
        .size:           4
        .value_kind:     by_value
      - .offset:         88
        .size:           4
        .value_kind:     by_value
      - .offset:         92
        .size:           4
        .value_kind:     by_value
      - .offset:         96
        .size:           4
        .value_kind:     by_value
      - .offset:         100
        .size:           4
        .value_kind:     by_value
      - .offset:         104
        .size:           12
        .value_kind:     by_value
      - .offset:         116
        .size:           12
        .value_kind:     by_value
    .group_segment_fixed_size: 0
    .kernarg_segment_align: 8
    .kernarg_segment_size: 128
    .language:       OpenCL C
    .language_version:
      - 2
      - 0
    .max_flat_workgroup_size: 192
    .name:           _ZL13mul_mat_f_idsI7__half2Li64ELi14ELi3EEvPKT_PKfPKiS7_S7_Pfiiiiiiiiiiiiii15HIP_vector_typeIjLj3EESA_
    .private_segment_fixed_size: 0
    .sgpr_count:     106
    .sgpr_spill_count: 28
    .symbol:         _ZL13mul_mat_f_idsI7__half2Li64ELi14ELi3EEvPKT_PKfPKiS7_S7_Pfiiiiiiiiiiiiii15HIP_vector_typeIjLj3EESA_.kd
    .uniform_work_group_size: 1
    .uses_dynamic_stack: false
    .vgpr_count:     120
    .vgpr_spill_count: 0
    .wavefront_size: 64
  - .agpr_count:     16
    .args:
      - .actual_access:  read_only
        .address_space:  global
        .offset:         0
        .size:           8
        .value_kind:     global_buffer
      - .actual_access:  read_only
        .address_space:  global
        .offset:         8
        .size:           8
        .value_kind:     global_buffer
      - .actual_access:  read_only
        .address_space:  global
        .offset:         16
        .size:           8
        .value_kind:     global_buffer
      - .actual_access:  write_only
        .address_space:  global
        .offset:         24
        .size:           8
        .value_kind:     global_buffer
      - .offset:         32
        .size:           4
        .value_kind:     by_value
      - .offset:         36
        .size:           4
        .value_kind:     by_value
      - .offset:         40
        .size:           4
        .value_kind:     by_value
      - .offset:         44
        .size:           4
        .value_kind:     by_value
      - .offset:         48
        .size:           4
        .value_kind:     by_value
      - .offset:         52
        .size:           4
        .value_kind:     by_value
      - .offset:         56
        .size:           4
        .value_kind:     by_value
      - .offset:         60
        .size:           4
        .value_kind:     by_value
      - .offset:         64
        .size:           4
        .value_kind:     by_value
      - .offset:         68
        .size:           4
        .value_kind:     by_value
      - .offset:         72
        .size:           4
        .value_kind:     by_value
      - .offset:         76
        .size:           4
        .value_kind:     by_value
      - .offset:         80
        .size:           4
        .value_kind:     by_value
      - .offset:         84
        .size:           4
        .value_kind:     by_value
      - .offset:         88
        .size:           4
        .value_kind:     by_value
      - .offset:         92
        .size:           4
        .value_kind:     by_value
      - .offset:         96
        .size:           4
        .value_kind:     hidden_block_count_x
      - .offset:         100
        .size:           4
        .value_kind:     hidden_block_count_y
      - .offset:         104
        .size:           4
        .value_kind:     hidden_block_count_z
      - .offset:         108
        .size:           2
        .value_kind:     hidden_group_size_x
      - .offset:         110
        .size:           2
        .value_kind:     hidden_group_size_y
      - .offset:         112
        .size:           2
        .value_kind:     hidden_group_size_z
      - .offset:         114
        .size:           2
        .value_kind:     hidden_remainder_x
      - .offset:         116
        .size:           2
        .value_kind:     hidden_remainder_y
      - .offset:         118
        .size:           2
        .value_kind:     hidden_remainder_z
      - .offset:         136
        .size:           8
        .value_kind:     hidden_global_offset_x
      - .offset:         144
        .size:           8
        .value_kind:     hidden_global_offset_y
      - .offset:         152
        .size:           8
        .value_kind:     hidden_global_offset_z
      - .offset:         160
        .size:           2
        .value_kind:     hidden_grid_dims
      - .offset:         216
        .size:           4
        .value_kind:     hidden_dynamic_lds_size
    .group_segment_fixed_size: 256
    .kernarg_segment_align: 8
    .kernarg_segment_size: 352
    .language:       OpenCL C
    .language_version:
      - 2
      - 0
    .max_flat_workgroup_size: 192
    .name:           _ZL9mul_mat_fI7__half2Li64ELi14ELi3ELb1EEvPKT_PKfPKiPfiiiiiiiiiiiiiiii
    .private_segment_fixed_size: 0
    .sgpr_count:     106
    .sgpr_spill_count: 34
    .symbol:         _ZL9mul_mat_fI7__half2Li64ELi14ELi3ELb1EEvPKT_PKfPKiPfiiiiiiiiiiiiiiii.kd
    .uniform_work_group_size: 1
    .uses_dynamic_stack: false
    .vgpr_count:     112
    .vgpr_spill_count: 0
    .wavefront_size: 64
  - .agpr_count:     16
    .args:
      - .actual_access:  read_only
        .address_space:  global
        .offset:         0
        .size:           8
        .value_kind:     global_buffer
      - .actual_access:  read_only
        .address_space:  global
        .offset:         8
        .size:           8
        .value_kind:     global_buffer
      - .actual_access:  read_only
        .address_space:  global
        .offset:         16
        .size:           8
        .value_kind:     global_buffer
      - .actual_access:  write_only
        .address_space:  global
        .offset:         24
        .size:           8
        .value_kind:     global_buffer
      - .offset:         32
        .size:           4
        .value_kind:     by_value
      - .offset:         36
        .size:           4
        .value_kind:     by_value
      - .offset:         40
        .size:           4
        .value_kind:     by_value
      - .offset:         44
        .size:           4
        .value_kind:     by_value
      - .offset:         48
        .size:           4
        .value_kind:     by_value
      - .offset:         52
        .size:           4
        .value_kind:     by_value
      - .offset:         56
        .size:           4
        .value_kind:     by_value
      - .offset:         60
        .size:           4
        .value_kind:     by_value
      - .offset:         64
        .size:           4
        .value_kind:     by_value
      - .offset:         68
        .size:           4
        .value_kind:     by_value
      - .offset:         72
        .size:           4
        .value_kind:     by_value
      - .offset:         76
        .size:           4
        .value_kind:     by_value
      - .offset:         80
        .size:           4
        .value_kind:     by_value
      - .offset:         84
        .size:           4
        .value_kind:     by_value
      - .offset:         88
        .size:           4
        .value_kind:     by_value
      - .offset:         92
        .size:           4
        .value_kind:     by_value
    .group_segment_fixed_size: 0
    .kernarg_segment_align: 8
    .kernarg_segment_size: 96
    .language:       OpenCL C
    .language_version:
      - 2
      - 0
    .max_flat_workgroup_size: 192
    .name:           _ZL9mul_mat_fI7__half2Li64ELi14ELi3ELb0EEvPKT_PKfPKiPfiiiiiiiiiiiiiiii
    .private_segment_fixed_size: 0
    .sgpr_count:     104
    .sgpr_spill_count: 0
    .symbol:         _ZL9mul_mat_fI7__half2Li64ELi14ELi3ELb0EEvPKT_PKfPKiPfiiiiiiiiiiiiiiii.kd
    .uniform_work_group_size: 1
    .uses_dynamic_stack: false
    .vgpr_count:     136
    .vgpr_spill_count: 0
    .wavefront_size: 64
  - .agpr_count:     16
    .args:
      - .actual_access:  read_only
        .address_space:  global
        .offset:         0
        .size:           8
        .value_kind:     global_buffer
      - .actual_access:  read_only
        .address_space:  global
        .offset:         8
        .size:           8
        .value_kind:     global_buffer
      - .actual_access:  read_only
        .address_space:  global
        .offset:         16
        .size:           8
        .value_kind:     global_buffer
      - .actual_access:  read_only
        .address_space:  global
        .offset:         24
        .size:           8
        .value_kind:     global_buffer
      - .actual_access:  read_only
        .address_space:  global
        .offset:         32
        .size:           8
        .value_kind:     global_buffer
      - .actual_access:  write_only
        .address_space:  global
        .offset:         40
        .size:           8
        .value_kind:     global_buffer
      - .offset:         48
        .size:           4
        .value_kind:     by_value
      - .offset:         52
        .size:           4
        .value_kind:     by_value
      - .offset:         56
        .size:           4
        .value_kind:     by_value
      - .offset:         60
        .size:           4
        .value_kind:     by_value
      - .offset:         64
        .size:           4
        .value_kind:     by_value
      - .offset:         68
        .size:           4
        .value_kind:     by_value
      - .offset:         72
        .size:           4
        .value_kind:     by_value
      - .offset:         76
        .size:           4
        .value_kind:     by_value
      - .offset:         80
        .size:           4
        .value_kind:     by_value
      - .offset:         84
        .size:           4
        .value_kind:     by_value
      - .offset:         88
        .size:           4
        .value_kind:     by_value
      - .offset:         92
        .size:           4
        .value_kind:     by_value
      - .offset:         96
        .size:           4
        .value_kind:     by_value
      - .offset:         100
        .size:           4
        .value_kind:     by_value
      - .offset:         104
        .size:           12
        .value_kind:     by_value
      - .offset:         116
        .size:           12
        .value_kind:     by_value
    .group_segment_fixed_size: 0
    .kernarg_segment_align: 8
    .kernarg_segment_size: 128
    .language:       OpenCL C
    .language_version:
      - 2
      - 0
    .max_flat_workgroup_size: 256
    .name:           _ZL13mul_mat_f_idsI7__half2Li64ELi14ELi4EEvPKT_PKfPKiS7_S7_Pfiiiiiiiiiiiiii15HIP_vector_typeIjLj3EESA_
    .private_segment_fixed_size: 0
    .sgpr_count:     106
    .sgpr_spill_count: 28
    .symbol:         _ZL13mul_mat_f_idsI7__half2Li64ELi14ELi4EEvPKT_PKfPKiS7_S7_Pfiiiiiiiiiiiiii15HIP_vector_typeIjLj3EESA_.kd
    .uniform_work_group_size: 1
    .uses_dynamic_stack: false
    .vgpr_count:     120
    .vgpr_spill_count: 0
    .wavefront_size: 64
  - .agpr_count:     16
    .args:
      - .actual_access:  read_only
        .address_space:  global
        .offset:         0
        .size:           8
        .value_kind:     global_buffer
      - .actual_access:  read_only
        .address_space:  global
        .offset:         8
        .size:           8
        .value_kind:     global_buffer
      - .actual_access:  read_only
        .address_space:  global
        .offset:         16
        .size:           8
        .value_kind:     global_buffer
      - .actual_access:  write_only
        .address_space:  global
        .offset:         24
        .size:           8
        .value_kind:     global_buffer
      - .offset:         32
        .size:           4
        .value_kind:     by_value
      - .offset:         36
        .size:           4
        .value_kind:     by_value
      - .offset:         40
        .size:           4
        .value_kind:     by_value
      - .offset:         44
        .size:           4
        .value_kind:     by_value
      - .offset:         48
        .size:           4
        .value_kind:     by_value
      - .offset:         52
        .size:           4
        .value_kind:     by_value
      - .offset:         56
        .size:           4
        .value_kind:     by_value
      - .offset:         60
        .size:           4
        .value_kind:     by_value
      - .offset:         64
        .size:           4
        .value_kind:     by_value
      - .offset:         68
        .size:           4
        .value_kind:     by_value
      - .offset:         72
        .size:           4
        .value_kind:     by_value
      - .offset:         76
        .size:           4
        .value_kind:     by_value
      - .offset:         80
        .size:           4
        .value_kind:     by_value
      - .offset:         84
        .size:           4
        .value_kind:     by_value
      - .offset:         88
        .size:           4
        .value_kind:     by_value
      - .offset:         92
        .size:           4
        .value_kind:     by_value
      - .offset:         96
        .size:           4
        .value_kind:     hidden_block_count_x
      - .offset:         100
        .size:           4
        .value_kind:     hidden_block_count_y
      - .offset:         104
        .size:           4
        .value_kind:     hidden_block_count_z
      - .offset:         108
        .size:           2
        .value_kind:     hidden_group_size_x
      - .offset:         110
        .size:           2
        .value_kind:     hidden_group_size_y
      - .offset:         112
        .size:           2
        .value_kind:     hidden_group_size_z
      - .offset:         114
        .size:           2
        .value_kind:     hidden_remainder_x
      - .offset:         116
        .size:           2
        .value_kind:     hidden_remainder_y
      - .offset:         118
        .size:           2
        .value_kind:     hidden_remainder_z
      - .offset:         136
        .size:           8
        .value_kind:     hidden_global_offset_x
      - .offset:         144
        .size:           8
        .value_kind:     hidden_global_offset_y
      - .offset:         152
        .size:           8
        .value_kind:     hidden_global_offset_z
      - .offset:         160
        .size:           2
        .value_kind:     hidden_grid_dims
      - .offset:         216
        .size:           4
        .value_kind:     hidden_dynamic_lds_size
    .group_segment_fixed_size: 256
    .kernarg_segment_align: 8
    .kernarg_segment_size: 352
    .language:       OpenCL C
    .language_version:
      - 2
      - 0
    .max_flat_workgroup_size: 256
    .name:           _ZL9mul_mat_fI7__half2Li64ELi14ELi4ELb1EEvPKT_PKfPKiPfiiiiiiiiiiiiiiii
    .private_segment_fixed_size: 0
    .sgpr_count:     106
    .sgpr_spill_count: 32
    .symbol:         _ZL9mul_mat_fI7__half2Li64ELi14ELi4ELb1EEvPKT_PKfPKiPfiiiiiiiiiiiiiiii.kd
    .uniform_work_group_size: 1
    .uses_dynamic_stack: false
    .vgpr_count:     112
    .vgpr_spill_count: 0
    .wavefront_size: 64
  - .agpr_count:     16
    .args:
      - .actual_access:  read_only
        .address_space:  global
        .offset:         0
        .size:           8
        .value_kind:     global_buffer
      - .actual_access:  read_only
        .address_space:  global
        .offset:         8
        .size:           8
        .value_kind:     global_buffer
      - .actual_access:  read_only
        .address_space:  global
        .offset:         16
        .size:           8
        .value_kind:     global_buffer
      - .actual_access:  write_only
        .address_space:  global
        .offset:         24
        .size:           8
        .value_kind:     global_buffer
      - .offset:         32
        .size:           4
        .value_kind:     by_value
      - .offset:         36
        .size:           4
        .value_kind:     by_value
      - .offset:         40
        .size:           4
        .value_kind:     by_value
      - .offset:         44
        .size:           4
        .value_kind:     by_value
      - .offset:         48
        .size:           4
        .value_kind:     by_value
      - .offset:         52
        .size:           4
        .value_kind:     by_value
      - .offset:         56
        .size:           4
        .value_kind:     by_value
      - .offset:         60
        .size:           4
        .value_kind:     by_value
      - .offset:         64
        .size:           4
        .value_kind:     by_value
      - .offset:         68
        .size:           4
        .value_kind:     by_value
      - .offset:         72
        .size:           4
        .value_kind:     by_value
      - .offset:         76
        .size:           4
        .value_kind:     by_value
      - .offset:         80
        .size:           4
        .value_kind:     by_value
      - .offset:         84
        .size:           4
        .value_kind:     by_value
      - .offset:         88
        .size:           4
        .value_kind:     by_value
      - .offset:         92
        .size:           4
        .value_kind:     by_value
    .group_segment_fixed_size: 0
    .kernarg_segment_align: 8
    .kernarg_segment_size: 96
    .language:       OpenCL C
    .language_version:
      - 2
      - 0
    .max_flat_workgroup_size: 256
    .name:           _ZL9mul_mat_fI7__half2Li64ELi14ELi4ELb0EEvPKT_PKfPKiPfiiiiiiiiiiiiiiii
    .private_segment_fixed_size: 0
    .sgpr_count:     104
    .sgpr_spill_count: 0
    .symbol:         _ZL9mul_mat_fI7__half2Li64ELi14ELi4ELb0EEvPKT_PKfPKiPfiiiiiiiiiiiiiiii.kd
    .uniform_work_group_size: 1
    .uses_dynamic_stack: false
    .vgpr_count:     136
    .vgpr_spill_count: 0
    .wavefront_size: 64
  - .agpr_count:     0
    .args:
      - .actual_access:  read_only
        .address_space:  global
        .offset:         0
        .size:           8
        .value_kind:     global_buffer
      - .actual_access:  read_only
        .address_space:  global
        .offset:         8
        .size:           8
        .value_kind:     global_buffer
      - .actual_access:  read_only
        .address_space:  global
        .offset:         16
        .size:           8
        .value_kind:     global_buffer
      - .actual_access:  read_only
        .address_space:  global
        .offset:         24
        .size:           8
        .value_kind:     global_buffer
      - .actual_access:  read_only
        .address_space:  global
        .offset:         32
        .size:           8
        .value_kind:     global_buffer
      - .actual_access:  write_only
        .address_space:  global
        .offset:         40
        .size:           8
        .value_kind:     global_buffer
      - .offset:         48
        .size:           4
        .value_kind:     by_value
      - .offset:         52
        .size:           4
        .value_kind:     by_value
      - .offset:         56
        .size:           4
        .value_kind:     by_value
      - .offset:         60
        .size:           4
        .value_kind:     by_value
      - .offset:         64
        .size:           4
        .value_kind:     by_value
      - .offset:         68
        .size:           4
        .value_kind:     by_value
      - .offset:         72
        .size:           4
        .value_kind:     by_value
      - .offset:         76
        .size:           4
        .value_kind:     by_value
      - .offset:         80
        .size:           4
        .value_kind:     by_value
      - .offset:         84
        .size:           4
        .value_kind:     by_value
      - .offset:         88
        .size:           4
        .value_kind:     by_value
      - .offset:         92
        .size:           4
        .value_kind:     by_value
      - .offset:         96
        .size:           4
        .value_kind:     by_value
      - .offset:         100
        .size:           4
        .value_kind:     by_value
      - .offset:         104
        .size:           12
        .value_kind:     by_value
      - .offset:         116
        .size:           12
        .value_kind:     by_value
    .group_segment_fixed_size: 0
    .kernarg_segment_align: 8
    .kernarg_segment_size: 128
    .language:       OpenCL C
    .language_version:
      - 2
      - 0
    .max_flat_workgroup_size: 320
    .name:           _ZL13mul_mat_f_idsI7__half2Li64ELi14ELi5EEvPKT_PKfPKiS7_S7_Pfiiiiiiiiiiiiii15HIP_vector_typeIjLj3EESA_
    .private_segment_fixed_size: 0
    .sgpr_count:     106
    .sgpr_spill_count: 28
    .symbol:         _ZL13mul_mat_f_idsI7__half2Li64ELi14ELi5EEvPKT_PKfPKiS7_S7_Pfiiiiiiiiiiiiii15HIP_vector_typeIjLj3EESA_.kd
    .uniform_work_group_size: 1
    .uses_dynamic_stack: false
    .vgpr_count:     120
    .vgpr_spill_count: 0
    .wavefront_size: 64
  - .agpr_count:     0
    .args:
      - .actual_access:  read_only
        .address_space:  global
        .offset:         0
        .size:           8
        .value_kind:     global_buffer
      - .actual_access:  read_only
        .address_space:  global
        .offset:         8
        .size:           8
        .value_kind:     global_buffer
      - .actual_access:  read_only
        .address_space:  global
        .offset:         16
        .size:           8
        .value_kind:     global_buffer
      - .actual_access:  write_only
        .address_space:  global
        .offset:         24
        .size:           8
        .value_kind:     global_buffer
      - .offset:         32
        .size:           4
        .value_kind:     by_value
      - .offset:         36
        .size:           4
        .value_kind:     by_value
      - .offset:         40
        .size:           4
        .value_kind:     by_value
      - .offset:         44
        .size:           4
        .value_kind:     by_value
      - .offset:         48
        .size:           4
        .value_kind:     by_value
      - .offset:         52
        .size:           4
        .value_kind:     by_value
      - .offset:         56
        .size:           4
        .value_kind:     by_value
      - .offset:         60
        .size:           4
        .value_kind:     by_value
      - .offset:         64
        .size:           4
        .value_kind:     by_value
      - .offset:         68
        .size:           4
        .value_kind:     by_value
      - .offset:         72
        .size:           4
        .value_kind:     by_value
      - .offset:         76
        .size:           4
        .value_kind:     by_value
      - .offset:         80
        .size:           4
        .value_kind:     by_value
      - .offset:         84
        .size:           4
        .value_kind:     by_value
      - .offset:         88
        .size:           4
        .value_kind:     by_value
      - .offset:         92
        .size:           4
        .value_kind:     by_value
      - .offset:         96
        .size:           4
        .value_kind:     hidden_block_count_x
      - .offset:         100
        .size:           4
        .value_kind:     hidden_block_count_y
      - .offset:         104
        .size:           4
        .value_kind:     hidden_block_count_z
      - .offset:         108
        .size:           2
        .value_kind:     hidden_group_size_x
      - .offset:         110
        .size:           2
        .value_kind:     hidden_group_size_y
      - .offset:         112
        .size:           2
        .value_kind:     hidden_group_size_z
      - .offset:         114
        .size:           2
        .value_kind:     hidden_remainder_x
      - .offset:         116
        .size:           2
        .value_kind:     hidden_remainder_y
      - .offset:         118
        .size:           2
        .value_kind:     hidden_remainder_z
      - .offset:         136
        .size:           8
        .value_kind:     hidden_global_offset_x
      - .offset:         144
        .size:           8
        .value_kind:     hidden_global_offset_y
      - .offset:         152
        .size:           8
        .value_kind:     hidden_global_offset_z
      - .offset:         160
        .size:           2
        .value_kind:     hidden_grid_dims
      - .offset:         216
        .size:           4
        .value_kind:     hidden_dynamic_lds_size
    .group_segment_fixed_size: 256
    .kernarg_segment_align: 8
    .kernarg_segment_size: 352
    .language:       OpenCL C
    .language_version:
      - 2
      - 0
    .max_flat_workgroup_size: 320
    .name:           _ZL9mul_mat_fI7__half2Li64ELi14ELi5ELb1EEvPKT_PKfPKiPfiiiiiiiiiiiiiiii
    .private_segment_fixed_size: 0
    .sgpr_count:     106
    .sgpr_spill_count: 30
    .symbol:         _ZL9mul_mat_fI7__half2Li64ELi14ELi5ELb1EEvPKT_PKfPKiPfiiiiiiiiiiiiiiii.kd
    .uniform_work_group_size: 1
    .uses_dynamic_stack: false
    .vgpr_count:     111
    .vgpr_spill_count: 0
    .wavefront_size: 64
  - .agpr_count:     0
    .args:
      - .actual_access:  read_only
        .address_space:  global
        .offset:         0
        .size:           8
        .value_kind:     global_buffer
      - .actual_access:  read_only
        .address_space:  global
        .offset:         8
        .size:           8
        .value_kind:     global_buffer
      - .actual_access:  read_only
        .address_space:  global
        .offset:         16
        .size:           8
        .value_kind:     global_buffer
      - .actual_access:  write_only
        .address_space:  global
        .offset:         24
        .size:           8
        .value_kind:     global_buffer
      - .offset:         32
        .size:           4
        .value_kind:     by_value
      - .offset:         36
        .size:           4
        .value_kind:     by_value
      - .offset:         40
        .size:           4
        .value_kind:     by_value
      - .offset:         44
        .size:           4
        .value_kind:     by_value
      - .offset:         48
        .size:           4
        .value_kind:     by_value
      - .offset:         52
        .size:           4
        .value_kind:     by_value
      - .offset:         56
        .size:           4
        .value_kind:     by_value
      - .offset:         60
        .size:           4
        .value_kind:     by_value
      - .offset:         64
        .size:           4
        .value_kind:     by_value
      - .offset:         68
        .size:           4
        .value_kind:     by_value
      - .offset:         72
        .size:           4
        .value_kind:     by_value
      - .offset:         76
        .size:           4
        .value_kind:     by_value
      - .offset:         80
        .size:           4
        .value_kind:     by_value
      - .offset:         84
        .size:           4
        .value_kind:     by_value
      - .offset:         88
        .size:           4
        .value_kind:     by_value
      - .offset:         92
        .size:           4
        .value_kind:     by_value
    .group_segment_fixed_size: 0
    .kernarg_segment_align: 8
    .kernarg_segment_size: 96
    .language:       OpenCL C
    .language_version:
      - 2
      - 0
    .max_flat_workgroup_size: 320
    .name:           _ZL9mul_mat_fI7__half2Li64ELi14ELi5ELb0EEvPKT_PKfPKiPfiiiiiiiiiiiiiiii
    .private_segment_fixed_size: 0
    .sgpr_count:     104
    .sgpr_spill_count: 0
    .symbol:         _ZL9mul_mat_fI7__half2Li64ELi14ELi5ELb0EEvPKT_PKfPKiPfiiiiiiiiiiiiiiii.kd
    .uniform_work_group_size: 1
    .uses_dynamic_stack: false
    .vgpr_count:     136
    .vgpr_spill_count: 0
    .wavefront_size: 64
  - .agpr_count:     0
    .args:
      - .actual_access:  read_only
        .address_space:  global
        .offset:         0
        .size:           8
        .value_kind:     global_buffer
      - .actual_access:  read_only
        .address_space:  global
        .offset:         8
        .size:           8
        .value_kind:     global_buffer
      - .actual_access:  read_only
        .address_space:  global
        .offset:         16
        .size:           8
        .value_kind:     global_buffer
      - .actual_access:  read_only
        .address_space:  global
        .offset:         24
        .size:           8
        .value_kind:     global_buffer
      - .actual_access:  read_only
        .address_space:  global
        .offset:         32
        .size:           8
        .value_kind:     global_buffer
      - .actual_access:  write_only
        .address_space:  global
        .offset:         40
        .size:           8
        .value_kind:     global_buffer
      - .offset:         48
        .size:           4
        .value_kind:     by_value
      - .offset:         52
        .size:           4
        .value_kind:     by_value
      - .offset:         56
        .size:           4
        .value_kind:     by_value
      - .offset:         60
        .size:           4
        .value_kind:     by_value
      - .offset:         64
        .size:           4
        .value_kind:     by_value
      - .offset:         68
        .size:           4
        .value_kind:     by_value
      - .offset:         72
        .size:           4
        .value_kind:     by_value
      - .offset:         76
        .size:           4
        .value_kind:     by_value
      - .offset:         80
        .size:           4
        .value_kind:     by_value
      - .offset:         84
        .size:           4
        .value_kind:     by_value
      - .offset:         88
        .size:           4
        .value_kind:     by_value
      - .offset:         92
        .size:           4
        .value_kind:     by_value
      - .offset:         96
        .size:           4
        .value_kind:     by_value
      - .offset:         100
        .size:           4
        .value_kind:     by_value
      - .offset:         104
        .size:           12
        .value_kind:     by_value
      - .offset:         116
        .size:           12
        .value_kind:     by_value
    .group_segment_fixed_size: 0
    .kernarg_segment_align: 8
    .kernarg_segment_size: 128
    .language:       OpenCL C
    .language_version:
      - 2
      - 0
    .max_flat_workgroup_size: 384
    .name:           _ZL13mul_mat_f_idsI7__half2Li64ELi14ELi6EEvPKT_PKfPKiS7_S7_Pfiiiiiiiiiiiiii15HIP_vector_typeIjLj3EESA_
    .private_segment_fixed_size: 0
    .sgpr_count:     106
    .sgpr_spill_count: 28
    .symbol:         _ZL13mul_mat_f_idsI7__half2Li64ELi14ELi6EEvPKT_PKfPKiS7_S7_Pfiiiiiiiiiiiiii15HIP_vector_typeIjLj3EESA_.kd
    .uniform_work_group_size: 1
    .uses_dynamic_stack: false
    .vgpr_count:     120
    .vgpr_spill_count: 0
    .wavefront_size: 64
  - .agpr_count:     0
    .args:
      - .actual_access:  read_only
        .address_space:  global
        .offset:         0
        .size:           8
        .value_kind:     global_buffer
      - .actual_access:  read_only
        .address_space:  global
        .offset:         8
        .size:           8
        .value_kind:     global_buffer
      - .actual_access:  read_only
        .address_space:  global
        .offset:         16
        .size:           8
        .value_kind:     global_buffer
      - .actual_access:  write_only
        .address_space:  global
        .offset:         24
        .size:           8
        .value_kind:     global_buffer
      - .offset:         32
        .size:           4
        .value_kind:     by_value
      - .offset:         36
        .size:           4
        .value_kind:     by_value
      - .offset:         40
        .size:           4
        .value_kind:     by_value
      - .offset:         44
        .size:           4
        .value_kind:     by_value
      - .offset:         48
        .size:           4
        .value_kind:     by_value
      - .offset:         52
        .size:           4
        .value_kind:     by_value
      - .offset:         56
        .size:           4
        .value_kind:     by_value
      - .offset:         60
        .size:           4
        .value_kind:     by_value
      - .offset:         64
        .size:           4
        .value_kind:     by_value
      - .offset:         68
        .size:           4
        .value_kind:     by_value
      - .offset:         72
        .size:           4
        .value_kind:     by_value
      - .offset:         76
        .size:           4
        .value_kind:     by_value
      - .offset:         80
        .size:           4
        .value_kind:     by_value
      - .offset:         84
        .size:           4
        .value_kind:     by_value
      - .offset:         88
        .size:           4
        .value_kind:     by_value
      - .offset:         92
        .size:           4
        .value_kind:     by_value
      - .offset:         96
        .size:           4
        .value_kind:     hidden_block_count_x
      - .offset:         100
        .size:           4
        .value_kind:     hidden_block_count_y
      - .offset:         104
        .size:           4
        .value_kind:     hidden_block_count_z
      - .offset:         108
        .size:           2
        .value_kind:     hidden_group_size_x
      - .offset:         110
        .size:           2
        .value_kind:     hidden_group_size_y
      - .offset:         112
        .size:           2
        .value_kind:     hidden_group_size_z
      - .offset:         114
        .size:           2
        .value_kind:     hidden_remainder_x
      - .offset:         116
        .size:           2
        .value_kind:     hidden_remainder_y
      - .offset:         118
        .size:           2
        .value_kind:     hidden_remainder_z
      - .offset:         136
        .size:           8
        .value_kind:     hidden_global_offset_x
      - .offset:         144
        .size:           8
        .value_kind:     hidden_global_offset_y
      - .offset:         152
        .size:           8
        .value_kind:     hidden_global_offset_z
      - .offset:         160
        .size:           2
        .value_kind:     hidden_grid_dims
      - .offset:         216
        .size:           4
        .value_kind:     hidden_dynamic_lds_size
    .group_segment_fixed_size: 256
    .kernarg_segment_align: 8
    .kernarg_segment_size: 352
    .language:       OpenCL C
    .language_version:
      - 2
      - 0
    .max_flat_workgroup_size: 384
    .name:           _ZL9mul_mat_fI7__half2Li64ELi14ELi6ELb1EEvPKT_PKfPKiPfiiiiiiiiiiiiiiii
    .private_segment_fixed_size: 0
    .sgpr_count:     106
    .sgpr_spill_count: 30
    .symbol:         _ZL9mul_mat_fI7__half2Li64ELi14ELi6ELb1EEvPKT_PKfPKiPfiiiiiiiiiiiiiiii.kd
    .uniform_work_group_size: 1
    .uses_dynamic_stack: false
    .vgpr_count:     111
    .vgpr_spill_count: 0
    .wavefront_size: 64
  - .agpr_count:     0
    .args:
      - .actual_access:  read_only
        .address_space:  global
        .offset:         0
        .size:           8
        .value_kind:     global_buffer
      - .actual_access:  read_only
        .address_space:  global
        .offset:         8
        .size:           8
        .value_kind:     global_buffer
      - .actual_access:  read_only
        .address_space:  global
        .offset:         16
        .size:           8
        .value_kind:     global_buffer
      - .actual_access:  write_only
        .address_space:  global
        .offset:         24
        .size:           8
        .value_kind:     global_buffer
      - .offset:         32
        .size:           4
        .value_kind:     by_value
      - .offset:         36
        .size:           4
        .value_kind:     by_value
      - .offset:         40
        .size:           4
        .value_kind:     by_value
      - .offset:         44
        .size:           4
        .value_kind:     by_value
      - .offset:         48
        .size:           4
        .value_kind:     by_value
      - .offset:         52
        .size:           4
        .value_kind:     by_value
      - .offset:         56
        .size:           4
        .value_kind:     by_value
      - .offset:         60
        .size:           4
        .value_kind:     by_value
      - .offset:         64
        .size:           4
        .value_kind:     by_value
      - .offset:         68
        .size:           4
        .value_kind:     by_value
      - .offset:         72
        .size:           4
        .value_kind:     by_value
      - .offset:         76
        .size:           4
        .value_kind:     by_value
      - .offset:         80
        .size:           4
        .value_kind:     by_value
      - .offset:         84
        .size:           4
        .value_kind:     by_value
      - .offset:         88
        .size:           4
        .value_kind:     by_value
      - .offset:         92
        .size:           4
        .value_kind:     by_value
    .group_segment_fixed_size: 0
    .kernarg_segment_align: 8
    .kernarg_segment_size: 96
    .language:       OpenCL C
    .language_version:
      - 2
      - 0
    .max_flat_workgroup_size: 384
    .name:           _ZL9mul_mat_fI7__half2Li64ELi14ELi6ELb0EEvPKT_PKfPKiPfiiiiiiiiiiiiiiii
    .private_segment_fixed_size: 0
    .sgpr_count:     104
    .sgpr_spill_count: 0
    .symbol:         _ZL9mul_mat_fI7__half2Li64ELi14ELi6ELb0EEvPKT_PKfPKiPfiiiiiiiiiiiiiiii.kd
    .uniform_work_group_size: 1
    .uses_dynamic_stack: false
    .vgpr_count:     136
    .vgpr_spill_count: 0
    .wavefront_size: 64
  - .agpr_count:     0
    .args:
      - .actual_access:  read_only
        .address_space:  global
        .offset:         0
        .size:           8
        .value_kind:     global_buffer
      - .actual_access:  read_only
        .address_space:  global
        .offset:         8
        .size:           8
        .value_kind:     global_buffer
      - .actual_access:  read_only
        .address_space:  global
        .offset:         16
        .size:           8
        .value_kind:     global_buffer
      - .actual_access:  read_only
        .address_space:  global
        .offset:         24
        .size:           8
        .value_kind:     global_buffer
      - .actual_access:  read_only
        .address_space:  global
        .offset:         32
        .size:           8
        .value_kind:     global_buffer
      - .actual_access:  write_only
        .address_space:  global
        .offset:         40
        .size:           8
        .value_kind:     global_buffer
      - .offset:         48
        .size:           4
        .value_kind:     by_value
      - .offset:         52
        .size:           4
        .value_kind:     by_value
      - .offset:         56
        .size:           4
        .value_kind:     by_value
      - .offset:         60
        .size:           4
        .value_kind:     by_value
      - .offset:         64
        .size:           4
        .value_kind:     by_value
      - .offset:         68
        .size:           4
        .value_kind:     by_value
      - .offset:         72
        .size:           4
        .value_kind:     by_value
      - .offset:         76
        .size:           4
        .value_kind:     by_value
      - .offset:         80
        .size:           4
        .value_kind:     by_value
      - .offset:         84
        .size:           4
        .value_kind:     by_value
      - .offset:         88
        .size:           4
        .value_kind:     by_value
      - .offset:         92
        .size:           4
        .value_kind:     by_value
      - .offset:         96
        .size:           4
        .value_kind:     by_value
      - .offset:         100
        .size:           4
        .value_kind:     by_value
      - .offset:         104
        .size:           12
        .value_kind:     by_value
      - .offset:         116
        .size:           12
        .value_kind:     by_value
    .group_segment_fixed_size: 0
    .kernarg_segment_align: 8
    .kernarg_segment_size: 128
    .language:       OpenCL C
    .language_version:
      - 2
      - 0
    .max_flat_workgroup_size: 448
    .name:           _ZL13mul_mat_f_idsI7__half2Li64ELi14ELi7EEvPKT_PKfPKiS7_S7_Pfiiiiiiiiiiiiii15HIP_vector_typeIjLj3EESA_
    .private_segment_fixed_size: 0
    .sgpr_count:     106
    .sgpr_spill_count: 28
    .symbol:         _ZL13mul_mat_f_idsI7__half2Li64ELi14ELi7EEvPKT_PKfPKiS7_S7_Pfiiiiiiiiiiiiii15HIP_vector_typeIjLj3EESA_.kd
    .uniform_work_group_size: 1
    .uses_dynamic_stack: false
    .vgpr_count:     120
    .vgpr_spill_count: 0
    .wavefront_size: 64
  - .agpr_count:     0
    .args:
      - .actual_access:  read_only
        .address_space:  global
        .offset:         0
        .size:           8
        .value_kind:     global_buffer
      - .actual_access:  read_only
        .address_space:  global
        .offset:         8
        .size:           8
        .value_kind:     global_buffer
      - .actual_access:  read_only
        .address_space:  global
        .offset:         16
        .size:           8
        .value_kind:     global_buffer
      - .actual_access:  write_only
        .address_space:  global
        .offset:         24
        .size:           8
        .value_kind:     global_buffer
      - .offset:         32
        .size:           4
        .value_kind:     by_value
      - .offset:         36
        .size:           4
        .value_kind:     by_value
      - .offset:         40
        .size:           4
        .value_kind:     by_value
      - .offset:         44
        .size:           4
        .value_kind:     by_value
      - .offset:         48
        .size:           4
        .value_kind:     by_value
      - .offset:         52
        .size:           4
        .value_kind:     by_value
      - .offset:         56
        .size:           4
        .value_kind:     by_value
      - .offset:         60
        .size:           4
        .value_kind:     by_value
      - .offset:         64
        .size:           4
        .value_kind:     by_value
      - .offset:         68
        .size:           4
        .value_kind:     by_value
      - .offset:         72
        .size:           4
        .value_kind:     by_value
      - .offset:         76
        .size:           4
        .value_kind:     by_value
      - .offset:         80
        .size:           4
        .value_kind:     by_value
      - .offset:         84
        .size:           4
        .value_kind:     by_value
      - .offset:         88
        .size:           4
        .value_kind:     by_value
      - .offset:         92
        .size:           4
        .value_kind:     by_value
      - .offset:         96
        .size:           4
        .value_kind:     hidden_block_count_x
      - .offset:         100
        .size:           4
        .value_kind:     hidden_block_count_y
      - .offset:         104
        .size:           4
        .value_kind:     hidden_block_count_z
      - .offset:         108
        .size:           2
        .value_kind:     hidden_group_size_x
      - .offset:         110
        .size:           2
        .value_kind:     hidden_group_size_y
      - .offset:         112
        .size:           2
        .value_kind:     hidden_group_size_z
      - .offset:         114
        .size:           2
        .value_kind:     hidden_remainder_x
      - .offset:         116
        .size:           2
        .value_kind:     hidden_remainder_y
      - .offset:         118
        .size:           2
        .value_kind:     hidden_remainder_z
      - .offset:         136
        .size:           8
        .value_kind:     hidden_global_offset_x
      - .offset:         144
        .size:           8
        .value_kind:     hidden_global_offset_y
      - .offset:         152
        .size:           8
        .value_kind:     hidden_global_offset_z
      - .offset:         160
        .size:           2
        .value_kind:     hidden_grid_dims
      - .offset:         216
        .size:           4
        .value_kind:     hidden_dynamic_lds_size
    .group_segment_fixed_size: 256
    .kernarg_segment_align: 8
    .kernarg_segment_size: 352
    .language:       OpenCL C
    .language_version:
      - 2
      - 0
    .max_flat_workgroup_size: 448
    .name:           _ZL9mul_mat_fI7__half2Li64ELi14ELi7ELb1EEvPKT_PKfPKiPfiiiiiiiiiiiiiiii
    .private_segment_fixed_size: 0
    .sgpr_count:     106
    .sgpr_spill_count: 28
    .symbol:         _ZL9mul_mat_fI7__half2Li64ELi14ELi7ELb1EEvPKT_PKfPKiPfiiiiiiiiiiiiiiii.kd
    .uniform_work_group_size: 1
    .uses_dynamic_stack: false
    .vgpr_count:     110
    .vgpr_spill_count: 0
    .wavefront_size: 64
  - .agpr_count:     0
    .args:
      - .actual_access:  read_only
        .address_space:  global
        .offset:         0
        .size:           8
        .value_kind:     global_buffer
      - .actual_access:  read_only
        .address_space:  global
        .offset:         8
        .size:           8
        .value_kind:     global_buffer
      - .actual_access:  read_only
        .address_space:  global
        .offset:         16
        .size:           8
        .value_kind:     global_buffer
      - .actual_access:  write_only
        .address_space:  global
        .offset:         24
        .size:           8
        .value_kind:     global_buffer
      - .offset:         32
        .size:           4
        .value_kind:     by_value
      - .offset:         36
        .size:           4
        .value_kind:     by_value
      - .offset:         40
        .size:           4
        .value_kind:     by_value
      - .offset:         44
        .size:           4
        .value_kind:     by_value
      - .offset:         48
        .size:           4
        .value_kind:     by_value
      - .offset:         52
        .size:           4
        .value_kind:     by_value
      - .offset:         56
        .size:           4
        .value_kind:     by_value
      - .offset:         60
        .size:           4
        .value_kind:     by_value
      - .offset:         64
        .size:           4
        .value_kind:     by_value
      - .offset:         68
        .size:           4
        .value_kind:     by_value
      - .offset:         72
        .size:           4
        .value_kind:     by_value
      - .offset:         76
        .size:           4
        .value_kind:     by_value
      - .offset:         80
        .size:           4
        .value_kind:     by_value
      - .offset:         84
        .size:           4
        .value_kind:     by_value
      - .offset:         88
        .size:           4
        .value_kind:     by_value
      - .offset:         92
        .size:           4
        .value_kind:     by_value
    .group_segment_fixed_size: 0
    .kernarg_segment_align: 8
    .kernarg_segment_size: 96
    .language:       OpenCL C
    .language_version:
      - 2
      - 0
    .max_flat_workgroup_size: 448
    .name:           _ZL9mul_mat_fI7__half2Li64ELi14ELi7ELb0EEvPKT_PKfPKiPfiiiiiiiiiiiiiiii
    .private_segment_fixed_size: 0
    .sgpr_count:     104
    .sgpr_spill_count: 0
    .symbol:         _ZL9mul_mat_fI7__half2Li64ELi14ELi7ELb0EEvPKT_PKfPKiPfiiiiiiiiiiiiiiii.kd
    .uniform_work_group_size: 1
    .uses_dynamic_stack: false
    .vgpr_count:     128
    .vgpr_spill_count: 0
    .wavefront_size: 64
  - .agpr_count:     0
    .args:
      - .actual_access:  read_only
        .address_space:  global
        .offset:         0
        .size:           8
        .value_kind:     global_buffer
      - .actual_access:  read_only
        .address_space:  global
        .offset:         8
        .size:           8
        .value_kind:     global_buffer
      - .actual_access:  read_only
        .address_space:  global
        .offset:         16
        .size:           8
        .value_kind:     global_buffer
      - .actual_access:  read_only
        .address_space:  global
        .offset:         24
        .size:           8
        .value_kind:     global_buffer
      - .actual_access:  read_only
        .address_space:  global
        .offset:         32
        .size:           8
        .value_kind:     global_buffer
      - .actual_access:  write_only
        .address_space:  global
        .offset:         40
        .size:           8
        .value_kind:     global_buffer
      - .offset:         48
        .size:           4
        .value_kind:     by_value
      - .offset:         52
        .size:           4
        .value_kind:     by_value
      - .offset:         56
        .size:           4
        .value_kind:     by_value
      - .offset:         60
        .size:           4
        .value_kind:     by_value
      - .offset:         64
        .size:           4
        .value_kind:     by_value
      - .offset:         68
        .size:           4
        .value_kind:     by_value
      - .offset:         72
        .size:           4
        .value_kind:     by_value
      - .offset:         76
        .size:           4
        .value_kind:     by_value
      - .offset:         80
        .size:           4
        .value_kind:     by_value
      - .offset:         84
        .size:           4
        .value_kind:     by_value
      - .offset:         88
        .size:           4
        .value_kind:     by_value
      - .offset:         92
        .size:           4
        .value_kind:     by_value
      - .offset:         96
        .size:           4
        .value_kind:     by_value
      - .offset:         100
        .size:           4
        .value_kind:     by_value
      - .offset:         104
        .size:           12
        .value_kind:     by_value
      - .offset:         116
        .size:           12
        .value_kind:     by_value
    .group_segment_fixed_size: 0
    .kernarg_segment_align: 8
    .kernarg_segment_size: 128
    .language:       OpenCL C
    .language_version:
      - 2
      - 0
    .max_flat_workgroup_size: 512
    .name:           _ZL13mul_mat_f_idsI7__half2Li64ELi14ELi8EEvPKT_PKfPKiS7_S7_Pfiiiiiiiiiiiiii15HIP_vector_typeIjLj3EESA_
    .private_segment_fixed_size: 0
    .sgpr_count:     106
    .sgpr_spill_count: 28
    .symbol:         _ZL13mul_mat_f_idsI7__half2Li64ELi14ELi8EEvPKT_PKfPKiS7_S7_Pfiiiiiiiiiiiiii15HIP_vector_typeIjLj3EESA_.kd
    .uniform_work_group_size: 1
    .uses_dynamic_stack: false
    .vgpr_count:     120
    .vgpr_spill_count: 0
    .wavefront_size: 64
  - .agpr_count:     0
    .args:
      - .actual_access:  read_only
        .address_space:  global
        .offset:         0
        .size:           8
        .value_kind:     global_buffer
      - .actual_access:  read_only
        .address_space:  global
        .offset:         8
        .size:           8
        .value_kind:     global_buffer
      - .actual_access:  read_only
        .address_space:  global
        .offset:         16
        .size:           8
        .value_kind:     global_buffer
      - .actual_access:  write_only
        .address_space:  global
        .offset:         24
        .size:           8
        .value_kind:     global_buffer
      - .offset:         32
        .size:           4
        .value_kind:     by_value
      - .offset:         36
        .size:           4
        .value_kind:     by_value
      - .offset:         40
        .size:           4
        .value_kind:     by_value
      - .offset:         44
        .size:           4
        .value_kind:     by_value
      - .offset:         48
        .size:           4
        .value_kind:     by_value
      - .offset:         52
        .size:           4
        .value_kind:     by_value
      - .offset:         56
        .size:           4
        .value_kind:     by_value
      - .offset:         60
        .size:           4
        .value_kind:     by_value
      - .offset:         64
        .size:           4
        .value_kind:     by_value
      - .offset:         68
        .size:           4
        .value_kind:     by_value
      - .offset:         72
        .size:           4
        .value_kind:     by_value
      - .offset:         76
        .size:           4
        .value_kind:     by_value
      - .offset:         80
        .size:           4
        .value_kind:     by_value
      - .offset:         84
        .size:           4
        .value_kind:     by_value
      - .offset:         88
        .size:           4
        .value_kind:     by_value
      - .offset:         92
        .size:           4
        .value_kind:     by_value
      - .offset:         96
        .size:           4
        .value_kind:     hidden_block_count_x
      - .offset:         100
        .size:           4
        .value_kind:     hidden_block_count_y
      - .offset:         104
        .size:           4
        .value_kind:     hidden_block_count_z
      - .offset:         108
        .size:           2
        .value_kind:     hidden_group_size_x
      - .offset:         110
        .size:           2
        .value_kind:     hidden_group_size_y
      - .offset:         112
        .size:           2
        .value_kind:     hidden_group_size_z
      - .offset:         114
        .size:           2
        .value_kind:     hidden_remainder_x
      - .offset:         116
        .size:           2
        .value_kind:     hidden_remainder_y
      - .offset:         118
        .size:           2
        .value_kind:     hidden_remainder_z
      - .offset:         136
        .size:           8
        .value_kind:     hidden_global_offset_x
      - .offset:         144
        .size:           8
        .value_kind:     hidden_global_offset_y
      - .offset:         152
        .size:           8
        .value_kind:     hidden_global_offset_z
      - .offset:         160
        .size:           2
        .value_kind:     hidden_grid_dims
      - .offset:         216
        .size:           4
        .value_kind:     hidden_dynamic_lds_size
    .group_segment_fixed_size: 256
    .kernarg_segment_align: 8
    .kernarg_segment_size: 352
    .language:       OpenCL C
    .language_version:
      - 2
      - 0
    .max_flat_workgroup_size: 512
    .name:           _ZL9mul_mat_fI7__half2Li64ELi14ELi8ELb1EEvPKT_PKfPKiPfiiiiiiiiiiiiiiii
    .private_segment_fixed_size: 0
    .sgpr_count:     106
    .sgpr_spill_count: 28
    .symbol:         _ZL9mul_mat_fI7__half2Li64ELi14ELi8ELb1EEvPKT_PKfPKiPfiiiiiiiiiiiiiiii.kd
    .uniform_work_group_size: 1
    .uses_dynamic_stack: false
    .vgpr_count:     110
    .vgpr_spill_count: 0
    .wavefront_size: 64
  - .agpr_count:     0
    .args:
      - .actual_access:  read_only
        .address_space:  global
        .offset:         0
        .size:           8
        .value_kind:     global_buffer
      - .actual_access:  read_only
        .address_space:  global
        .offset:         8
        .size:           8
        .value_kind:     global_buffer
      - .actual_access:  read_only
        .address_space:  global
        .offset:         16
        .size:           8
        .value_kind:     global_buffer
      - .actual_access:  write_only
        .address_space:  global
        .offset:         24
        .size:           8
        .value_kind:     global_buffer
      - .offset:         32
        .size:           4
        .value_kind:     by_value
      - .offset:         36
        .size:           4
        .value_kind:     by_value
      - .offset:         40
        .size:           4
        .value_kind:     by_value
      - .offset:         44
        .size:           4
        .value_kind:     by_value
      - .offset:         48
        .size:           4
        .value_kind:     by_value
      - .offset:         52
        .size:           4
        .value_kind:     by_value
      - .offset:         56
        .size:           4
        .value_kind:     by_value
      - .offset:         60
        .size:           4
        .value_kind:     by_value
      - .offset:         64
        .size:           4
        .value_kind:     by_value
      - .offset:         68
        .size:           4
        .value_kind:     by_value
      - .offset:         72
        .size:           4
        .value_kind:     by_value
      - .offset:         76
        .size:           4
        .value_kind:     by_value
      - .offset:         80
        .size:           4
        .value_kind:     by_value
      - .offset:         84
        .size:           4
        .value_kind:     by_value
      - .offset:         88
        .size:           4
        .value_kind:     by_value
      - .offset:         92
        .size:           4
        .value_kind:     by_value
    .group_segment_fixed_size: 0
    .kernarg_segment_align: 8
    .kernarg_segment_size: 96
    .language:       OpenCL C
    .language_version:
      - 2
      - 0
    .max_flat_workgroup_size: 512
    .name:           _ZL9mul_mat_fI7__half2Li64ELi14ELi8ELb0EEvPKT_PKfPKiPfiiiiiiiiiiiiiiii
    .private_segment_fixed_size: 0
    .sgpr_count:     104
    .sgpr_spill_count: 0
    .symbol:         _ZL9mul_mat_fI7__half2Li64ELi14ELi8ELb0EEvPKT_PKfPKiPfiiiiiiiiiiiiiiii.kd
    .uniform_work_group_size: 1
    .uses_dynamic_stack: false
    .vgpr_count:     136
    .vgpr_spill_count: 0
    .wavefront_size: 64
  - .agpr_count:     16
    .args:
      - .actual_access:  read_only
        .address_space:  global
        .offset:         0
        .size:           8
        .value_kind:     global_buffer
      - .actual_access:  read_only
        .address_space:  global
        .offset:         8
        .size:           8
        .value_kind:     global_buffer
      - .actual_access:  read_only
        .address_space:  global
        .offset:         16
        .size:           8
        .value_kind:     global_buffer
      - .actual_access:  read_only
        .address_space:  global
        .offset:         24
        .size:           8
        .value_kind:     global_buffer
      - .actual_access:  read_only
        .address_space:  global
        .offset:         32
        .size:           8
        .value_kind:     global_buffer
      - .actual_access:  write_only
        .address_space:  global
        .offset:         40
        .size:           8
        .value_kind:     global_buffer
      - .offset:         48
        .size:           4
        .value_kind:     by_value
      - .offset:         52
        .size:           4
        .value_kind:     by_value
      - .offset:         56
        .size:           4
        .value_kind:     by_value
      - .offset:         60
        .size:           4
        .value_kind:     by_value
      - .offset:         64
        .size:           4
        .value_kind:     by_value
      - .offset:         68
        .size:           4
        .value_kind:     by_value
      - .offset:         72
        .size:           4
        .value_kind:     by_value
      - .offset:         76
        .size:           4
        .value_kind:     by_value
      - .offset:         80
        .size:           4
        .value_kind:     by_value
      - .offset:         84
        .size:           4
        .value_kind:     by_value
      - .offset:         88
        .size:           4
        .value_kind:     by_value
      - .offset:         92
        .size:           4
        .value_kind:     by_value
      - .offset:         96
        .size:           4
        .value_kind:     by_value
      - .offset:         100
        .size:           4
        .value_kind:     by_value
      - .offset:         104
        .size:           12
        .value_kind:     by_value
      - .offset:         116
        .size:           12
        .value_kind:     by_value
    .group_segment_fixed_size: 0
    .kernarg_segment_align: 8
    .kernarg_segment_size: 128
    .language:       OpenCL C
    .language_version:
      - 2
      - 0
    .max_flat_workgroup_size: 64
    .name:           _ZL13mul_mat_f_idsI15__hip_bfloat162Li64ELi14ELi1EEvPKT_PKfPKiS7_S7_Pfiiiiiiiiiiiiii15HIP_vector_typeIjLj3EESA_
    .private_segment_fixed_size: 0
    .sgpr_count:     106
    .sgpr_spill_count: 32
    .symbol:         _ZL13mul_mat_f_idsI15__hip_bfloat162Li64ELi14ELi1EEvPKT_PKfPKiS7_S7_Pfiiiiiiiiiiiiii15HIP_vector_typeIjLj3EESA_.kd
    .uniform_work_group_size: 1
    .uses_dynamic_stack: false
    .vgpr_count:     136
    .vgpr_spill_count: 0
    .wavefront_size: 64
  - .agpr_count:     24
    .args:
      - .actual_access:  read_only
        .address_space:  global
        .offset:         0
        .size:           8
        .value_kind:     global_buffer
      - .actual_access:  read_only
        .address_space:  global
        .offset:         8
        .size:           8
        .value_kind:     global_buffer
      - .actual_access:  read_only
        .address_space:  global
        .offset:         16
        .size:           8
        .value_kind:     global_buffer
      - .actual_access:  write_only
        .address_space:  global
        .offset:         24
        .size:           8
        .value_kind:     global_buffer
      - .offset:         32
        .size:           4
        .value_kind:     by_value
      - .offset:         36
        .size:           4
        .value_kind:     by_value
      - .offset:         40
        .size:           4
        .value_kind:     by_value
      - .offset:         44
        .size:           4
        .value_kind:     by_value
      - .offset:         48
        .size:           4
        .value_kind:     by_value
      - .offset:         52
        .size:           4
        .value_kind:     by_value
      - .offset:         56
        .size:           4
        .value_kind:     by_value
      - .offset:         60
        .size:           4
        .value_kind:     by_value
      - .offset:         64
        .size:           4
        .value_kind:     by_value
      - .offset:         68
        .size:           4
        .value_kind:     by_value
      - .offset:         72
        .size:           4
        .value_kind:     by_value
      - .offset:         76
        .size:           4
        .value_kind:     by_value
      - .offset:         80
        .size:           4
        .value_kind:     by_value
      - .offset:         84
        .size:           4
        .value_kind:     by_value
      - .offset:         88
        .size:           4
        .value_kind:     by_value
      - .offset:         92
        .size:           4
        .value_kind:     by_value
      - .offset:         96
        .size:           4
        .value_kind:     hidden_block_count_x
      - .offset:         100
        .size:           4
        .value_kind:     hidden_block_count_y
      - .offset:         104
        .size:           4
        .value_kind:     hidden_block_count_z
      - .offset:         108
        .size:           2
        .value_kind:     hidden_group_size_x
      - .offset:         110
        .size:           2
        .value_kind:     hidden_group_size_y
      - .offset:         112
        .size:           2
        .value_kind:     hidden_group_size_z
      - .offset:         114
        .size:           2
        .value_kind:     hidden_remainder_x
      - .offset:         116
        .size:           2
        .value_kind:     hidden_remainder_y
      - .offset:         118
        .size:           2
        .value_kind:     hidden_remainder_z
      - .offset:         136
        .size:           8
        .value_kind:     hidden_global_offset_x
      - .offset:         144
        .size:           8
        .value_kind:     hidden_global_offset_y
      - .offset:         152
        .size:           8
        .value_kind:     hidden_global_offset_z
      - .offset:         160
        .size:           2
        .value_kind:     hidden_grid_dims
      - .offset:         216
        .size:           4
        .value_kind:     hidden_dynamic_lds_size
    .group_segment_fixed_size: 256
    .kernarg_segment_align: 8
    .kernarg_segment_size: 352
    .language:       OpenCL C
    .language_version:
      - 2
      - 0
    .max_flat_workgroup_size: 64
    .name:           _ZL9mul_mat_fI15__hip_bfloat162Li64ELi14ELi1ELb1EEvPKT_PKfPKiPfiiiiiiiiiiiiiiii
    .private_segment_fixed_size: 0
    .sgpr_count:     106
    .sgpr_spill_count: 57
    .symbol:         _ZL9mul_mat_fI15__hip_bfloat162Li64ELi14ELi1ELb1EEvPKT_PKfPKiPfiiiiiiiiiiiiiiii.kd
    .uniform_work_group_size: 1
    .uses_dynamic_stack: false
    .vgpr_count:     144
    .vgpr_spill_count: 0
    .wavefront_size: 64
  - .agpr_count:     24
    .args:
      - .actual_access:  read_only
        .address_space:  global
        .offset:         0
        .size:           8
        .value_kind:     global_buffer
      - .actual_access:  read_only
        .address_space:  global
        .offset:         8
        .size:           8
        .value_kind:     global_buffer
      - .actual_access:  read_only
        .address_space:  global
        .offset:         16
        .size:           8
        .value_kind:     global_buffer
      - .actual_access:  write_only
        .address_space:  global
        .offset:         24
        .size:           8
        .value_kind:     global_buffer
      - .offset:         32
        .size:           4
        .value_kind:     by_value
      - .offset:         36
        .size:           4
        .value_kind:     by_value
      - .offset:         40
        .size:           4
        .value_kind:     by_value
      - .offset:         44
        .size:           4
        .value_kind:     by_value
      - .offset:         48
        .size:           4
        .value_kind:     by_value
      - .offset:         52
        .size:           4
        .value_kind:     by_value
      - .offset:         56
        .size:           4
        .value_kind:     by_value
      - .offset:         60
        .size:           4
        .value_kind:     by_value
      - .offset:         64
        .size:           4
        .value_kind:     by_value
      - .offset:         68
        .size:           4
        .value_kind:     by_value
      - .offset:         72
        .size:           4
        .value_kind:     by_value
      - .offset:         76
        .size:           4
        .value_kind:     by_value
      - .offset:         80
        .size:           4
        .value_kind:     by_value
      - .offset:         84
        .size:           4
        .value_kind:     by_value
      - .offset:         88
        .size:           4
        .value_kind:     by_value
      - .offset:         92
        .size:           4
        .value_kind:     by_value
    .group_segment_fixed_size: 0
    .kernarg_segment_align: 8
    .kernarg_segment_size: 96
    .language:       OpenCL C
    .language_version:
      - 2
      - 0
    .max_flat_workgroup_size: 64
    .name:           _ZL9mul_mat_fI15__hip_bfloat162Li64ELi14ELi1ELb0EEvPKT_PKfPKiPfiiiiiiiiiiiiiiii
    .private_segment_fixed_size: 0
    .sgpr_count:     106
    .sgpr_spill_count: 3
    .symbol:         _ZL9mul_mat_fI15__hip_bfloat162Li64ELi14ELi1ELb0EEvPKT_PKfPKiPfiiiiiiiiiiiiiiii.kd
    .uniform_work_group_size: 1
    .uses_dynamic_stack: false
    .vgpr_count:     132
    .vgpr_spill_count: 0
    .wavefront_size: 64
  - .agpr_count:     16
    .args:
      - .actual_access:  read_only
        .address_space:  global
        .offset:         0
        .size:           8
        .value_kind:     global_buffer
      - .actual_access:  read_only
        .address_space:  global
        .offset:         8
        .size:           8
        .value_kind:     global_buffer
      - .actual_access:  read_only
        .address_space:  global
        .offset:         16
        .size:           8
        .value_kind:     global_buffer
      - .actual_access:  read_only
        .address_space:  global
        .offset:         24
        .size:           8
        .value_kind:     global_buffer
      - .actual_access:  read_only
        .address_space:  global
        .offset:         32
        .size:           8
        .value_kind:     global_buffer
      - .actual_access:  write_only
        .address_space:  global
        .offset:         40
        .size:           8
        .value_kind:     global_buffer
      - .offset:         48
        .size:           4
        .value_kind:     by_value
      - .offset:         52
        .size:           4
        .value_kind:     by_value
      - .offset:         56
        .size:           4
        .value_kind:     by_value
      - .offset:         60
        .size:           4
        .value_kind:     by_value
      - .offset:         64
        .size:           4
        .value_kind:     by_value
      - .offset:         68
        .size:           4
        .value_kind:     by_value
      - .offset:         72
        .size:           4
        .value_kind:     by_value
      - .offset:         76
        .size:           4
        .value_kind:     by_value
      - .offset:         80
        .size:           4
        .value_kind:     by_value
      - .offset:         84
        .size:           4
        .value_kind:     by_value
      - .offset:         88
        .size:           4
        .value_kind:     by_value
      - .offset:         92
        .size:           4
        .value_kind:     by_value
      - .offset:         96
        .size:           4
        .value_kind:     by_value
      - .offset:         100
        .size:           4
        .value_kind:     by_value
      - .offset:         104
        .size:           12
        .value_kind:     by_value
      - .offset:         116
        .size:           12
        .value_kind:     by_value
    .group_segment_fixed_size: 0
    .kernarg_segment_align: 8
    .kernarg_segment_size: 128
    .language:       OpenCL C
    .language_version:
      - 2
      - 0
    .max_flat_workgroup_size: 128
    .name:           _ZL13mul_mat_f_idsI15__hip_bfloat162Li64ELi14ELi2EEvPKT_PKfPKiS7_S7_Pfiiiiiiiiiiiiii15HIP_vector_typeIjLj3EESA_
    .private_segment_fixed_size: 0
    .sgpr_count:     106
    .sgpr_spill_count: 32
    .symbol:         _ZL13mul_mat_f_idsI15__hip_bfloat162Li64ELi14ELi2EEvPKT_PKfPKiS7_S7_Pfiiiiiiiiiiiiii15HIP_vector_typeIjLj3EESA_.kd
    .uniform_work_group_size: 1
    .uses_dynamic_stack: false
    .vgpr_count:     136
    .vgpr_spill_count: 0
    .wavefront_size: 64
  - .agpr_count:     24
    .args:
      - .actual_access:  read_only
        .address_space:  global
        .offset:         0
        .size:           8
        .value_kind:     global_buffer
      - .actual_access:  read_only
        .address_space:  global
        .offset:         8
        .size:           8
        .value_kind:     global_buffer
      - .actual_access:  read_only
        .address_space:  global
        .offset:         16
        .size:           8
        .value_kind:     global_buffer
      - .actual_access:  write_only
        .address_space:  global
        .offset:         24
        .size:           8
        .value_kind:     global_buffer
      - .offset:         32
        .size:           4
        .value_kind:     by_value
      - .offset:         36
        .size:           4
        .value_kind:     by_value
      - .offset:         40
        .size:           4
        .value_kind:     by_value
      - .offset:         44
        .size:           4
        .value_kind:     by_value
      - .offset:         48
        .size:           4
        .value_kind:     by_value
      - .offset:         52
        .size:           4
        .value_kind:     by_value
      - .offset:         56
        .size:           4
        .value_kind:     by_value
      - .offset:         60
        .size:           4
        .value_kind:     by_value
      - .offset:         64
        .size:           4
        .value_kind:     by_value
      - .offset:         68
        .size:           4
        .value_kind:     by_value
      - .offset:         72
        .size:           4
        .value_kind:     by_value
      - .offset:         76
        .size:           4
        .value_kind:     by_value
      - .offset:         80
        .size:           4
        .value_kind:     by_value
      - .offset:         84
        .size:           4
        .value_kind:     by_value
      - .offset:         88
        .size:           4
        .value_kind:     by_value
      - .offset:         92
        .size:           4
        .value_kind:     by_value
      - .offset:         96
        .size:           4
        .value_kind:     hidden_block_count_x
      - .offset:         100
        .size:           4
        .value_kind:     hidden_block_count_y
      - .offset:         104
        .size:           4
        .value_kind:     hidden_block_count_z
      - .offset:         108
        .size:           2
        .value_kind:     hidden_group_size_x
      - .offset:         110
        .size:           2
        .value_kind:     hidden_group_size_y
      - .offset:         112
        .size:           2
        .value_kind:     hidden_group_size_z
      - .offset:         114
        .size:           2
        .value_kind:     hidden_remainder_x
      - .offset:         116
        .size:           2
        .value_kind:     hidden_remainder_y
      - .offset:         118
        .size:           2
        .value_kind:     hidden_remainder_z
      - .offset:         136
        .size:           8
        .value_kind:     hidden_global_offset_x
      - .offset:         144
        .size:           8
        .value_kind:     hidden_global_offset_y
      - .offset:         152
        .size:           8
        .value_kind:     hidden_global_offset_z
      - .offset:         160
        .size:           2
        .value_kind:     hidden_grid_dims
      - .offset:         216
        .size:           4
        .value_kind:     hidden_dynamic_lds_size
    .group_segment_fixed_size: 256
    .kernarg_segment_align: 8
    .kernarg_segment_size: 352
    .language:       OpenCL C
    .language_version:
      - 2
      - 0
    .max_flat_workgroup_size: 128
    .name:           _ZL9mul_mat_fI15__hip_bfloat162Li64ELi14ELi2ELb1EEvPKT_PKfPKiPfiiiiiiiiiiiiiiii
    .private_segment_fixed_size: 0
    .sgpr_count:     106
    .sgpr_spill_count: 43
    .symbol:         _ZL9mul_mat_fI15__hip_bfloat162Li64ELi14ELi2ELb1EEvPKT_PKfPKiPfiiiiiiiiiiiiiiii.kd
    .uniform_work_group_size: 1
    .uses_dynamic_stack: false
    .vgpr_count:     136
    .vgpr_spill_count: 0
    .wavefront_size: 64
  - .agpr_count:     24
    .args:
      - .actual_access:  read_only
        .address_space:  global
        .offset:         0
        .size:           8
        .value_kind:     global_buffer
      - .actual_access:  read_only
        .address_space:  global
        .offset:         8
        .size:           8
        .value_kind:     global_buffer
      - .actual_access:  read_only
        .address_space:  global
        .offset:         16
        .size:           8
        .value_kind:     global_buffer
      - .actual_access:  write_only
        .address_space:  global
        .offset:         24
        .size:           8
        .value_kind:     global_buffer
      - .offset:         32
        .size:           4
        .value_kind:     by_value
      - .offset:         36
        .size:           4
        .value_kind:     by_value
      - .offset:         40
        .size:           4
        .value_kind:     by_value
      - .offset:         44
        .size:           4
        .value_kind:     by_value
      - .offset:         48
        .size:           4
        .value_kind:     by_value
      - .offset:         52
        .size:           4
        .value_kind:     by_value
      - .offset:         56
        .size:           4
        .value_kind:     by_value
      - .offset:         60
        .size:           4
        .value_kind:     by_value
      - .offset:         64
        .size:           4
        .value_kind:     by_value
      - .offset:         68
        .size:           4
        .value_kind:     by_value
      - .offset:         72
        .size:           4
        .value_kind:     by_value
      - .offset:         76
        .size:           4
        .value_kind:     by_value
      - .offset:         80
        .size:           4
        .value_kind:     by_value
      - .offset:         84
        .size:           4
        .value_kind:     by_value
      - .offset:         88
        .size:           4
        .value_kind:     by_value
      - .offset:         92
        .size:           4
        .value_kind:     by_value
    .group_segment_fixed_size: 0
    .kernarg_segment_align: 8
    .kernarg_segment_size: 96
    .language:       OpenCL C
    .language_version:
      - 2
      - 0
    .max_flat_workgroup_size: 128
    .name:           _ZL9mul_mat_fI15__hip_bfloat162Li64ELi14ELi2ELb0EEvPKT_PKfPKiPfiiiiiiiiiiiiiiii
    .private_segment_fixed_size: 0
    .sgpr_count:     106
    .sgpr_spill_count: 3
    .symbol:         _ZL9mul_mat_fI15__hip_bfloat162Li64ELi14ELi2ELb0EEvPKT_PKfPKiPfiiiiiiiiiiiiiiii.kd
    .uniform_work_group_size: 1
    .uses_dynamic_stack: false
    .vgpr_count:     132
    .vgpr_spill_count: 0
    .wavefront_size: 64
  - .agpr_count:     16
    .args:
      - .actual_access:  read_only
        .address_space:  global
        .offset:         0
        .size:           8
        .value_kind:     global_buffer
      - .actual_access:  read_only
        .address_space:  global
        .offset:         8
        .size:           8
        .value_kind:     global_buffer
      - .actual_access:  read_only
        .address_space:  global
        .offset:         16
        .size:           8
        .value_kind:     global_buffer
      - .actual_access:  read_only
        .address_space:  global
        .offset:         24
        .size:           8
        .value_kind:     global_buffer
      - .actual_access:  read_only
        .address_space:  global
        .offset:         32
        .size:           8
        .value_kind:     global_buffer
      - .actual_access:  write_only
        .address_space:  global
        .offset:         40
        .size:           8
        .value_kind:     global_buffer
      - .offset:         48
        .size:           4
        .value_kind:     by_value
      - .offset:         52
        .size:           4
        .value_kind:     by_value
      - .offset:         56
        .size:           4
        .value_kind:     by_value
      - .offset:         60
        .size:           4
        .value_kind:     by_value
      - .offset:         64
        .size:           4
        .value_kind:     by_value
      - .offset:         68
        .size:           4
        .value_kind:     by_value
      - .offset:         72
        .size:           4
        .value_kind:     by_value
      - .offset:         76
        .size:           4
        .value_kind:     by_value
      - .offset:         80
        .size:           4
        .value_kind:     by_value
      - .offset:         84
        .size:           4
        .value_kind:     by_value
      - .offset:         88
        .size:           4
        .value_kind:     by_value
      - .offset:         92
        .size:           4
        .value_kind:     by_value
      - .offset:         96
        .size:           4
        .value_kind:     by_value
      - .offset:         100
        .size:           4
        .value_kind:     by_value
      - .offset:         104
        .size:           12
        .value_kind:     by_value
      - .offset:         116
        .size:           12
        .value_kind:     by_value
    .group_segment_fixed_size: 0
    .kernarg_segment_align: 8
    .kernarg_segment_size: 128
    .language:       OpenCL C
    .language_version:
      - 2
      - 0
    .max_flat_workgroup_size: 192
    .name:           _ZL13mul_mat_f_idsI15__hip_bfloat162Li64ELi14ELi3EEvPKT_PKfPKiS7_S7_Pfiiiiiiiiiiiiii15HIP_vector_typeIjLj3EESA_
    .private_segment_fixed_size: 0
    .sgpr_count:     106
    .sgpr_spill_count: 32
    .symbol:         _ZL13mul_mat_f_idsI15__hip_bfloat162Li64ELi14ELi3EEvPKT_PKfPKiS7_S7_Pfiiiiiiiiiiiiii15HIP_vector_typeIjLj3EESA_.kd
    .uniform_work_group_size: 1
    .uses_dynamic_stack: false
    .vgpr_count:     136
    .vgpr_spill_count: 0
    .wavefront_size: 64
  - .agpr_count:     24
    .args:
      - .actual_access:  read_only
        .address_space:  global
        .offset:         0
        .size:           8
        .value_kind:     global_buffer
      - .actual_access:  read_only
        .address_space:  global
        .offset:         8
        .size:           8
        .value_kind:     global_buffer
      - .actual_access:  read_only
        .address_space:  global
        .offset:         16
        .size:           8
        .value_kind:     global_buffer
      - .actual_access:  write_only
        .address_space:  global
        .offset:         24
        .size:           8
        .value_kind:     global_buffer
      - .offset:         32
        .size:           4
        .value_kind:     by_value
      - .offset:         36
        .size:           4
        .value_kind:     by_value
      - .offset:         40
        .size:           4
        .value_kind:     by_value
      - .offset:         44
        .size:           4
        .value_kind:     by_value
      - .offset:         48
        .size:           4
        .value_kind:     by_value
      - .offset:         52
        .size:           4
        .value_kind:     by_value
      - .offset:         56
        .size:           4
        .value_kind:     by_value
      - .offset:         60
        .size:           4
        .value_kind:     by_value
      - .offset:         64
        .size:           4
        .value_kind:     by_value
      - .offset:         68
        .size:           4
        .value_kind:     by_value
      - .offset:         72
        .size:           4
        .value_kind:     by_value
      - .offset:         76
        .size:           4
        .value_kind:     by_value
      - .offset:         80
        .size:           4
        .value_kind:     by_value
      - .offset:         84
        .size:           4
        .value_kind:     by_value
      - .offset:         88
        .size:           4
        .value_kind:     by_value
      - .offset:         92
        .size:           4
        .value_kind:     by_value
      - .offset:         96
        .size:           4
        .value_kind:     hidden_block_count_x
      - .offset:         100
        .size:           4
        .value_kind:     hidden_block_count_y
      - .offset:         104
        .size:           4
        .value_kind:     hidden_block_count_z
      - .offset:         108
        .size:           2
        .value_kind:     hidden_group_size_x
      - .offset:         110
        .size:           2
        .value_kind:     hidden_group_size_y
      - .offset:         112
        .size:           2
        .value_kind:     hidden_group_size_z
      - .offset:         114
        .size:           2
        .value_kind:     hidden_remainder_x
      - .offset:         116
        .size:           2
        .value_kind:     hidden_remainder_y
      - .offset:         118
        .size:           2
        .value_kind:     hidden_remainder_z
      - .offset:         136
        .size:           8
        .value_kind:     hidden_global_offset_x
      - .offset:         144
        .size:           8
        .value_kind:     hidden_global_offset_y
      - .offset:         152
        .size:           8
        .value_kind:     hidden_global_offset_z
      - .offset:         160
        .size:           2
        .value_kind:     hidden_grid_dims
      - .offset:         216
        .size:           4
        .value_kind:     hidden_dynamic_lds_size
    .group_segment_fixed_size: 256
    .kernarg_segment_align: 8
    .kernarg_segment_size: 352
    .language:       OpenCL C
    .language_version:
      - 2
      - 0
    .max_flat_workgroup_size: 192
    .name:           _ZL9mul_mat_fI15__hip_bfloat162Li64ELi14ELi3ELb1EEvPKT_PKfPKiPfiiiiiiiiiiiiiiii
    .private_segment_fixed_size: 0
    .sgpr_count:     106
    .sgpr_spill_count: 39
    .symbol:         _ZL9mul_mat_fI15__hip_bfloat162Li64ELi14ELi3ELb1EEvPKT_PKfPKiPfiiiiiiiiiiiiiiii.kd
    .uniform_work_group_size: 1
    .uses_dynamic_stack: false
    .vgpr_count:     136
    .vgpr_spill_count: 0
    .wavefront_size: 64
  - .agpr_count:     24
    .args:
      - .actual_access:  read_only
        .address_space:  global
        .offset:         0
        .size:           8
        .value_kind:     global_buffer
      - .actual_access:  read_only
        .address_space:  global
        .offset:         8
        .size:           8
        .value_kind:     global_buffer
      - .actual_access:  read_only
        .address_space:  global
        .offset:         16
        .size:           8
        .value_kind:     global_buffer
      - .actual_access:  write_only
        .address_space:  global
        .offset:         24
        .size:           8
        .value_kind:     global_buffer
      - .offset:         32
        .size:           4
        .value_kind:     by_value
      - .offset:         36
        .size:           4
        .value_kind:     by_value
      - .offset:         40
        .size:           4
        .value_kind:     by_value
      - .offset:         44
        .size:           4
        .value_kind:     by_value
      - .offset:         48
        .size:           4
        .value_kind:     by_value
      - .offset:         52
        .size:           4
        .value_kind:     by_value
      - .offset:         56
        .size:           4
        .value_kind:     by_value
      - .offset:         60
        .size:           4
        .value_kind:     by_value
      - .offset:         64
        .size:           4
        .value_kind:     by_value
      - .offset:         68
        .size:           4
        .value_kind:     by_value
      - .offset:         72
        .size:           4
        .value_kind:     by_value
      - .offset:         76
        .size:           4
        .value_kind:     by_value
      - .offset:         80
        .size:           4
        .value_kind:     by_value
      - .offset:         84
        .size:           4
        .value_kind:     by_value
      - .offset:         88
        .size:           4
        .value_kind:     by_value
      - .offset:         92
        .size:           4
        .value_kind:     by_value
    .group_segment_fixed_size: 0
    .kernarg_segment_align: 8
    .kernarg_segment_size: 96
    .language:       OpenCL C
    .language_version:
      - 2
      - 0
    .max_flat_workgroup_size: 192
    .name:           _ZL9mul_mat_fI15__hip_bfloat162Li64ELi14ELi3ELb0EEvPKT_PKfPKiPfiiiiiiiiiiiiiiii
    .private_segment_fixed_size: 0
    .sgpr_count:     106
    .sgpr_spill_count: 3
    .symbol:         _ZL9mul_mat_fI15__hip_bfloat162Li64ELi14ELi3ELb0EEvPKT_PKfPKiPfiiiiiiiiiiiiiiii.kd
    .uniform_work_group_size: 1
    .uses_dynamic_stack: false
    .vgpr_count:     128
    .vgpr_spill_count: 0
    .wavefront_size: 64
  - .agpr_count:     16
    .args:
      - .actual_access:  read_only
        .address_space:  global
        .offset:         0
        .size:           8
        .value_kind:     global_buffer
      - .actual_access:  read_only
        .address_space:  global
        .offset:         8
        .size:           8
        .value_kind:     global_buffer
      - .actual_access:  read_only
        .address_space:  global
        .offset:         16
        .size:           8
        .value_kind:     global_buffer
      - .actual_access:  read_only
        .address_space:  global
        .offset:         24
        .size:           8
        .value_kind:     global_buffer
      - .actual_access:  read_only
        .address_space:  global
        .offset:         32
        .size:           8
        .value_kind:     global_buffer
      - .actual_access:  write_only
        .address_space:  global
        .offset:         40
        .size:           8
        .value_kind:     global_buffer
      - .offset:         48
        .size:           4
        .value_kind:     by_value
      - .offset:         52
        .size:           4
        .value_kind:     by_value
      - .offset:         56
        .size:           4
        .value_kind:     by_value
      - .offset:         60
        .size:           4
        .value_kind:     by_value
      - .offset:         64
        .size:           4
        .value_kind:     by_value
      - .offset:         68
        .size:           4
        .value_kind:     by_value
      - .offset:         72
        .size:           4
        .value_kind:     by_value
      - .offset:         76
        .size:           4
        .value_kind:     by_value
      - .offset:         80
        .size:           4
        .value_kind:     by_value
      - .offset:         84
        .size:           4
        .value_kind:     by_value
      - .offset:         88
        .size:           4
        .value_kind:     by_value
      - .offset:         92
        .size:           4
        .value_kind:     by_value
      - .offset:         96
        .size:           4
        .value_kind:     by_value
      - .offset:         100
        .size:           4
        .value_kind:     by_value
      - .offset:         104
        .size:           12
        .value_kind:     by_value
      - .offset:         116
        .size:           12
        .value_kind:     by_value
    .group_segment_fixed_size: 0
    .kernarg_segment_align: 8
    .kernarg_segment_size: 128
    .language:       OpenCL C
    .language_version:
      - 2
      - 0
    .max_flat_workgroup_size: 256
    .name:           _ZL13mul_mat_f_idsI15__hip_bfloat162Li64ELi14ELi4EEvPKT_PKfPKiS7_S7_Pfiiiiiiiiiiiiii15HIP_vector_typeIjLj3EESA_
    .private_segment_fixed_size: 0
    .sgpr_count:     106
    .sgpr_spill_count: 32
    .symbol:         _ZL13mul_mat_f_idsI15__hip_bfloat162Li64ELi14ELi4EEvPKT_PKfPKiS7_S7_Pfiiiiiiiiiiiiii15HIP_vector_typeIjLj3EESA_.kd
    .uniform_work_group_size: 1
    .uses_dynamic_stack: false
    .vgpr_count:     136
    .vgpr_spill_count: 0
    .wavefront_size: 64
  - .agpr_count:     24
    .args:
      - .actual_access:  read_only
        .address_space:  global
        .offset:         0
        .size:           8
        .value_kind:     global_buffer
      - .actual_access:  read_only
        .address_space:  global
        .offset:         8
        .size:           8
        .value_kind:     global_buffer
      - .actual_access:  read_only
        .address_space:  global
        .offset:         16
        .size:           8
        .value_kind:     global_buffer
      - .actual_access:  write_only
        .address_space:  global
        .offset:         24
        .size:           8
        .value_kind:     global_buffer
      - .offset:         32
        .size:           4
        .value_kind:     by_value
      - .offset:         36
        .size:           4
        .value_kind:     by_value
      - .offset:         40
        .size:           4
        .value_kind:     by_value
      - .offset:         44
        .size:           4
        .value_kind:     by_value
      - .offset:         48
        .size:           4
        .value_kind:     by_value
      - .offset:         52
        .size:           4
        .value_kind:     by_value
      - .offset:         56
        .size:           4
        .value_kind:     by_value
      - .offset:         60
        .size:           4
        .value_kind:     by_value
      - .offset:         64
        .size:           4
        .value_kind:     by_value
      - .offset:         68
        .size:           4
        .value_kind:     by_value
      - .offset:         72
        .size:           4
        .value_kind:     by_value
      - .offset:         76
        .size:           4
        .value_kind:     by_value
      - .offset:         80
        .size:           4
        .value_kind:     by_value
      - .offset:         84
        .size:           4
        .value_kind:     by_value
      - .offset:         88
        .size:           4
        .value_kind:     by_value
      - .offset:         92
        .size:           4
        .value_kind:     by_value
      - .offset:         96
        .size:           4
        .value_kind:     hidden_block_count_x
      - .offset:         100
        .size:           4
        .value_kind:     hidden_block_count_y
      - .offset:         104
        .size:           4
        .value_kind:     hidden_block_count_z
      - .offset:         108
        .size:           2
        .value_kind:     hidden_group_size_x
      - .offset:         110
        .size:           2
        .value_kind:     hidden_group_size_y
      - .offset:         112
        .size:           2
        .value_kind:     hidden_group_size_z
      - .offset:         114
        .size:           2
        .value_kind:     hidden_remainder_x
      - .offset:         116
        .size:           2
        .value_kind:     hidden_remainder_y
      - .offset:         118
        .size:           2
        .value_kind:     hidden_remainder_z
      - .offset:         136
        .size:           8
        .value_kind:     hidden_global_offset_x
      - .offset:         144
        .size:           8
        .value_kind:     hidden_global_offset_y
      - .offset:         152
        .size:           8
        .value_kind:     hidden_global_offset_z
      - .offset:         160
        .size:           2
        .value_kind:     hidden_grid_dims
      - .offset:         216
        .size:           4
        .value_kind:     hidden_dynamic_lds_size
    .group_segment_fixed_size: 256
    .kernarg_segment_align: 8
    .kernarg_segment_size: 352
    .language:       OpenCL C
    .language_version:
      - 2
      - 0
    .max_flat_workgroup_size: 256
    .name:           _ZL9mul_mat_fI15__hip_bfloat162Li64ELi14ELi4ELb1EEvPKT_PKfPKiPfiiiiiiiiiiiiiiii
    .private_segment_fixed_size: 0
    .sgpr_count:     106
    .sgpr_spill_count: 37
    .symbol:         _ZL9mul_mat_fI15__hip_bfloat162Li64ELi14ELi4ELb1EEvPKT_PKfPKiPfiiiiiiiiiiiiiiii.kd
    .uniform_work_group_size: 1
    .uses_dynamic_stack: false
    .vgpr_count:     132
    .vgpr_spill_count: 0
    .wavefront_size: 64
  - .agpr_count:     24
    .args:
      - .actual_access:  read_only
        .address_space:  global
        .offset:         0
        .size:           8
        .value_kind:     global_buffer
      - .actual_access:  read_only
        .address_space:  global
        .offset:         8
        .size:           8
        .value_kind:     global_buffer
      - .actual_access:  read_only
        .address_space:  global
        .offset:         16
        .size:           8
        .value_kind:     global_buffer
      - .actual_access:  write_only
        .address_space:  global
        .offset:         24
        .size:           8
        .value_kind:     global_buffer
      - .offset:         32
        .size:           4
        .value_kind:     by_value
      - .offset:         36
        .size:           4
        .value_kind:     by_value
      - .offset:         40
        .size:           4
        .value_kind:     by_value
      - .offset:         44
        .size:           4
        .value_kind:     by_value
      - .offset:         48
        .size:           4
        .value_kind:     by_value
      - .offset:         52
        .size:           4
        .value_kind:     by_value
      - .offset:         56
        .size:           4
        .value_kind:     by_value
      - .offset:         60
        .size:           4
        .value_kind:     by_value
      - .offset:         64
        .size:           4
        .value_kind:     by_value
      - .offset:         68
        .size:           4
        .value_kind:     by_value
      - .offset:         72
        .size:           4
        .value_kind:     by_value
      - .offset:         76
        .size:           4
        .value_kind:     by_value
      - .offset:         80
        .size:           4
        .value_kind:     by_value
      - .offset:         84
        .size:           4
        .value_kind:     by_value
      - .offset:         88
        .size:           4
        .value_kind:     by_value
      - .offset:         92
        .size:           4
        .value_kind:     by_value
    .group_segment_fixed_size: 0
    .kernarg_segment_align: 8
    .kernarg_segment_size: 96
    .language:       OpenCL C
    .language_version:
      - 2
      - 0
    .max_flat_workgroup_size: 256
    .name:           _ZL9mul_mat_fI15__hip_bfloat162Li64ELi14ELi4ELb0EEvPKT_PKfPKiPfiiiiiiiiiiiiiiii
    .private_segment_fixed_size: 0
    .sgpr_count:     106
    .sgpr_spill_count: 3
    .symbol:         _ZL9mul_mat_fI15__hip_bfloat162Li64ELi14ELi4ELb0EEvPKT_PKfPKiPfiiiiiiiiiiiiiiii.kd
    .uniform_work_group_size: 1
    .uses_dynamic_stack: false
    .vgpr_count:     128
    .vgpr_spill_count: 0
    .wavefront_size: 64
  - .agpr_count:     0
    .args:
      - .actual_access:  read_only
        .address_space:  global
        .offset:         0
        .size:           8
        .value_kind:     global_buffer
      - .actual_access:  read_only
        .address_space:  global
        .offset:         8
        .size:           8
        .value_kind:     global_buffer
      - .actual_access:  read_only
        .address_space:  global
        .offset:         16
        .size:           8
        .value_kind:     global_buffer
      - .actual_access:  read_only
        .address_space:  global
        .offset:         24
        .size:           8
        .value_kind:     global_buffer
      - .actual_access:  read_only
        .address_space:  global
        .offset:         32
        .size:           8
        .value_kind:     global_buffer
      - .actual_access:  write_only
        .address_space:  global
        .offset:         40
        .size:           8
        .value_kind:     global_buffer
      - .offset:         48
        .size:           4
        .value_kind:     by_value
      - .offset:         52
        .size:           4
        .value_kind:     by_value
      - .offset:         56
        .size:           4
        .value_kind:     by_value
      - .offset:         60
        .size:           4
        .value_kind:     by_value
      - .offset:         64
        .size:           4
        .value_kind:     by_value
      - .offset:         68
        .size:           4
        .value_kind:     by_value
      - .offset:         72
        .size:           4
        .value_kind:     by_value
      - .offset:         76
        .size:           4
        .value_kind:     by_value
      - .offset:         80
        .size:           4
        .value_kind:     by_value
      - .offset:         84
        .size:           4
        .value_kind:     by_value
      - .offset:         88
        .size:           4
        .value_kind:     by_value
      - .offset:         92
        .size:           4
        .value_kind:     by_value
      - .offset:         96
        .size:           4
        .value_kind:     by_value
      - .offset:         100
        .size:           4
        .value_kind:     by_value
      - .offset:         104
        .size:           12
        .value_kind:     by_value
      - .offset:         116
        .size:           12
        .value_kind:     by_value
    .group_segment_fixed_size: 0
    .kernarg_segment_align: 8
    .kernarg_segment_size: 128
    .language:       OpenCL C
    .language_version:
      - 2
      - 0
    .max_flat_workgroup_size: 320
    .name:           _ZL13mul_mat_f_idsI15__hip_bfloat162Li64ELi14ELi5EEvPKT_PKfPKiS7_S7_Pfiiiiiiiiiiiiii15HIP_vector_typeIjLj3EESA_
    .private_segment_fixed_size: 0
    .sgpr_count:     106
    .sgpr_spill_count: 32
    .symbol:         _ZL13mul_mat_f_idsI15__hip_bfloat162Li64ELi14ELi5EEvPKT_PKfPKiS7_S7_Pfiiiiiiiiiiiiii15HIP_vector_typeIjLj3EESA_.kd
    .uniform_work_group_size: 1
    .uses_dynamic_stack: false
    .vgpr_count:     120
    .vgpr_spill_count: 0
    .wavefront_size: 64
  - .agpr_count:     0
    .args:
      - .actual_access:  read_only
        .address_space:  global
        .offset:         0
        .size:           8
        .value_kind:     global_buffer
      - .actual_access:  read_only
        .address_space:  global
        .offset:         8
        .size:           8
        .value_kind:     global_buffer
      - .actual_access:  read_only
        .address_space:  global
        .offset:         16
        .size:           8
        .value_kind:     global_buffer
      - .actual_access:  write_only
        .address_space:  global
        .offset:         24
        .size:           8
        .value_kind:     global_buffer
      - .offset:         32
        .size:           4
        .value_kind:     by_value
      - .offset:         36
        .size:           4
        .value_kind:     by_value
      - .offset:         40
        .size:           4
        .value_kind:     by_value
      - .offset:         44
        .size:           4
        .value_kind:     by_value
      - .offset:         48
        .size:           4
        .value_kind:     by_value
      - .offset:         52
        .size:           4
        .value_kind:     by_value
      - .offset:         56
        .size:           4
        .value_kind:     by_value
      - .offset:         60
        .size:           4
        .value_kind:     by_value
      - .offset:         64
        .size:           4
        .value_kind:     by_value
      - .offset:         68
        .size:           4
        .value_kind:     by_value
      - .offset:         72
        .size:           4
        .value_kind:     by_value
      - .offset:         76
        .size:           4
        .value_kind:     by_value
      - .offset:         80
        .size:           4
        .value_kind:     by_value
      - .offset:         84
        .size:           4
        .value_kind:     by_value
      - .offset:         88
        .size:           4
        .value_kind:     by_value
      - .offset:         92
        .size:           4
        .value_kind:     by_value
      - .offset:         96
        .size:           4
        .value_kind:     hidden_block_count_x
      - .offset:         100
        .size:           4
        .value_kind:     hidden_block_count_y
      - .offset:         104
        .size:           4
        .value_kind:     hidden_block_count_z
      - .offset:         108
        .size:           2
        .value_kind:     hidden_group_size_x
      - .offset:         110
        .size:           2
        .value_kind:     hidden_group_size_y
      - .offset:         112
        .size:           2
        .value_kind:     hidden_group_size_z
      - .offset:         114
        .size:           2
        .value_kind:     hidden_remainder_x
      - .offset:         116
        .size:           2
        .value_kind:     hidden_remainder_y
      - .offset:         118
        .size:           2
        .value_kind:     hidden_remainder_z
      - .offset:         136
        .size:           8
        .value_kind:     hidden_global_offset_x
      - .offset:         144
        .size:           8
        .value_kind:     hidden_global_offset_y
      - .offset:         152
        .size:           8
        .value_kind:     hidden_global_offset_z
      - .offset:         160
        .size:           2
        .value_kind:     hidden_grid_dims
      - .offset:         216
        .size:           4
        .value_kind:     hidden_dynamic_lds_size
    .group_segment_fixed_size: 256
    .kernarg_segment_align: 8
    .kernarg_segment_size: 352
    .language:       OpenCL C
    .language_version:
      - 2
      - 0
    .max_flat_workgroup_size: 320
    .name:           _ZL9mul_mat_fI15__hip_bfloat162Li64ELi14ELi5ELb1EEvPKT_PKfPKiPfiiiiiiiiiiiiiiii
    .private_segment_fixed_size: 0
    .sgpr_count:     106
    .sgpr_spill_count: 35
    .symbol:         _ZL9mul_mat_fI15__hip_bfloat162Li64ELi14ELi5ELb1EEvPKT_PKfPKiPfiiiiiiiiiiiiiiii.kd
    .uniform_work_group_size: 1
    .uses_dynamic_stack: false
    .vgpr_count:     111
    .vgpr_spill_count: 0
    .wavefront_size: 64
  - .agpr_count:     0
    .args:
      - .actual_access:  read_only
        .address_space:  global
        .offset:         0
        .size:           8
        .value_kind:     global_buffer
      - .actual_access:  read_only
        .address_space:  global
        .offset:         8
        .size:           8
        .value_kind:     global_buffer
      - .actual_access:  read_only
        .address_space:  global
        .offset:         16
        .size:           8
        .value_kind:     global_buffer
      - .actual_access:  write_only
        .address_space:  global
        .offset:         24
        .size:           8
        .value_kind:     global_buffer
      - .offset:         32
        .size:           4
        .value_kind:     by_value
      - .offset:         36
        .size:           4
        .value_kind:     by_value
      - .offset:         40
        .size:           4
        .value_kind:     by_value
      - .offset:         44
        .size:           4
        .value_kind:     by_value
      - .offset:         48
        .size:           4
        .value_kind:     by_value
      - .offset:         52
        .size:           4
        .value_kind:     by_value
      - .offset:         56
        .size:           4
        .value_kind:     by_value
      - .offset:         60
        .size:           4
        .value_kind:     by_value
      - .offset:         64
        .size:           4
        .value_kind:     by_value
      - .offset:         68
        .size:           4
        .value_kind:     by_value
      - .offset:         72
        .size:           4
        .value_kind:     by_value
      - .offset:         76
        .size:           4
        .value_kind:     by_value
      - .offset:         80
        .size:           4
        .value_kind:     by_value
      - .offset:         84
        .size:           4
        .value_kind:     by_value
      - .offset:         88
        .size:           4
        .value_kind:     by_value
      - .offset:         92
        .size:           4
        .value_kind:     by_value
    .group_segment_fixed_size: 0
    .kernarg_segment_align: 8
    .kernarg_segment_size: 96
    .language:       OpenCL C
    .language_version:
      - 2
      - 0
    .max_flat_workgroup_size: 320
    .name:           _ZL9mul_mat_fI15__hip_bfloat162Li64ELi14ELi5ELb0EEvPKT_PKfPKiPfiiiiiiiiiiiiiiii
    .private_segment_fixed_size: 0
    .sgpr_count:     106
    .sgpr_spill_count: 3
    .symbol:         _ZL9mul_mat_fI15__hip_bfloat162Li64ELi14ELi5ELb0EEvPKT_PKfPKiPfiiiiiiiiiiiiiiii.kd
    .uniform_work_group_size: 1
    .uses_dynamic_stack: false
    .vgpr_count:     107
    .vgpr_spill_count: 0
    .wavefront_size: 64
  - .agpr_count:     0
    .args:
      - .actual_access:  read_only
        .address_space:  global
        .offset:         0
        .size:           8
        .value_kind:     global_buffer
      - .actual_access:  read_only
        .address_space:  global
        .offset:         8
        .size:           8
        .value_kind:     global_buffer
      - .actual_access:  read_only
        .address_space:  global
        .offset:         16
        .size:           8
        .value_kind:     global_buffer
      - .actual_access:  read_only
        .address_space:  global
        .offset:         24
        .size:           8
        .value_kind:     global_buffer
      - .actual_access:  read_only
        .address_space:  global
        .offset:         32
        .size:           8
        .value_kind:     global_buffer
      - .actual_access:  write_only
        .address_space:  global
        .offset:         40
        .size:           8
        .value_kind:     global_buffer
      - .offset:         48
        .size:           4
        .value_kind:     by_value
      - .offset:         52
        .size:           4
        .value_kind:     by_value
      - .offset:         56
        .size:           4
        .value_kind:     by_value
      - .offset:         60
        .size:           4
        .value_kind:     by_value
      - .offset:         64
        .size:           4
        .value_kind:     by_value
      - .offset:         68
        .size:           4
        .value_kind:     by_value
      - .offset:         72
        .size:           4
        .value_kind:     by_value
      - .offset:         76
        .size:           4
        .value_kind:     by_value
      - .offset:         80
        .size:           4
        .value_kind:     by_value
      - .offset:         84
        .size:           4
        .value_kind:     by_value
      - .offset:         88
        .size:           4
        .value_kind:     by_value
      - .offset:         92
        .size:           4
        .value_kind:     by_value
      - .offset:         96
        .size:           4
        .value_kind:     by_value
      - .offset:         100
        .size:           4
        .value_kind:     by_value
      - .offset:         104
        .size:           12
        .value_kind:     by_value
      - .offset:         116
        .size:           12
        .value_kind:     by_value
    .group_segment_fixed_size: 0
    .kernarg_segment_align: 8
    .kernarg_segment_size: 128
    .language:       OpenCL C
    .language_version:
      - 2
      - 0
    .max_flat_workgroup_size: 384
    .name:           _ZL13mul_mat_f_idsI15__hip_bfloat162Li64ELi14ELi6EEvPKT_PKfPKiS7_S7_Pfiiiiiiiiiiiiii15HIP_vector_typeIjLj3EESA_
    .private_segment_fixed_size: 0
    .sgpr_count:     106
    .sgpr_spill_count: 32
    .symbol:         _ZL13mul_mat_f_idsI15__hip_bfloat162Li64ELi14ELi6EEvPKT_PKfPKiS7_S7_Pfiiiiiiiiiiiiii15HIP_vector_typeIjLj3EESA_.kd
    .uniform_work_group_size: 1
    .uses_dynamic_stack: false
    .vgpr_count:     120
    .vgpr_spill_count: 0
    .wavefront_size: 64
  - .agpr_count:     0
    .args:
      - .actual_access:  read_only
        .address_space:  global
        .offset:         0
        .size:           8
        .value_kind:     global_buffer
      - .actual_access:  read_only
        .address_space:  global
        .offset:         8
        .size:           8
        .value_kind:     global_buffer
      - .actual_access:  read_only
        .address_space:  global
        .offset:         16
        .size:           8
        .value_kind:     global_buffer
      - .actual_access:  write_only
        .address_space:  global
        .offset:         24
        .size:           8
        .value_kind:     global_buffer
      - .offset:         32
        .size:           4
        .value_kind:     by_value
      - .offset:         36
        .size:           4
        .value_kind:     by_value
      - .offset:         40
        .size:           4
        .value_kind:     by_value
      - .offset:         44
        .size:           4
        .value_kind:     by_value
      - .offset:         48
        .size:           4
        .value_kind:     by_value
      - .offset:         52
        .size:           4
        .value_kind:     by_value
      - .offset:         56
        .size:           4
        .value_kind:     by_value
      - .offset:         60
        .size:           4
        .value_kind:     by_value
      - .offset:         64
        .size:           4
        .value_kind:     by_value
      - .offset:         68
        .size:           4
        .value_kind:     by_value
      - .offset:         72
        .size:           4
        .value_kind:     by_value
      - .offset:         76
        .size:           4
        .value_kind:     by_value
      - .offset:         80
        .size:           4
        .value_kind:     by_value
      - .offset:         84
        .size:           4
        .value_kind:     by_value
      - .offset:         88
        .size:           4
        .value_kind:     by_value
      - .offset:         92
        .size:           4
        .value_kind:     by_value
      - .offset:         96
        .size:           4
        .value_kind:     hidden_block_count_x
      - .offset:         100
        .size:           4
        .value_kind:     hidden_block_count_y
      - .offset:         104
        .size:           4
        .value_kind:     hidden_block_count_z
      - .offset:         108
        .size:           2
        .value_kind:     hidden_group_size_x
      - .offset:         110
        .size:           2
        .value_kind:     hidden_group_size_y
      - .offset:         112
        .size:           2
        .value_kind:     hidden_group_size_z
      - .offset:         114
        .size:           2
        .value_kind:     hidden_remainder_x
      - .offset:         116
        .size:           2
        .value_kind:     hidden_remainder_y
      - .offset:         118
        .size:           2
        .value_kind:     hidden_remainder_z
      - .offset:         136
        .size:           8
        .value_kind:     hidden_global_offset_x
      - .offset:         144
        .size:           8
        .value_kind:     hidden_global_offset_y
      - .offset:         152
        .size:           8
        .value_kind:     hidden_global_offset_z
      - .offset:         160
        .size:           2
        .value_kind:     hidden_grid_dims
      - .offset:         216
        .size:           4
        .value_kind:     hidden_dynamic_lds_size
    .group_segment_fixed_size: 256
    .kernarg_segment_align: 8
    .kernarg_segment_size: 352
    .language:       OpenCL C
    .language_version:
      - 2
      - 0
    .max_flat_workgroup_size: 384
    .name:           _ZL9mul_mat_fI15__hip_bfloat162Li64ELi14ELi6ELb1EEvPKT_PKfPKiPfiiiiiiiiiiiiiiii
    .private_segment_fixed_size: 0
    .sgpr_count:     106
    .sgpr_spill_count: 35
    .symbol:         _ZL9mul_mat_fI15__hip_bfloat162Li64ELi14ELi6ELb1EEvPKT_PKfPKiPfiiiiiiiiiiiiiiii.kd
    .uniform_work_group_size: 1
    .uses_dynamic_stack: false
    .vgpr_count:     111
    .vgpr_spill_count: 0
    .wavefront_size: 64
  - .agpr_count:     0
    .args:
      - .actual_access:  read_only
        .address_space:  global
        .offset:         0
        .size:           8
        .value_kind:     global_buffer
      - .actual_access:  read_only
        .address_space:  global
        .offset:         8
        .size:           8
        .value_kind:     global_buffer
      - .actual_access:  read_only
        .address_space:  global
        .offset:         16
        .size:           8
        .value_kind:     global_buffer
      - .actual_access:  write_only
        .address_space:  global
        .offset:         24
        .size:           8
        .value_kind:     global_buffer
      - .offset:         32
        .size:           4
        .value_kind:     by_value
      - .offset:         36
        .size:           4
        .value_kind:     by_value
      - .offset:         40
        .size:           4
        .value_kind:     by_value
      - .offset:         44
        .size:           4
        .value_kind:     by_value
      - .offset:         48
        .size:           4
        .value_kind:     by_value
      - .offset:         52
        .size:           4
        .value_kind:     by_value
      - .offset:         56
        .size:           4
        .value_kind:     by_value
      - .offset:         60
        .size:           4
        .value_kind:     by_value
      - .offset:         64
        .size:           4
        .value_kind:     by_value
      - .offset:         68
        .size:           4
        .value_kind:     by_value
      - .offset:         72
        .size:           4
        .value_kind:     by_value
      - .offset:         76
        .size:           4
        .value_kind:     by_value
      - .offset:         80
        .size:           4
        .value_kind:     by_value
      - .offset:         84
        .size:           4
        .value_kind:     by_value
      - .offset:         88
        .size:           4
        .value_kind:     by_value
      - .offset:         92
        .size:           4
        .value_kind:     by_value
    .group_segment_fixed_size: 0
    .kernarg_segment_align: 8
    .kernarg_segment_size: 96
    .language:       OpenCL C
    .language_version:
      - 2
      - 0
    .max_flat_workgroup_size: 384
    .name:           _ZL9mul_mat_fI15__hip_bfloat162Li64ELi14ELi6ELb0EEvPKT_PKfPKiPfiiiiiiiiiiiiiiii
    .private_segment_fixed_size: 0
    .sgpr_count:     106
    .sgpr_spill_count: 3
    .symbol:         _ZL9mul_mat_fI15__hip_bfloat162Li64ELi14ELi6ELb0EEvPKT_PKfPKiPfiiiiiiiiiiiiiiii.kd
    .uniform_work_group_size: 1
    .uses_dynamic_stack: false
    .vgpr_count:     107
    .vgpr_spill_count: 0
    .wavefront_size: 64
  - .agpr_count:     0
    .args:
      - .actual_access:  read_only
        .address_space:  global
        .offset:         0
        .size:           8
        .value_kind:     global_buffer
      - .actual_access:  read_only
        .address_space:  global
        .offset:         8
        .size:           8
        .value_kind:     global_buffer
      - .actual_access:  read_only
        .address_space:  global
        .offset:         16
        .size:           8
        .value_kind:     global_buffer
      - .actual_access:  read_only
        .address_space:  global
        .offset:         24
        .size:           8
        .value_kind:     global_buffer
      - .actual_access:  read_only
        .address_space:  global
        .offset:         32
        .size:           8
        .value_kind:     global_buffer
      - .actual_access:  write_only
        .address_space:  global
        .offset:         40
        .size:           8
        .value_kind:     global_buffer
      - .offset:         48
        .size:           4
        .value_kind:     by_value
      - .offset:         52
        .size:           4
        .value_kind:     by_value
      - .offset:         56
        .size:           4
        .value_kind:     by_value
      - .offset:         60
        .size:           4
        .value_kind:     by_value
      - .offset:         64
        .size:           4
        .value_kind:     by_value
      - .offset:         68
        .size:           4
        .value_kind:     by_value
      - .offset:         72
        .size:           4
        .value_kind:     by_value
      - .offset:         76
        .size:           4
        .value_kind:     by_value
      - .offset:         80
        .size:           4
        .value_kind:     by_value
      - .offset:         84
        .size:           4
        .value_kind:     by_value
      - .offset:         88
        .size:           4
        .value_kind:     by_value
      - .offset:         92
        .size:           4
        .value_kind:     by_value
      - .offset:         96
        .size:           4
        .value_kind:     by_value
      - .offset:         100
        .size:           4
        .value_kind:     by_value
      - .offset:         104
        .size:           12
        .value_kind:     by_value
      - .offset:         116
        .size:           12
        .value_kind:     by_value
    .group_segment_fixed_size: 0
    .kernarg_segment_align: 8
    .kernarg_segment_size: 128
    .language:       OpenCL C
    .language_version:
      - 2
      - 0
    .max_flat_workgroup_size: 448
    .name:           _ZL13mul_mat_f_idsI15__hip_bfloat162Li64ELi14ELi7EEvPKT_PKfPKiS7_S7_Pfiiiiiiiiiiiiii15HIP_vector_typeIjLj3EESA_
    .private_segment_fixed_size: 0
    .sgpr_count:     106
    .sgpr_spill_count: 32
    .symbol:         _ZL13mul_mat_f_idsI15__hip_bfloat162Li64ELi14ELi7EEvPKT_PKfPKiS7_S7_Pfiiiiiiiiiiiiii15HIP_vector_typeIjLj3EESA_.kd
    .uniform_work_group_size: 1
    .uses_dynamic_stack: false
    .vgpr_count:     120
    .vgpr_spill_count: 0
    .wavefront_size: 64
  - .agpr_count:     0
    .args:
      - .actual_access:  read_only
        .address_space:  global
        .offset:         0
        .size:           8
        .value_kind:     global_buffer
      - .actual_access:  read_only
        .address_space:  global
        .offset:         8
        .size:           8
        .value_kind:     global_buffer
      - .actual_access:  read_only
        .address_space:  global
        .offset:         16
        .size:           8
        .value_kind:     global_buffer
      - .actual_access:  write_only
        .address_space:  global
        .offset:         24
        .size:           8
        .value_kind:     global_buffer
      - .offset:         32
        .size:           4
        .value_kind:     by_value
      - .offset:         36
        .size:           4
        .value_kind:     by_value
      - .offset:         40
        .size:           4
        .value_kind:     by_value
      - .offset:         44
        .size:           4
        .value_kind:     by_value
      - .offset:         48
        .size:           4
        .value_kind:     by_value
      - .offset:         52
        .size:           4
        .value_kind:     by_value
      - .offset:         56
        .size:           4
        .value_kind:     by_value
      - .offset:         60
        .size:           4
        .value_kind:     by_value
      - .offset:         64
        .size:           4
        .value_kind:     by_value
      - .offset:         68
        .size:           4
        .value_kind:     by_value
      - .offset:         72
        .size:           4
        .value_kind:     by_value
      - .offset:         76
        .size:           4
        .value_kind:     by_value
      - .offset:         80
        .size:           4
        .value_kind:     by_value
      - .offset:         84
        .size:           4
        .value_kind:     by_value
      - .offset:         88
        .size:           4
        .value_kind:     by_value
      - .offset:         92
        .size:           4
        .value_kind:     by_value
      - .offset:         96
        .size:           4
        .value_kind:     hidden_block_count_x
      - .offset:         100
        .size:           4
        .value_kind:     hidden_block_count_y
      - .offset:         104
        .size:           4
        .value_kind:     hidden_block_count_z
      - .offset:         108
        .size:           2
        .value_kind:     hidden_group_size_x
      - .offset:         110
        .size:           2
        .value_kind:     hidden_group_size_y
      - .offset:         112
        .size:           2
        .value_kind:     hidden_group_size_z
      - .offset:         114
        .size:           2
        .value_kind:     hidden_remainder_x
      - .offset:         116
        .size:           2
        .value_kind:     hidden_remainder_y
      - .offset:         118
        .size:           2
        .value_kind:     hidden_remainder_z
      - .offset:         136
        .size:           8
        .value_kind:     hidden_global_offset_x
      - .offset:         144
        .size:           8
        .value_kind:     hidden_global_offset_y
      - .offset:         152
        .size:           8
        .value_kind:     hidden_global_offset_z
      - .offset:         160
        .size:           2
        .value_kind:     hidden_grid_dims
      - .offset:         216
        .size:           4
        .value_kind:     hidden_dynamic_lds_size
    .group_segment_fixed_size: 256
    .kernarg_segment_align: 8
    .kernarg_segment_size: 352
    .language:       OpenCL C
    .language_version:
      - 2
      - 0
    .max_flat_workgroup_size: 448
    .name:           _ZL9mul_mat_fI15__hip_bfloat162Li64ELi14ELi7ELb1EEvPKT_PKfPKiPfiiiiiiiiiiiiiiii
    .private_segment_fixed_size: 0
    .sgpr_count:     106
    .sgpr_spill_count: 33
    .symbol:         _ZL9mul_mat_fI15__hip_bfloat162Li64ELi14ELi7ELb1EEvPKT_PKfPKiPfiiiiiiiiiiiiiiii.kd
    .uniform_work_group_size: 1
    .uses_dynamic_stack: false
    .vgpr_count:     110
    .vgpr_spill_count: 0
    .wavefront_size: 64
  - .agpr_count:     0
    .args:
      - .actual_access:  read_only
        .address_space:  global
        .offset:         0
        .size:           8
        .value_kind:     global_buffer
      - .actual_access:  read_only
        .address_space:  global
        .offset:         8
        .size:           8
        .value_kind:     global_buffer
      - .actual_access:  read_only
        .address_space:  global
        .offset:         16
        .size:           8
        .value_kind:     global_buffer
      - .actual_access:  write_only
        .address_space:  global
        .offset:         24
        .size:           8
        .value_kind:     global_buffer
      - .offset:         32
        .size:           4
        .value_kind:     by_value
      - .offset:         36
        .size:           4
        .value_kind:     by_value
      - .offset:         40
        .size:           4
        .value_kind:     by_value
      - .offset:         44
        .size:           4
        .value_kind:     by_value
      - .offset:         48
        .size:           4
        .value_kind:     by_value
      - .offset:         52
        .size:           4
        .value_kind:     by_value
      - .offset:         56
        .size:           4
        .value_kind:     by_value
      - .offset:         60
        .size:           4
        .value_kind:     by_value
      - .offset:         64
        .size:           4
        .value_kind:     by_value
      - .offset:         68
        .size:           4
        .value_kind:     by_value
      - .offset:         72
        .size:           4
        .value_kind:     by_value
      - .offset:         76
        .size:           4
        .value_kind:     by_value
      - .offset:         80
        .size:           4
        .value_kind:     by_value
      - .offset:         84
        .size:           4
        .value_kind:     by_value
      - .offset:         88
        .size:           4
        .value_kind:     by_value
      - .offset:         92
        .size:           4
        .value_kind:     by_value
    .group_segment_fixed_size: 0
    .kernarg_segment_align: 8
    .kernarg_segment_size: 96
    .language:       OpenCL C
    .language_version:
      - 2
      - 0
    .max_flat_workgroup_size: 448
    .name:           _ZL9mul_mat_fI15__hip_bfloat162Li64ELi14ELi7ELb0EEvPKT_PKfPKiPfiiiiiiiiiiiiiiii
    .private_segment_fixed_size: 0
    .sgpr_count:     106
    .sgpr_spill_count: 3
    .symbol:         _ZL9mul_mat_fI15__hip_bfloat162Li64ELi14ELi7ELb0EEvPKT_PKfPKiPfiiiiiiiiiiiiiiii.kd
    .uniform_work_group_size: 1
    .uses_dynamic_stack: false
    .vgpr_count:     108
    .vgpr_spill_count: 0
    .wavefront_size: 64
  - .agpr_count:     0
    .args:
      - .actual_access:  read_only
        .address_space:  global
        .offset:         0
        .size:           8
        .value_kind:     global_buffer
      - .actual_access:  read_only
        .address_space:  global
        .offset:         8
        .size:           8
        .value_kind:     global_buffer
      - .actual_access:  read_only
        .address_space:  global
        .offset:         16
        .size:           8
        .value_kind:     global_buffer
      - .actual_access:  read_only
        .address_space:  global
        .offset:         24
        .size:           8
        .value_kind:     global_buffer
      - .actual_access:  read_only
        .address_space:  global
        .offset:         32
        .size:           8
        .value_kind:     global_buffer
      - .actual_access:  write_only
        .address_space:  global
        .offset:         40
        .size:           8
        .value_kind:     global_buffer
      - .offset:         48
        .size:           4
        .value_kind:     by_value
      - .offset:         52
        .size:           4
        .value_kind:     by_value
      - .offset:         56
        .size:           4
        .value_kind:     by_value
      - .offset:         60
        .size:           4
        .value_kind:     by_value
      - .offset:         64
        .size:           4
        .value_kind:     by_value
      - .offset:         68
        .size:           4
        .value_kind:     by_value
      - .offset:         72
        .size:           4
        .value_kind:     by_value
      - .offset:         76
        .size:           4
        .value_kind:     by_value
      - .offset:         80
        .size:           4
        .value_kind:     by_value
      - .offset:         84
        .size:           4
        .value_kind:     by_value
      - .offset:         88
        .size:           4
        .value_kind:     by_value
      - .offset:         92
        .size:           4
        .value_kind:     by_value
      - .offset:         96
        .size:           4
        .value_kind:     by_value
      - .offset:         100
        .size:           4
        .value_kind:     by_value
      - .offset:         104
        .size:           12
        .value_kind:     by_value
      - .offset:         116
        .size:           12
        .value_kind:     by_value
    .group_segment_fixed_size: 0
    .kernarg_segment_align: 8
    .kernarg_segment_size: 128
    .language:       OpenCL C
    .language_version:
      - 2
      - 0
    .max_flat_workgroup_size: 512
    .name:           _ZL13mul_mat_f_idsI15__hip_bfloat162Li64ELi14ELi8EEvPKT_PKfPKiS7_S7_Pfiiiiiiiiiiiiii15HIP_vector_typeIjLj3EESA_
    .private_segment_fixed_size: 0
    .sgpr_count:     106
    .sgpr_spill_count: 32
    .symbol:         _ZL13mul_mat_f_idsI15__hip_bfloat162Li64ELi14ELi8EEvPKT_PKfPKiS7_S7_Pfiiiiiiiiiiiiii15HIP_vector_typeIjLj3EESA_.kd
    .uniform_work_group_size: 1
    .uses_dynamic_stack: false
    .vgpr_count:     120
    .vgpr_spill_count: 0
    .wavefront_size: 64
  - .agpr_count:     0
    .args:
      - .actual_access:  read_only
        .address_space:  global
        .offset:         0
        .size:           8
        .value_kind:     global_buffer
      - .actual_access:  read_only
        .address_space:  global
        .offset:         8
        .size:           8
        .value_kind:     global_buffer
      - .actual_access:  read_only
        .address_space:  global
        .offset:         16
        .size:           8
        .value_kind:     global_buffer
      - .actual_access:  write_only
        .address_space:  global
        .offset:         24
        .size:           8
        .value_kind:     global_buffer
      - .offset:         32
        .size:           4
        .value_kind:     by_value
      - .offset:         36
        .size:           4
        .value_kind:     by_value
      - .offset:         40
        .size:           4
        .value_kind:     by_value
      - .offset:         44
        .size:           4
        .value_kind:     by_value
      - .offset:         48
        .size:           4
        .value_kind:     by_value
      - .offset:         52
        .size:           4
        .value_kind:     by_value
      - .offset:         56
        .size:           4
        .value_kind:     by_value
      - .offset:         60
        .size:           4
        .value_kind:     by_value
      - .offset:         64
        .size:           4
        .value_kind:     by_value
      - .offset:         68
        .size:           4
        .value_kind:     by_value
      - .offset:         72
        .size:           4
        .value_kind:     by_value
      - .offset:         76
        .size:           4
        .value_kind:     by_value
      - .offset:         80
        .size:           4
        .value_kind:     by_value
      - .offset:         84
        .size:           4
        .value_kind:     by_value
      - .offset:         88
        .size:           4
        .value_kind:     by_value
      - .offset:         92
        .size:           4
        .value_kind:     by_value
      - .offset:         96
        .size:           4
        .value_kind:     hidden_block_count_x
      - .offset:         100
        .size:           4
        .value_kind:     hidden_block_count_y
      - .offset:         104
        .size:           4
        .value_kind:     hidden_block_count_z
      - .offset:         108
        .size:           2
        .value_kind:     hidden_group_size_x
      - .offset:         110
        .size:           2
        .value_kind:     hidden_group_size_y
      - .offset:         112
        .size:           2
        .value_kind:     hidden_group_size_z
      - .offset:         114
        .size:           2
        .value_kind:     hidden_remainder_x
      - .offset:         116
        .size:           2
        .value_kind:     hidden_remainder_y
      - .offset:         118
        .size:           2
        .value_kind:     hidden_remainder_z
      - .offset:         136
        .size:           8
        .value_kind:     hidden_global_offset_x
      - .offset:         144
        .size:           8
        .value_kind:     hidden_global_offset_y
      - .offset:         152
        .size:           8
        .value_kind:     hidden_global_offset_z
      - .offset:         160
        .size:           2
        .value_kind:     hidden_grid_dims
      - .offset:         216
        .size:           4
        .value_kind:     hidden_dynamic_lds_size
    .group_segment_fixed_size: 256
    .kernarg_segment_align: 8
    .kernarg_segment_size: 352
    .language:       OpenCL C
    .language_version:
      - 2
      - 0
    .max_flat_workgroup_size: 512
    .name:           _ZL9mul_mat_fI15__hip_bfloat162Li64ELi14ELi8ELb1EEvPKT_PKfPKiPfiiiiiiiiiiiiiiii
    .private_segment_fixed_size: 0
    .sgpr_count:     106
    .sgpr_spill_count: 33
    .symbol:         _ZL9mul_mat_fI15__hip_bfloat162Li64ELi14ELi8ELb1EEvPKT_PKfPKiPfiiiiiiiiiiiiiiii.kd
    .uniform_work_group_size: 1
    .uses_dynamic_stack: false
    .vgpr_count:     110
    .vgpr_spill_count: 0
    .wavefront_size: 64
  - .agpr_count:     0
    .args:
      - .actual_access:  read_only
        .address_space:  global
        .offset:         0
        .size:           8
        .value_kind:     global_buffer
      - .actual_access:  read_only
        .address_space:  global
        .offset:         8
        .size:           8
        .value_kind:     global_buffer
      - .actual_access:  read_only
        .address_space:  global
        .offset:         16
        .size:           8
        .value_kind:     global_buffer
      - .actual_access:  write_only
        .address_space:  global
        .offset:         24
        .size:           8
        .value_kind:     global_buffer
      - .offset:         32
        .size:           4
        .value_kind:     by_value
      - .offset:         36
        .size:           4
        .value_kind:     by_value
      - .offset:         40
        .size:           4
        .value_kind:     by_value
      - .offset:         44
        .size:           4
        .value_kind:     by_value
      - .offset:         48
        .size:           4
        .value_kind:     by_value
      - .offset:         52
        .size:           4
        .value_kind:     by_value
      - .offset:         56
        .size:           4
        .value_kind:     by_value
      - .offset:         60
        .size:           4
        .value_kind:     by_value
      - .offset:         64
        .size:           4
        .value_kind:     by_value
      - .offset:         68
        .size:           4
        .value_kind:     by_value
      - .offset:         72
        .size:           4
        .value_kind:     by_value
      - .offset:         76
        .size:           4
        .value_kind:     by_value
      - .offset:         80
        .size:           4
        .value_kind:     by_value
      - .offset:         84
        .size:           4
        .value_kind:     by_value
      - .offset:         88
        .size:           4
        .value_kind:     by_value
      - .offset:         92
        .size:           4
        .value_kind:     by_value
    .group_segment_fixed_size: 0
    .kernarg_segment_align: 8
    .kernarg_segment_size: 96
    .language:       OpenCL C
    .language_version:
      - 2
      - 0
    .max_flat_workgroup_size: 512
    .name:           _ZL9mul_mat_fI15__hip_bfloat162Li64ELi14ELi8ELb0EEvPKT_PKfPKiPfiiiiiiiiiiiiiiii
    .private_segment_fixed_size: 0
    .sgpr_count:     106
    .sgpr_spill_count: 3
    .symbol:         _ZL9mul_mat_fI15__hip_bfloat162Li64ELi14ELi8ELb0EEvPKT_PKfPKiPfiiiiiiiiiiiiiiii.kd
    .uniform_work_group_size: 1
    .uses_dynamic_stack: false
    .vgpr_count:     107
    .vgpr_spill_count: 0
    .wavefront_size: 64
amdhsa.target:   amdgcn-amd-amdhsa--gfx942
amdhsa.version:
  - 1
  - 2
...

	.end_amdgpu_metadata
